;; amdgpu-corpus repo=ROCm/rocBLAS kind=compiled arch=gfx906 opt=O3
	.amdgcn_target "amdgcn-amd-amdhsa--gfx906"
	.amdhsa_code_object_version 6
	.section	.text._ZL30rocblas_trmm_outofplace_kernelIfLi32ELi2ELb1ELb0ELb0ELb0EPKfS0_fEv17rocblas_diagonal_iiT6_lPT7_lllS5_lllPT8_llli,"axG",@progbits,_ZL30rocblas_trmm_outofplace_kernelIfLi32ELi2ELb1ELb0ELb0ELb0EPKfS0_fEv17rocblas_diagonal_iiT6_lPT7_lllS5_lllPT8_llli,comdat
	.globl	_ZL30rocblas_trmm_outofplace_kernelIfLi32ELi2ELb1ELb0ELb0ELb0EPKfS0_fEv17rocblas_diagonal_iiT6_lPT7_lllS5_lllPT8_llli ; -- Begin function _ZL30rocblas_trmm_outofplace_kernelIfLi32ELi2ELb1ELb0ELb0ELb0EPKfS0_fEv17rocblas_diagonal_iiT6_lPT7_lllS5_lllPT8_llli
	.p2align	8
	.type	_ZL30rocblas_trmm_outofplace_kernelIfLi32ELi2ELb1ELb0ELb0ELb0EPKfS0_fEv17rocblas_diagonal_iiT6_lPT7_lllS5_lllPT8_llli,@function
_ZL30rocblas_trmm_outofplace_kernelIfLi32ELi2ELb1ELb0ELb0ELb0EPKfS0_fEv17rocblas_diagonal_iiT6_lPT7_lllS5_lllPT8_llli: ; @_ZL30rocblas_trmm_outofplace_kernelIfLi32ELi2ELb1ELb0ELb0ELb0EPKfS0_fEv17rocblas_diagonal_iiT6_lPT7_lllS5_lllPT8_llli
; %bb.0:
	s_load_dwordx16 s[12:27], s[4:5], 0x10
	s_mov_b64 s[54:55], s[2:3]
	s_mov_b64 s[52:53], s[0:1]
	s_add_u32 s52, s52, s9
	s_addc_u32 s53, s53, 0
	s_waitcnt lgkmcnt(0)
	s_mul_i32 s0, s15, s8
	s_mul_hi_u32 s1, s14, s8
	s_add_i32 s1, s1, s0
	s_mul_i32 s0, s14, s8
	s_lshl_b64 s[0:1], s[0:1], 2
	s_add_u32 s0, s12, s0
	s_addc_u32 s1, s13, s1
	s_load_dword s33, s[0:1], 0x0
	s_waitcnt lgkmcnt(0)
	v_cmp_eq_f32_e64 s[0:1], s33, 0
	s_and_b64 vcc, exec, s[0:1]
	s_cbranch_vccnz .LBB0_51
; %bb.1:
	s_load_dwordx4 s[28:31], s[4:5], 0x0
	s_waitcnt lgkmcnt(0)
	s_add_i32 s0, s30, -1
	s_ashr_i32 s1, s0, 31
	s_lshr_b32 s1, s1, 27
	s_add_i32 s0, s0, s1
	s_ashr_i32 s31, s0, 5
	s_cmp_gt_i32 s7, s31
	s_cbranch_scc1 .LBB0_51
; %bb.2:
	s_mul_i32 s0, s23, s8
	s_mul_hi_u32 s1, s22, s8
	s_load_dwordx8 s[36:43], s[4:5], 0x50
	s_load_dwordx4 s[44:47], s[4:5], 0x70
	s_add_i32 s1, s1, s0
	s_mul_i32 s0, s22, s8
	s_lshl_b64 s[10:11], s[0:1], 2
	s_add_u32 s0, s16, s10
	s_addc_u32 s1, s17, s11
	s_lshl_b64 s[12:13], s[18:19], 2
	s_add_u32 s9, s0, s12
	s_addc_u32 s14, s1, s13
	s_waitcnt lgkmcnt(0)
	s_mul_i32 s0, s47, s8
	s_mul_hi_u32 s1, s46, s8
	s_add_i32 s1, s1, s0
	s_mul_i32 s0, s46, s8
	s_lshl_b64 s[0:1], s[0:1], 2
	v_mad_u64_u32 v[2:3], s[2:3], s20, v1, 0
	s_load_dword s48, s[4:5], 0x8c
	s_add_u32 s4, s40, s0
	s_addc_u32 s5, s41, s1
	s_lshl_b64 s[0:1], s[42:43], 2
	s_add_u32 s49, s4, s0
	s_addc_u32 s50, s5, s1
	v_mad_u64_u32 v[3:4], s[0:1], s21, v1, v[3:4]
	s_lshl_b32 s51, s6, 5
	s_cmp_gt_i32 s6, -1
	s_cselect_b64 s[22:23], -1, 0
	s_cmpk_eq_i32 s28, 0x84
	s_cselect_b64 s[34:35], -1, 0
	s_ashr_i32 s41, s29, 31
	s_ashr_i32 s6, s30, 31
	s_lshl_b64 s[42:43], s[20:21], 7
	v_lshlrev_b64 v[2:3], 2, v[2:3]
	s_add_u32 s46, s29, -16
	s_addc_u32 s47, s41, -1
	v_add_co_u32_e32 v2, vcc, s9, v2
	s_add_u32 s9, s16, s12
	s_addc_u32 s12, s17, s13
	v_mov_b32_e32 v4, s14
	s_add_u32 s10, s9, s10
	v_addc_co_u32_e32 v3, vcc, v4, v3, vcc
	s_addc_u32 s11, s12, s11
	v_mov_b32_e32 v4, s10
	v_lshl_add_u32 v6, v1, 2, 64
	v_mov_b32_e32 v5, s11
	v_mad_u64_u32 v[26:27], s[10:11], s20, v6, v[4:5]
	v_add_u32_e32 v18, s51, v0
	v_ashrrev_i32_e32 v19, 31, v18
	v_mov_b32_e32 v4, v27
	v_add_co_u32_e32 v22, vcc, 16, v18
	v_mad_u64_u32 v[4:5], s[10:11], s21, v6, v[4:5]
	v_addc_co_u32_e32 v23, vcc, 0, v19, vcc
	s_mul_i32 s9, s39, s8
	s_mul_hi_u32 s10, s38, s8
	v_sub_co_u32_e32 v24, vcc, v18, v1
	s_add_i32 s9, s10, s9
	s_mul_i32 s8, s38, s8
	v_subbrev_co_u32_e32 v25, vcc, 0, v19, vcc
	s_lshl_b64 s[8:9], s[8:9], 2
	s_lshl_b64 s[10:11], s[26:27], 2
	v_add_co_u32_e32 v28, vcc, 16, v24
	s_add_u32 s8, s8, s10
	v_addc_co_u32_e32 v29, vcc, 0, v25, vcc
	s_addc_u32 s9, s9, s11
	buffer_store_dword v2, off, s[52:55], 0 ; 4-byte Folded Spill
	s_nop 0
	buffer_store_dword v3, off, s[52:55], 0 offset:4 ; 4-byte Folded Spill
	v_add_co_u32_e32 v30, vcc, -16, v24
	s_add_u32 s8, s24, s8
	v_lshlrev_b32_e32 v2, 7, v1
	v_lshlrev_b32_e32 v49, 2, v0
	v_addc_co_u32_e32 v31, vcc, -1, v25, vcc
	s_addc_u32 s9, s25, s9
	v_add_u32_e32 v50, v49, v2
	v_add_u32_e32 v51, 0x1000, v2
	;; [unrolled: 1-line block ×3, first 2 shown]
	v_mov_b32_e32 v27, v4
	v_mov_b32_e32 v4, s9
	v_add_co_u32_e32 v5, vcc, s8, v49
	s_mov_b32 s40, s29
	v_ashrrev_i32_e32 v3, 31, v2
	v_addc_co_u32_e32 v4, vcc, 0, v4, vcc
	v_cmp_le_i64_e64 s[2:3], s[40:41], v[22:23]
	v_lshlrev_b64 v[32:33], 2, v[18:19]
	v_add_co_u32_e32 v34, vcc, 64, v5
	v_lshlrev_b64 v[36:37], 2, v[2:3]
	v_mov_b32_e32 v48, 0
	v_add_u32_e32 v52, v51, v49
	v_cmp_le_i32_e64 s[0:1], s29, v18
	v_cmp_gt_i32_e64 s[4:5], s29, v18
	v_cmp_gt_i32_e64 s[14:15], s29, v2
	v_addc_co_u32_e32 v35, vcc, 0, v4, vcc
	s_lshl_b64 s[20:21], s[36:37], 2
	s_waitcnt lgkmcnt(0)
	s_lshl_b32 s28, s48, 5
	v_mov_b32_e32 v53, 1.0
	s_movk_i32 s29, 0x80
	v_lshl_add_u32 v38, s7, 5, v1
	s_branch .LBB0_4
.LBB0_3:                                ;   in Loop: Header=BB0_4 Depth=1
	s_or_b64 exec, exec, s[8:9]
	s_add_i32 s7, s48, s7
	s_cmp_le_i32 s7, s31
	v_add_u32_e32 v38, s28, v38
	s_cbranch_scc0 .LBB0_51
.LBB0_4:                                ; =>This Loop Header: Depth=1
                                        ;     Child Loop BB0_7 Depth 2
	v_lshl_add_u32 v54, s7, 5, v1
	v_ashrrev_i32_e32 v56, 31, v54
	s_andn2_b64 vcc, exec, s[22:23]
	v_mov_b32_e32 v58, 0
	v_mov_b32_e32 v57, 0
	;; [unrolled: 1-line block ×4, first 2 shown]
	s_cbranch_vccnz .LBB0_43
; %bb.5:                                ;   in Loop: Header=BB0_4 Depth=1
	buffer_load_dword v44, off, s[52:55], 0 ; 4-byte Folded Reload
	buffer_load_dword v45, off, s[52:55], 0 offset:4 ; 4-byte Folded Reload
	v_ashrrev_i32_e32 v39, 31, v38
	v_lshlrev_b64 v[2:3], 2, v[38:39]
	v_mad_u64_u32 v[40:41], s[8:9], s20, v38, v[34:35]
	v_add_co_u32_e32 v2, vcc, 64, v2
	v_addc_co_u32_e32 v3, vcc, 0, v3, vcc
	v_mul_lo_u32 v3, s36, v3
	v_mul_lo_u32 v6, s37, v2
	v_mad_u64_u32 v[42:43], s[8:9], s36, v2, v[34:35]
	v_mul_lo_u32 v4, s21, v38
	v_mul_lo_u32 v5, s20, v39
	v_add3_u32 v43, v6, v43, v3
	v_mov_b32_e32 v3, s6
	v_sub_co_u32_e32 v2, vcc, s30, v54
	v_subb_co_u32_e32 v3, vcc, v3, v56, vcc
	v_cmp_lt_i64_e64 s[8:9], 0, v[2:3]
	v_cmp_lt_i64_e64 s[10:11], 16, v[2:3]
	v_mov_b32_e32 v47, v27
	v_add3_u32 v41, v4, v41, v5
	s_mov_b64 s[24:25], 0
	v_mov_b32_e32 v39, 0
	v_mov_b32_e32 v46, v26
	;; [unrolled: 1-line block ×5, first 2 shown]
	s_branch .LBB0_7
.LBB0_6:                                ;   in Loop: Header=BB0_7 Depth=2
	s_or_b64 exec, exec, s[12:13]
	s_waitcnt lgkmcnt(0)
	s_barrier
	ds_read_b128 v[14:17], v51
	ds_read_b128 v[10:13], v51 offset:16
	ds_read_b128 v[6:9], v51 offset:32
	;; [unrolled: 1-line block ×3, first 2 shown]
	ds_read2_b32 v[20:21], v49 offset1:16
	ds_read_b128 v[59:62], v51 offset:2048
	v_add_co_u32_e32 v46, vcc, s42, v46
	s_add_u32 s24, s24, 32
	s_waitcnt lgkmcnt(1)
	v_fmac_f32_e32 v58, v20, v14
	v_fmac_f32_e32 v57, v21, v14
	s_waitcnt lgkmcnt(0)
	v_fmac_f32_e32 v55, v20, v59
	v_fmac_f32_e32 v39, v21, v59
	ds_read2_b32 v[20:21], v49 offset0:32 offset1:48
	s_addc_u32 s25, s25, 0
	s_sub_i32 s12, s24, 32
	s_cmp_ge_i32 s12, s51
	s_waitcnt lgkmcnt(0)
	v_fmac_f32_e32 v58, v20, v15
	v_fmac_f32_e32 v57, v21, v15
	ds_read2_b32 v[14:15], v49 offset0:64 offset1:80
	v_fmac_f32_e32 v55, v20, v60
	v_fmac_f32_e32 v39, v21, v60
	ds_read2_b32 v[20:21], v49 offset0:128 offset1:144
	s_waitcnt lgkmcnt(1)
	v_fmac_f32_e32 v58, v14, v16
	v_fmac_f32_e32 v57, v15, v16
	v_fmac_f32_e32 v55, v14, v61
	v_fmac_f32_e32 v39, v15, v61
	ds_read2_b32 v[14:15], v49 offset0:96 offset1:112
	s_waitcnt lgkmcnt(0)
	v_fmac_f32_e32 v58, v14, v17
	v_fmac_f32_e32 v57, v15, v17
	;; [unrolled: 1-line block ×4, first 2 shown]
	ds_read_b128 v[14:17], v51 offset:2064
	v_fmac_f32_e32 v58, v20, v10
	v_fmac_f32_e32 v57, v21, v10
	s_waitcnt lgkmcnt(0)
	v_fmac_f32_e32 v55, v20, v14
	v_fmac_f32_e32 v39, v21, v14
	ds_read2_b32 v[20:21], v49 offset0:160 offset1:176
	s_waitcnt lgkmcnt(0)
	v_fmac_f32_e32 v58, v20, v11
	v_fmac_f32_e32 v57, v21, v11
	ds_read2_b32 v[10:11], v49 offset0:192 offset1:208
	v_fmac_f32_e32 v55, v20, v15
	v_fmac_f32_e32 v39, v21, v15
	s_waitcnt lgkmcnt(0)
	v_fmac_f32_e32 v58, v10, v12
	v_fmac_f32_e32 v57, v11, v12
	;; [unrolled: 1-line block ×4, first 2 shown]
	ds_read2_b32 v[10:11], v49 offset0:224 offset1:240
	s_waitcnt lgkmcnt(0)
	v_fmac_f32_e32 v58, v10, v13
	v_fmac_f32_e32 v55, v10, v17
	v_add_u32_e32 v10, 0x400, v49
	v_fmac_f32_e32 v57, v11, v13
	v_fmac_f32_e32 v39, v11, v17
	ds_read2_b32 v[15:16], v10 offset1:16
	ds_read_b128 v[11:14], v51 offset:2080
	s_waitcnt lgkmcnt(1)
	v_fmac_f32_e32 v58, v15, v6
	v_fmac_f32_e32 v57, v16, v6
	s_waitcnt lgkmcnt(0)
	v_fmac_f32_e32 v55, v15, v11
	v_fmac_f32_e32 v39, v16, v11
	ds_read2_b32 v[15:16], v10 offset0:32 offset1:48
	s_waitcnt lgkmcnt(0)
	v_fmac_f32_e32 v58, v15, v7
	v_fmac_f32_e32 v57, v16, v7
	ds_read2_b32 v[6:7], v10 offset0:64 offset1:80
	v_fmac_f32_e32 v55, v15, v12
	v_fmac_f32_e32 v39, v16, v12
	ds_read2_b32 v[11:12], v10 offset0:128 offset1:144
	s_waitcnt lgkmcnt(1)
	v_fmac_f32_e32 v58, v6, v8
	v_fmac_f32_e32 v57, v7, v8
	;; [unrolled: 1-line block ×4, first 2 shown]
	ds_read2_b32 v[6:7], v10 offset0:96 offset1:112
	s_waitcnt lgkmcnt(0)
	v_fmac_f32_e32 v58, v6, v9
	v_fmac_f32_e32 v57, v7, v9
	v_fmac_f32_e32 v55, v6, v14
	v_fmac_f32_e32 v39, v7, v14
	ds_read_b128 v[6:9], v51 offset:2096
	v_fmac_f32_e32 v58, v11, v2
	v_fmac_f32_e32 v57, v12, v2
	s_waitcnt lgkmcnt(0)
	v_fmac_f32_e32 v55, v11, v6
	v_fmac_f32_e32 v39, v12, v6
	ds_read2_b32 v[11:12], v10 offset0:160 offset1:176
	s_waitcnt lgkmcnt(0)
	v_fmac_f32_e32 v58, v11, v3
	v_fmac_f32_e32 v57, v12, v3
	ds_read2_b32 v[2:3], v10 offset0:192 offset1:208
	v_fmac_f32_e32 v55, v11, v7
	v_fmac_f32_e32 v39, v12, v7
	s_waitcnt lgkmcnt(0)
	v_fmac_f32_e32 v58, v2, v4
	v_fmac_f32_e32 v57, v3, v4
	;; [unrolled: 1-line block ×4, first 2 shown]
	ds_read2_b32 v[2:3], v10 offset0:224 offset1:240
	v_add_u32_e32 v10, 0x800, v49
	ds_read2_b32 v[11:12], v10 offset1:16
	s_waitcnt lgkmcnt(1)
	v_fmac_f32_e32 v58, v2, v5
	v_fmac_f32_e32 v57, v3, v5
	v_fmac_f32_e32 v55, v2, v9
	v_fmac_f32_e32 v39, v3, v9
	ds_read_b128 v[2:5], v51 offset:64
	ds_read_b128 v[6:9], v51 offset:2112
	s_waitcnt lgkmcnt(1)
	v_fmac_f32_e32 v58, v11, v2
	v_fmac_f32_e32 v57, v12, v2
	s_waitcnt lgkmcnt(0)
	v_fmac_f32_e32 v55, v11, v6
	v_fmac_f32_e32 v39, v12, v6
	ds_read2_b32 v[11:12], v10 offset0:32 offset1:48
	s_waitcnt lgkmcnt(0)
	v_fmac_f32_e32 v58, v11, v3
	v_fmac_f32_e32 v57, v12, v3
	ds_read2_b32 v[2:3], v10 offset0:64 offset1:80
	v_fmac_f32_e32 v55, v11, v7
	v_fmac_f32_e32 v39, v12, v7
	s_waitcnt lgkmcnt(0)
	v_fmac_f32_e32 v58, v2, v4
	v_fmac_f32_e32 v57, v3, v4
	;; [unrolled: 1-line block ×4, first 2 shown]
	ds_read2_b32 v[2:3], v10 offset0:96 offset1:112
	s_waitcnt lgkmcnt(0)
	v_fmac_f32_e32 v58, v2, v5
	v_fmac_f32_e32 v57, v3, v5
	;; [unrolled: 1-line block ×4, first 2 shown]
	ds_read_b128 v[2:5], v51 offset:80
	ds_read2_b32 v[11:12], v10 offset0:128 offset1:144
	ds_read_b128 v[6:9], v51 offset:2128
	s_waitcnt lgkmcnt(1)
	v_fmac_f32_e32 v58, v11, v2
	v_fmac_f32_e32 v57, v12, v2
	s_waitcnt lgkmcnt(0)
	v_fmac_f32_e32 v55, v11, v6
	v_fmac_f32_e32 v39, v12, v6
	ds_read2_b32 v[11:12], v10 offset0:160 offset1:176
	s_waitcnt lgkmcnt(0)
	v_fmac_f32_e32 v58, v11, v3
	v_fmac_f32_e32 v57, v12, v3
	ds_read2_b32 v[2:3], v10 offset0:192 offset1:208
	v_fmac_f32_e32 v55, v11, v7
	v_fmac_f32_e32 v39, v12, v7
	s_waitcnt lgkmcnt(0)
	v_fmac_f32_e32 v58, v2, v4
	v_fmac_f32_e32 v57, v3, v4
	;; [unrolled: 1-line block ×4, first 2 shown]
	ds_read2_b32 v[2:3], v10 offset0:224 offset1:240
	v_add_u32_e32 v10, 0xc00, v49
	ds_read2_b32 v[11:12], v10 offset1:16
	s_waitcnt lgkmcnt(1)
	v_fmac_f32_e32 v58, v2, v5
	v_fmac_f32_e32 v57, v3, v5
	;; [unrolled: 1-line block ×4, first 2 shown]
	ds_read_b128 v[2:5], v51 offset:96
	ds_read_b128 v[6:9], v51 offset:2144
	s_waitcnt lgkmcnt(1)
	v_fmac_f32_e32 v58, v11, v2
	v_fmac_f32_e32 v57, v12, v2
	s_waitcnt lgkmcnt(0)
	v_fmac_f32_e32 v55, v11, v6
	v_fmac_f32_e32 v39, v12, v6
	ds_read2_b32 v[11:12], v10 offset0:32 offset1:48
	s_waitcnt lgkmcnt(0)
	v_fmac_f32_e32 v58, v11, v3
	v_fmac_f32_e32 v57, v12, v3
	ds_read2_b32 v[2:3], v10 offset0:64 offset1:80
	v_fmac_f32_e32 v55, v11, v7
	v_fmac_f32_e32 v39, v12, v7
	s_waitcnt lgkmcnt(0)
	v_fmac_f32_e32 v58, v2, v4
	v_fmac_f32_e32 v57, v3, v4
	;; [unrolled: 1-line block ×4, first 2 shown]
	ds_read2_b32 v[2:3], v10 offset0:96 offset1:112
	s_waitcnt lgkmcnt(0)
	v_fmac_f32_e32 v58, v2, v5
	v_fmac_f32_e32 v57, v3, v5
	;; [unrolled: 1-line block ×4, first 2 shown]
	ds_read_b128 v[2:5], v51 offset:112
	ds_read2_b32 v[11:12], v10 offset0:128 offset1:144
	ds_read_b128 v[6:9], v51 offset:2160
	s_waitcnt lgkmcnt(1)
	v_fmac_f32_e32 v58, v11, v2
	v_fmac_f32_e32 v57, v12, v2
	s_waitcnt lgkmcnt(0)
	v_fmac_f32_e32 v55, v11, v6
	v_fmac_f32_e32 v39, v12, v6
	ds_read2_b32 v[11:12], v10 offset0:160 offset1:176
	s_waitcnt lgkmcnt(0)
	v_fmac_f32_e32 v58, v11, v3
	v_fmac_f32_e32 v57, v12, v3
	ds_read2_b32 v[2:3], v10 offset0:192 offset1:208
	v_fmac_f32_e32 v55, v11, v7
	v_fmac_f32_e32 v39, v12, v7
	s_waitcnt lgkmcnt(0)
	v_fmac_f32_e32 v58, v2, v4
	v_fmac_f32_e32 v57, v3, v4
	;; [unrolled: 1-line block ×4, first 2 shown]
	ds_read2_b32 v[2:3], v10 offset0:224 offset1:240
	s_waitcnt lgkmcnt(0)
	s_barrier
	v_fmac_f32_e32 v58, v2, v5
	v_fmac_f32_e32 v55, v2, v9
	v_mov_b32_e32 v2, s43
	v_addc_co_u32_e32 v47, vcc, v47, v2, vcc
	v_add_co_u32_e32 v40, vcc, s29, v40
	v_addc_co_u32_e32 v41, vcc, 0, v41, vcc
	v_add_co_u32_e32 v44, vcc, s42, v44
	;; [unrolled: 2-line block ×3, first 2 shown]
	v_fmac_f32_e32 v57, v3, v5
	v_fmac_f32_e32 v39, v3, v9
	v_addc_co_u32_e32 v43, vcc, 0, v43, vcc
	s_cbranch_scc1 .LBB0_43
.LBB0_7:                                ;   Parent Loop BB0_4 Depth=1
                                        ; =>  This Inner Loop Header: Depth=2
	v_mov_b32_e32 v3, s25
	v_add_co_u32_e32 v2, vcc, s24, v1
	v_addc_co_u32_e32 v3, vcc, 0, v3, vcc
	s_waitcnt vmcnt(1)
	v_add_co_u32_e32 v4, vcc, v44, v32
	s_waitcnt vmcnt(0)
	v_addc_co_u32_e32 v5, vcc, v45, v33, vcc
	v_cmp_le_i64_e64 s[12:13], s[40:41], v[2:3]
	v_cmp_eq_u64_e64 s[16:17], s[24:25], v[24:25]
	v_cmp_gt_i64_e32 vcc, v[2:3], v[18:19]
	s_and_b64 s[26:27], s[34:35], s[16:17]
	s_or_b64 s[16:17], s[12:13], vcc
	s_or_b64 s[16:17], s[16:17], s[26:27]
	s_nor_b64 s[16:17], s[0:1], s[16:17]
                                        ; implicit-def: $vgpr6
	s_and_saveexec_b64 s[18:19], s[16:17]
	s_xor_b64 s[16:17], exec, s[18:19]
	s_cbranch_execz .LBB0_9
; %bb.8:                                ;   in Loop: Header=BB0_7 Depth=2
	global_load_dword v6, v[4:5], off
.LBB0_9:                                ;   in Loop: Header=BB0_7 Depth=2
	s_andn2_saveexec_b64 s[16:17], s[16:17]
	s_cbranch_execz .LBB0_11
; %bb.10:                               ;   in Loop: Header=BB0_7 Depth=2
	s_waitcnt vmcnt(0)
	v_cndmask_b32_e64 v6, 0, 1.0, s[26:27]
.LBB0_11:                               ;   in Loop: Header=BB0_7 Depth=2
	s_or_b64 exec, exec, s[16:17]
	v_cmp_eq_u64_e64 s[16:17], s[24:25], v[28:29]
	v_cmp_lt_i64_e64 s[18:19], v[22:23], v[2:3]
	s_and_b64 s[16:17], s[34:35], s[16:17]
	s_or_b64 s[12:13], s[12:13], s[18:19]
	s_or_b64 s[12:13], s[12:13], s[16:17]
	s_nor_b64 s[12:13], s[2:3], s[12:13]
	s_waitcnt vmcnt(0)
	ds_write_b32 v50, v6
	s_and_saveexec_b64 s[18:19], s[12:13]
	s_xor_b64 s[12:13], exec, s[18:19]
	s_cbranch_execz .LBB0_13
; %bb.12:                               ;   in Loop: Header=BB0_7 Depth=2
	global_load_dword v4, v[4:5], off offset:64
	s_waitcnt vmcnt(0)
	ds_write_b32 v50, v4 offset:64
.LBB0_13:                               ;   in Loop: Header=BB0_7 Depth=2
	s_andn2_saveexec_b64 s[12:13], s[12:13]
	s_cbranch_execz .LBB0_19
; %bb.14:                               ;   in Loop: Header=BB0_7 Depth=2
	s_xor_b64 s[16:17], s[16:17], -1
	s_and_saveexec_b64 s[18:19], s[16:17]
	s_xor_b64 s[16:17], exec, s[18:19]
; %bb.15:                               ;   in Loop: Header=BB0_7 Depth=2
	ds_write_b32 v50, v48 offset:64
; %bb.16:                               ;   in Loop: Header=BB0_7 Depth=2
	s_andn2_saveexec_b64 s[16:17], s[16:17]
; %bb.17:                               ;   in Loop: Header=BB0_7 Depth=2
	ds_write_b32 v50, v53 offset:64
; %bb.18:                               ;   in Loop: Header=BB0_7 Depth=2
	s_or_b64 exec, exec, s[16:17]
.LBB0_19:                               ;   in Loop: Header=BB0_7 Depth=2
	s_or_b64 exec, exec, s[12:13]
	v_add_co_u32_e64 v4, s[12:13], 16, v2
	v_add_co_u32_e64 v2, s[16:17], v46, v32
	v_addc_co_u32_e64 v5, s[12:13], 0, v3, s[12:13]
	v_addc_co_u32_e64 v3, s[16:17], v47, v33, s[16:17]
	v_cmp_le_i64_e64 s[12:13], s[40:41], v[4:5]
	v_cmp_eq_u64_e64 s[16:17], s[24:25], v[30:31]
	v_cmp_gt_i64_e64 s[18:19], v[4:5], v[18:19]
	s_and_b64 s[16:17], s[34:35], s[16:17]
	s_or_b64 s[18:19], s[12:13], s[18:19]
	s_or_b64 s[18:19], s[18:19], s[16:17]
	s_nor_b64 s[18:19], s[0:1], s[18:19]
                                        ; implicit-def: $vgpr4
	s_and_saveexec_b64 s[38:39], s[18:19]
	s_xor_b64 s[18:19], exec, s[38:39]
	s_cbranch_execz .LBB0_21
; %bb.20:                               ;   in Loop: Header=BB0_7 Depth=2
	global_load_dword v4, v[2:3], off
.LBB0_21:                               ;   in Loop: Header=BB0_7 Depth=2
	s_andn2_saveexec_b64 s[18:19], s[18:19]
	s_cbranch_execz .LBB0_23
; %bb.22:                               ;   in Loop: Header=BB0_7 Depth=2
	s_waitcnt vmcnt(0)
	v_cndmask_b32_e64 v4, 0, 1.0, s[16:17]
.LBB0_23:                               ;   in Loop: Header=BB0_7 Depth=2
	s_or_b64 exec, exec, s[18:19]
	s_or_b64 s[12:13], s[12:13], vcc
	s_or_b64 s[12:13], s[12:13], s[26:27]
	s_nor_b64 s[12:13], s[2:3], s[12:13]
	s_waitcnt vmcnt(0)
	ds_write_b32 v50, v4 offset:2048
	s_and_saveexec_b64 s[16:17], s[12:13]
	s_xor_b64 s[12:13], exec, s[16:17]
	s_cbranch_execz .LBB0_25
; %bb.24:                               ;   in Loop: Header=BB0_7 Depth=2
	global_load_dword v2, v[2:3], off offset:64
	s_waitcnt vmcnt(0)
	ds_write_b32 v50, v2 offset:2112
.LBB0_25:                               ;   in Loop: Header=BB0_7 Depth=2
	s_andn2_saveexec_b64 s[12:13], s[12:13]
	s_cbranch_execz .LBB0_31
; %bb.26:                               ;   in Loop: Header=BB0_7 Depth=2
	s_xor_b64 s[16:17], s[26:27], -1
	s_and_saveexec_b64 s[18:19], s[16:17]
	s_xor_b64 s[16:17], exec, s[18:19]
; %bb.27:                               ;   in Loop: Header=BB0_7 Depth=2
	ds_write_b32 v50, v48 offset:2112
; %bb.28:                               ;   in Loop: Header=BB0_7 Depth=2
	s_andn2_saveexec_b64 s[16:17], s[16:17]
; %bb.29:                               ;   in Loop: Header=BB0_7 Depth=2
	ds_write_b32 v50, v53 offset:2112
; %bb.30:                               ;   in Loop: Header=BB0_7 Depth=2
	s_or_b64 exec, exec, s[16:17]
.LBB0_31:                               ;   in Loop: Header=BB0_7 Depth=2
	s_or_b64 exec, exec, s[12:13]
	v_mov_b32_e32 v3, s25
	v_add_co_u32_e32 v2, vcc, s24, v0
	v_addc_co_u32_e32 v3, vcc, 0, v3, vcc
	v_cmp_gt_i64_e32 vcc, s[40:41], v[2:3]
	v_mov_b32_e32 v4, 0
	s_and_b64 s[16:17], s[8:9], vcc
	s_and_saveexec_b64 s[12:13], s[16:17]
	s_cbranch_execz .LBB0_33
; %bb.32:                               ;   in Loop: Header=BB0_7 Depth=2
	global_load_dword v4, v[40:41], off offset:-64
.LBB0_33:                               ;   in Loop: Header=BB0_7 Depth=2
	s_or_b64 exec, exec, s[12:13]
	v_cmp_gt_i64_e64 s[12:13], s[46:47], v[2:3]
	s_waitcnt vmcnt(0)
	ds_write_b32 v52, v4
	s_and_b64 s[16:17], s[8:9], s[12:13]
	s_xor_b64 s[16:17], s[16:17], -1
	s_and_saveexec_b64 s[18:19], s[16:17]
	s_xor_b64 s[16:17], exec, s[18:19]
; %bb.34:                               ;   in Loop: Header=BB0_7 Depth=2
	ds_write_b32 v52, v48 offset:64
; %bb.35:                               ;   in Loop: Header=BB0_7 Depth=2
	s_andn2_saveexec_b64 s[16:17], s[16:17]
	s_cbranch_execz .LBB0_37
; %bb.36:                               ;   in Loop: Header=BB0_7 Depth=2
	global_load_dword v2, v[40:41], off
	s_waitcnt vmcnt(0)
	ds_write_b32 v52, v2 offset:64
.LBB0_37:                               ;   in Loop: Header=BB0_7 Depth=2
	s_or_b64 exec, exec, s[16:17]
	s_and_b64 s[18:19], s[10:11], vcc
	v_mov_b32_e32 v2, 0
	s_and_saveexec_b64 s[16:17], s[18:19]
	s_cbranch_execz .LBB0_39
; %bb.38:                               ;   in Loop: Header=BB0_7 Depth=2
	global_load_dword v2, v[42:43], off offset:-64
.LBB0_39:                               ;   in Loop: Header=BB0_7 Depth=2
	s_or_b64 exec, exec, s[16:17]
	s_and_b64 s[12:13], s[10:11], s[12:13]
	s_xor_b64 s[12:13], s[12:13], -1
	s_waitcnt vmcnt(0)
	ds_write_b32 v52, v2 offset:2048
	s_and_saveexec_b64 s[16:17], s[12:13]
	s_xor_b64 s[12:13], exec, s[16:17]
; %bb.40:                               ;   in Loop: Header=BB0_7 Depth=2
	ds_write_b32 v52, v48 offset:2112
; %bb.41:                               ;   in Loop: Header=BB0_7 Depth=2
	s_andn2_saveexec_b64 s[12:13], s[12:13]
	s_cbranch_execz .LBB0_6
; %bb.42:                               ;   in Loop: Header=BB0_7 Depth=2
	global_load_dword v2, v[42:43], off
	s_waitcnt vmcnt(0)
	ds_write_b32 v52, v2 offset:2112
	s_branch .LBB0_6
.LBB0_43:                               ;   in Loop: Header=BB0_4 Depth=1
	v_mul_lo_u32 v4, s45, v54
	v_mul_lo_u32 v5, s44, v56
	v_mad_u64_u32 v[2:3], s[8:9], s44, v54, 0
	v_cmp_gt_i32_e32 vcc, s30, v54
	v_add3_u32 v3, v3, v5, v4
	v_lshlrev_b64 v[2:3], 2, v[2:3]
	v_mov_b32_e32 v4, s50
	v_add_co_u32_e64 v2, s[8:9], s49, v2
	v_addc_co_u32_e64 v3, s[8:9], v4, v3, s[8:9]
	s_and_b64 s[8:9], s[4:5], vcc
	s_and_saveexec_b64 s[10:11], s[8:9]
	s_cbranch_execz .LBB0_45
; %bb.44:                               ;   in Loop: Header=BB0_4 Depth=1
	v_add_co_u32_e64 v4, s[8:9], v2, v32
	v_addc_co_u32_e64 v5, s[8:9], v3, v33, s[8:9]
	global_load_dword v6, v[4:5], off
	s_waitcnt vmcnt(0)
	v_fmac_f32_e32 v6, s33, v58
	global_store_dword v[4:5], v6, off
.LBB0_45:                               ;   in Loop: Header=BB0_4 Depth=1
	s_or_b64 exec, exec, s[10:11]
	s_and_b64 s[10:11], s[14:15], vcc
	s_and_saveexec_b64 s[8:9], s[10:11]
	s_cbranch_execz .LBB0_47
; %bb.46:                               ;   in Loop: Header=BB0_4 Depth=1
	v_add_co_u32_e32 v2, vcc, v2, v36
	v_addc_co_u32_e32 v3, vcc, v3, v37, vcc
	global_load_dword v4, v[2:3], off
	s_waitcnt vmcnt(0)
	v_fmac_f32_e32 v4, s33, v57
	global_store_dword v[2:3], v4, off
.LBB0_47:                               ;   in Loop: Header=BB0_4 Depth=1
	s_or_b64 exec, exec, s[8:9]
	v_add_u32_e32 v4, 16, v54
	v_ashrrev_i32_e32 v2, 31, v4
	v_mul_lo_u32 v5, s44, v2
	v_mul_lo_u32 v6, s45, v4
	v_mad_u64_u32 v[2:3], s[8:9], s44, v4, 0
	v_cmp_gt_i32_e32 vcc, s30, v4
	v_mov_b32_e32 v4, s50
	v_add3_u32 v3, v3, v5, v6
	v_lshlrev_b64 v[2:3], 2, v[2:3]
	v_add_co_u32_e64 v2, s[8:9], s49, v2
	v_addc_co_u32_e64 v3, s[8:9], v4, v3, s[8:9]
	s_and_b64 s[8:9], s[4:5], vcc
	s_and_saveexec_b64 s[10:11], s[8:9]
	s_cbranch_execz .LBB0_49
; %bb.48:                               ;   in Loop: Header=BB0_4 Depth=1
	v_add_co_u32_e64 v4, s[8:9], v2, v32
	v_addc_co_u32_e64 v5, s[8:9], v3, v33, s[8:9]
	global_load_dword v6, v[4:5], off
	s_waitcnt vmcnt(0)
	v_fmac_f32_e32 v6, s33, v55
	global_store_dword v[4:5], v6, off
.LBB0_49:                               ;   in Loop: Header=BB0_4 Depth=1
	s_or_b64 exec, exec, s[10:11]
	s_and_b64 s[10:11], s[14:15], vcc
	s_and_saveexec_b64 s[8:9], s[10:11]
	s_cbranch_execz .LBB0_3
; %bb.50:                               ;   in Loop: Header=BB0_4 Depth=1
	v_add_co_u32_e32 v2, vcc, v2, v36
	v_addc_co_u32_e32 v3, vcc, v3, v37, vcc
	global_load_dword v4, v[2:3], off
	s_waitcnt vmcnt(0)
	v_fmac_f32_e32 v4, s33, v39
	global_store_dword v[2:3], v4, off
	s_branch .LBB0_3
.LBB0_51:
	s_endpgm
	.section	.rodata,"a",@progbits
	.p2align	6, 0x0
	.amdhsa_kernel _ZL30rocblas_trmm_outofplace_kernelIfLi32ELi2ELb1ELb0ELb0ELb0EPKfS0_fEv17rocblas_diagonal_iiT6_lPT7_lllS5_lllPT8_llli
		.amdhsa_group_segment_fixed_size 8192
		.amdhsa_private_segment_fixed_size 12
		.amdhsa_kernarg_size 392
		.amdhsa_user_sgpr_count 6
		.amdhsa_user_sgpr_private_segment_buffer 1
		.amdhsa_user_sgpr_dispatch_ptr 0
		.amdhsa_user_sgpr_queue_ptr 0
		.amdhsa_user_sgpr_kernarg_segment_ptr 1
		.amdhsa_user_sgpr_dispatch_id 0
		.amdhsa_user_sgpr_flat_scratch_init 0
		.amdhsa_user_sgpr_private_segment_size 0
		.amdhsa_uses_dynamic_stack 0
		.amdhsa_system_sgpr_private_segment_wavefront_offset 1
		.amdhsa_system_sgpr_workgroup_id_x 1
		.amdhsa_system_sgpr_workgroup_id_y 1
		.amdhsa_system_sgpr_workgroup_id_z 1
		.amdhsa_system_sgpr_workgroup_info 0
		.amdhsa_system_vgpr_workitem_id 1
		.amdhsa_next_free_vgpr 63
		.amdhsa_next_free_sgpr 61
		.amdhsa_reserve_vcc 1
		.amdhsa_reserve_flat_scratch 0
		.amdhsa_float_round_mode_32 0
		.amdhsa_float_round_mode_16_64 0
		.amdhsa_float_denorm_mode_32 3
		.amdhsa_float_denorm_mode_16_64 3
		.amdhsa_dx10_clamp 1
		.amdhsa_ieee_mode 1
		.amdhsa_fp16_overflow 0
		.amdhsa_exception_fp_ieee_invalid_op 0
		.amdhsa_exception_fp_denorm_src 0
		.amdhsa_exception_fp_ieee_div_zero 0
		.amdhsa_exception_fp_ieee_overflow 0
		.amdhsa_exception_fp_ieee_underflow 0
		.amdhsa_exception_fp_ieee_inexact 0
		.amdhsa_exception_int_div_zero 0
	.end_amdhsa_kernel
	.section	.text._ZL30rocblas_trmm_outofplace_kernelIfLi32ELi2ELb1ELb0ELb0ELb0EPKfS0_fEv17rocblas_diagonal_iiT6_lPT7_lllS5_lllPT8_llli,"axG",@progbits,_ZL30rocblas_trmm_outofplace_kernelIfLi32ELi2ELb1ELb0ELb0ELb0EPKfS0_fEv17rocblas_diagonal_iiT6_lPT7_lllS5_lllPT8_llli,comdat
.Lfunc_end0:
	.size	_ZL30rocblas_trmm_outofplace_kernelIfLi32ELi2ELb1ELb0ELb0ELb0EPKfS0_fEv17rocblas_diagonal_iiT6_lPT7_lllS5_lllPT8_llli, .Lfunc_end0-_ZL30rocblas_trmm_outofplace_kernelIfLi32ELi2ELb1ELb0ELb0ELb0EPKfS0_fEv17rocblas_diagonal_iiT6_lPT7_lllS5_lllPT8_llli
                                        ; -- End function
	.set _ZL30rocblas_trmm_outofplace_kernelIfLi32ELi2ELb1ELb0ELb0ELb0EPKfS0_fEv17rocblas_diagonal_iiT6_lPT7_lllS5_lllPT8_llli.num_vgpr, 63
	.set _ZL30rocblas_trmm_outofplace_kernelIfLi32ELi2ELb1ELb0ELb0ELb0EPKfS0_fEv17rocblas_diagonal_iiT6_lPT7_lllS5_lllPT8_llli.num_agpr, 0
	.set _ZL30rocblas_trmm_outofplace_kernelIfLi32ELi2ELb1ELb0ELb0ELb0EPKfS0_fEv17rocblas_diagonal_iiT6_lPT7_lllS5_lllPT8_llli.numbered_sgpr, 56
	.set _ZL30rocblas_trmm_outofplace_kernelIfLi32ELi2ELb1ELb0ELb0ELb0EPKfS0_fEv17rocblas_diagonal_iiT6_lPT7_lllS5_lllPT8_llli.num_named_barrier, 0
	.set _ZL30rocblas_trmm_outofplace_kernelIfLi32ELi2ELb1ELb0ELb0ELb0EPKfS0_fEv17rocblas_diagonal_iiT6_lPT7_lllS5_lllPT8_llli.private_seg_size, 12
	.set _ZL30rocblas_trmm_outofplace_kernelIfLi32ELi2ELb1ELb0ELb0ELb0EPKfS0_fEv17rocblas_diagonal_iiT6_lPT7_lllS5_lllPT8_llli.uses_vcc, 1
	.set _ZL30rocblas_trmm_outofplace_kernelIfLi32ELi2ELb1ELb0ELb0ELb0EPKfS0_fEv17rocblas_diagonal_iiT6_lPT7_lllS5_lllPT8_llli.uses_flat_scratch, 0
	.set _ZL30rocblas_trmm_outofplace_kernelIfLi32ELi2ELb1ELb0ELb0ELb0EPKfS0_fEv17rocblas_diagonal_iiT6_lPT7_lllS5_lllPT8_llli.has_dyn_sized_stack, 0
	.set _ZL30rocblas_trmm_outofplace_kernelIfLi32ELi2ELb1ELb0ELb0ELb0EPKfS0_fEv17rocblas_diagonal_iiT6_lPT7_lllS5_lllPT8_llli.has_recursion, 0
	.set _ZL30rocblas_trmm_outofplace_kernelIfLi32ELi2ELb1ELb0ELb0ELb0EPKfS0_fEv17rocblas_diagonal_iiT6_lPT7_lllS5_lllPT8_llli.has_indirect_call, 0
	.section	.AMDGPU.csdata,"",@progbits
; Kernel info:
; codeLenInByte = 2984
; TotalNumSgprs: 60
; NumVgprs: 63
; ScratchSize: 12
; MemoryBound: 0
; FloatMode: 240
; IeeeMode: 1
; LDSByteSize: 8192 bytes/workgroup (compile time only)
; SGPRBlocks: 8
; VGPRBlocks: 15
; NumSGPRsForWavesPerEU: 65
; NumVGPRsForWavesPerEU: 63
; Occupancy: 4
; WaveLimiterHint : 0
; COMPUTE_PGM_RSRC2:SCRATCH_EN: 1
; COMPUTE_PGM_RSRC2:USER_SGPR: 6
; COMPUTE_PGM_RSRC2:TRAP_HANDLER: 0
; COMPUTE_PGM_RSRC2:TGID_X_EN: 1
; COMPUTE_PGM_RSRC2:TGID_Y_EN: 1
; COMPUTE_PGM_RSRC2:TGID_Z_EN: 1
; COMPUTE_PGM_RSRC2:TIDIG_COMP_CNT: 1
	.section	.text._ZL30rocblas_trmm_outofplace_kernelIfLi32ELi2ELb1ELb0ELb0ELb0EfKffEv17rocblas_diagonal_iiT6_lPT7_lllS4_lllPT8_llli,"axG",@progbits,_ZL30rocblas_trmm_outofplace_kernelIfLi32ELi2ELb1ELb0ELb0ELb0EfKffEv17rocblas_diagonal_iiT6_lPT7_lllS4_lllPT8_llli,comdat
	.globl	_ZL30rocblas_trmm_outofplace_kernelIfLi32ELi2ELb1ELb0ELb0ELb0EfKffEv17rocblas_diagonal_iiT6_lPT7_lllS4_lllPT8_llli ; -- Begin function _ZL30rocblas_trmm_outofplace_kernelIfLi32ELi2ELb1ELb0ELb0ELb0EfKffEv17rocblas_diagonal_iiT6_lPT7_lllS4_lllPT8_llli
	.p2align	8
	.type	_ZL30rocblas_trmm_outofplace_kernelIfLi32ELi2ELb1ELb0ELb0ELb0EfKffEv17rocblas_diagonal_iiT6_lPT7_lllS4_lllPT8_llli,@function
_ZL30rocblas_trmm_outofplace_kernelIfLi32ELi2ELb1ELb0ELb0ELb0EfKffEv17rocblas_diagonal_iiT6_lPT7_lllS4_lllPT8_llli: ; @_ZL30rocblas_trmm_outofplace_kernelIfLi32ELi2ELb1ELb0ELb0ELb0EfKffEv17rocblas_diagonal_iiT6_lPT7_lllS4_lllPT8_llli
; %bb.0:
	s_load_dwordx4 s[28:31], s[4:5], 0x0
	s_mov_b64 s[58:59], s[2:3]
	s_mov_b64 s[56:57], s[0:1]
	s_add_u32 s56, s56, s9
	s_addc_u32 s57, s57, 0
	s_waitcnt lgkmcnt(0)
	v_cmp_eq_f32_e64 s[0:1], s31, 0
	s_and_b64 vcc, exec, s[0:1]
	s_cbranch_vccnz .LBB1_51
; %bb.1:
	s_add_i32 s0, s30, -1
	s_ashr_i32 s1, s0, 31
	s_lshr_b32 s1, s1, 27
	s_add_i32 s0, s0, s1
	s_ashr_i32 s33, s0, 5
	s_cmp_gt_i32 s7, s33
	s_cbranch_scc1 .LBB1_51
; %bb.2:
	s_load_dwordx16 s[12:27], s[4:5], 0x18
	s_load_dwordx8 s[36:43], s[4:5], 0x58
	v_lshl_add_u32 v6, v1, 2, 64
	v_lshlrev_b32_e32 v49, 2, v0
	v_mov_b32_e32 v48, 0
	s_waitcnt lgkmcnt(0)
	s_mul_i32 s1, s19, s8
	s_mul_hi_u32 s2, s18, s8
	s_mul_i32 s0, s18, s8
	s_add_i32 s1, s2, s1
	s_lshl_b64 s[10:11], s[0:1], 2
	s_add_u32 s0, s12, s10
	s_addc_u32 s1, s13, s11
	s_lshl_b64 s[18:19], s[14:15], 2
	s_add_u32 s9, s0, s18
	s_addc_u32 s14, s1, s19
	s_mul_i32 s0, s43, s8
	s_mul_hi_u32 s1, s42, s8
	s_add_i32 s1, s1, s0
	s_mul_i32 s0, s42, s8
	s_lshl_b64 s[0:1], s[0:1], 2
	v_mad_u64_u32 v[2:3], s[2:3], s16, v1, 0
	s_add_u32 s15, s36, s0
	s_addc_u32 s34, s37, s1
	s_lshl_b64 s[0:1], s[38:39], 2
	s_add_u32 s46, s15, s0
	s_addc_u32 s47, s34, s1
	v_mad_u64_u32 v[3:4], s[0:1], s17, v1, v[3:4]
	s_lshl_b32 s48, s6, 5
	s_cmp_gt_i32 s6, -1
	s_cselect_b64 s[34:35], -1, 0
	s_cmpk_eq_i32 s28, 0x84
	s_cselect_b64 s[36:37], -1, 0
	s_ashr_i32 s39, s29, 31
	s_ashr_i32 s6, s30, 31
	s_lshl_b64 s[42:43], s[16:17], 7
	v_lshlrev_b64 v[2:3], 2, v[2:3]
	s_add_u32 s44, s29, -16
	s_addc_u32 s45, s39, -1
	v_add_co_u32_e32 v2, vcc, s9, v2
	s_add_u32 s9, s12, s18
	s_addc_u32 s12, s13, s19
	v_mov_b32_e32 v4, s14
	s_add_u32 s10, s9, s10
	v_addc_co_u32_e32 v3, vcc, v4, v3, vcc
	s_addc_u32 s11, s12, s11
	v_mov_b32_e32 v4, s10
	v_mov_b32_e32 v5, s11
	v_mad_u64_u32 v[26:27], s[10:11], s16, v6, v[4:5]
	v_add_u32_e32 v18, s48, v0
	v_ashrrev_i32_e32 v19, 31, v18
	v_mov_b32_e32 v4, v27
	v_add_co_u32_e32 v22, vcc, 16, v18
	v_mad_u64_u32 v[4:5], s[10:11], s17, v6, v[4:5]
	v_addc_co_u32_e32 v23, vcc, 0, v19, vcc
	s_mul_i32 s9, s27, s8
	s_mul_hi_u32 s10, s26, s8
	v_sub_co_u32_e32 v24, vcc, v18, v1
	s_add_i32 s9, s10, s9
	s_mul_i32 s8, s26, s8
	v_subbrev_co_u32_e32 v25, vcc, 0, v19, vcc
	s_lshl_b64 s[8:9], s[8:9], 2
	s_lshl_b64 s[10:11], s[22:23], 2
	v_add_co_u32_e32 v28, vcc, 16, v24
	s_add_u32 s8, s8, s10
	buffer_store_dword v2, off, s[56:59], 0 ; 4-byte Folded Spill
	s_nop 0
	buffer_store_dword v3, off, s[56:59], 0 offset:4 ; 4-byte Folded Spill
	v_addc_co_u32_e32 v29, vcc, 0, v25, vcc
	s_addc_u32 s9, s9, s11
	s_load_dword s49, s[4:5], 0x84
	v_add_co_u32_e32 v30, vcc, -16, v24
	s_add_u32 s8, s20, s8
	v_lshlrev_b32_e32 v2, 7, v1
	v_addc_co_u32_e32 v31, vcc, -1, v25, vcc
	s_addc_u32 s9, s21, s9
	v_add_u32_e32 v50, v49, v2
	v_add_u32_e32 v51, 0x1000, v2
	;; [unrolled: 1-line block ×3, first 2 shown]
	v_mov_b32_e32 v27, v4
	v_mov_b32_e32 v4, s9
	v_add_co_u32_e32 v5, vcc, s8, v49
	s_mov_b32 s38, s29
	v_ashrrev_i32_e32 v3, 31, v2
	v_addc_co_u32_e32 v4, vcc, 0, v4, vcc
	v_cmp_le_i64_e64 s[2:3], s[38:39], v[22:23]
	v_lshlrev_b64 v[32:33], 2, v[18:19]
	v_add_co_u32_e32 v34, vcc, 64, v5
	v_lshlrev_b64 v[36:37], 2, v[2:3]
	s_mov_b32 s28, s30
	v_add_u32_e32 v52, v51, v49
	v_cmp_le_i32_e64 s[0:1], s29, v18
	v_cmp_gt_i32_e64 s[4:5], s29, v18
	v_cmp_gt_i32_e64 s[14:15], s29, v2
	v_addc_co_u32_e32 v35, vcc, 0, v4, vcc
	s_lshl_b64 s[20:21], s[24:25], 2
	s_waitcnt lgkmcnt(0)
	s_lshl_b32 s29, s49, 5
	v_mov_b32_e32 v53, 1.0
	s_movk_i32 s50, 0x80
	v_lshl_add_u32 v38, s7, 5, v1
	s_branch .LBB1_4
.LBB1_3:                                ;   in Loop: Header=BB1_4 Depth=1
	s_or_b64 exec, exec, s[8:9]
	s_add_i32 s7, s49, s7
	s_cmp_le_i32 s7, s33
	v_add_u32_e32 v38, s29, v38
	s_cbranch_scc0 .LBB1_51
.LBB1_4:                                ; =>This Loop Header: Depth=1
                                        ;     Child Loop BB1_7 Depth 2
	v_lshl_add_u32 v54, s7, 5, v1
	v_ashrrev_i32_e32 v56, 31, v54
	s_andn2_b64 vcc, exec, s[34:35]
	v_mov_b32_e32 v58, 0
	v_mov_b32_e32 v57, 0
	;; [unrolled: 1-line block ×4, first 2 shown]
	s_cbranch_vccnz .LBB1_43
; %bb.5:                                ;   in Loop: Header=BB1_4 Depth=1
	buffer_load_dword v44, off, s[56:59], 0 ; 4-byte Folded Reload
	buffer_load_dword v45, off, s[56:59], 0 offset:4 ; 4-byte Folded Reload
	v_ashrrev_i32_e32 v39, 31, v38
	v_lshlrev_b64 v[2:3], 2, v[38:39]
	v_mad_u64_u32 v[40:41], s[8:9], s20, v38, v[34:35]
	v_add_co_u32_e32 v2, vcc, 64, v2
	v_addc_co_u32_e32 v3, vcc, 0, v3, vcc
	v_mul_lo_u32 v3, s24, v3
	v_mul_lo_u32 v6, s25, v2
	v_mad_u64_u32 v[42:43], s[8:9], s24, v2, v[34:35]
	v_mul_lo_u32 v4, s21, v38
	v_mul_lo_u32 v5, s20, v39
	v_add3_u32 v43, v6, v43, v3
	v_mov_b32_e32 v3, s6
	v_sub_co_u32_e32 v2, vcc, s28, v54
	v_subb_co_u32_e32 v3, vcc, v3, v56, vcc
	v_cmp_lt_i64_e64 s[8:9], 0, v[2:3]
	v_cmp_lt_i64_e64 s[10:11], 16, v[2:3]
	v_mov_b32_e32 v47, v27
	v_add3_u32 v41, v4, v41, v5
	s_mov_b64 s[22:23], 0
	v_mov_b32_e32 v39, 0
	v_mov_b32_e32 v46, v26
	;; [unrolled: 1-line block ×5, first 2 shown]
	s_branch .LBB1_7
.LBB1_6:                                ;   in Loop: Header=BB1_7 Depth=2
	s_or_b64 exec, exec, s[12:13]
	s_waitcnt lgkmcnt(0)
	s_barrier
	ds_read_b128 v[14:17], v51
	ds_read_b128 v[10:13], v51 offset:16
	ds_read_b128 v[6:9], v51 offset:32
	;; [unrolled: 1-line block ×3, first 2 shown]
	ds_read2_b32 v[20:21], v49 offset1:16
	ds_read_b128 v[59:62], v51 offset:2048
	v_add_co_u32_e32 v46, vcc, s42, v46
	s_add_u32 s22, s22, 32
	s_waitcnt lgkmcnt(1)
	v_fmac_f32_e32 v58, v20, v14
	v_fmac_f32_e32 v57, v21, v14
	s_waitcnt lgkmcnt(0)
	v_fmac_f32_e32 v55, v20, v59
	v_fmac_f32_e32 v39, v21, v59
	ds_read2_b32 v[20:21], v49 offset0:32 offset1:48
	s_addc_u32 s23, s23, 0
	s_sub_i32 s12, s22, 32
	s_cmp_ge_i32 s12, s48
	s_waitcnt lgkmcnt(0)
	v_fmac_f32_e32 v58, v20, v15
	v_fmac_f32_e32 v57, v21, v15
	ds_read2_b32 v[14:15], v49 offset0:64 offset1:80
	v_fmac_f32_e32 v55, v20, v60
	v_fmac_f32_e32 v39, v21, v60
	ds_read2_b32 v[20:21], v49 offset0:128 offset1:144
	s_waitcnt lgkmcnt(1)
	v_fmac_f32_e32 v58, v14, v16
	v_fmac_f32_e32 v57, v15, v16
	;; [unrolled: 1-line block ×4, first 2 shown]
	ds_read2_b32 v[14:15], v49 offset0:96 offset1:112
	s_waitcnt lgkmcnt(0)
	v_fmac_f32_e32 v58, v14, v17
	v_fmac_f32_e32 v57, v15, v17
	;; [unrolled: 1-line block ×4, first 2 shown]
	ds_read_b128 v[14:17], v51 offset:2064
	v_fmac_f32_e32 v58, v20, v10
	v_fmac_f32_e32 v57, v21, v10
	s_waitcnt lgkmcnt(0)
	v_fmac_f32_e32 v55, v20, v14
	v_fmac_f32_e32 v39, v21, v14
	ds_read2_b32 v[20:21], v49 offset0:160 offset1:176
	s_waitcnt lgkmcnt(0)
	v_fmac_f32_e32 v58, v20, v11
	v_fmac_f32_e32 v57, v21, v11
	ds_read2_b32 v[10:11], v49 offset0:192 offset1:208
	v_fmac_f32_e32 v55, v20, v15
	v_fmac_f32_e32 v39, v21, v15
	s_waitcnt lgkmcnt(0)
	v_fmac_f32_e32 v58, v10, v12
	v_fmac_f32_e32 v57, v11, v12
	;; [unrolled: 1-line block ×4, first 2 shown]
	ds_read2_b32 v[10:11], v49 offset0:224 offset1:240
	s_waitcnt lgkmcnt(0)
	v_fmac_f32_e32 v58, v10, v13
	v_fmac_f32_e32 v55, v10, v17
	v_add_u32_e32 v10, 0x400, v49
	v_fmac_f32_e32 v57, v11, v13
	v_fmac_f32_e32 v39, v11, v17
	ds_read2_b32 v[15:16], v10 offset1:16
	ds_read_b128 v[11:14], v51 offset:2080
	s_waitcnt lgkmcnt(1)
	v_fmac_f32_e32 v58, v15, v6
	v_fmac_f32_e32 v57, v16, v6
	s_waitcnt lgkmcnt(0)
	v_fmac_f32_e32 v55, v15, v11
	v_fmac_f32_e32 v39, v16, v11
	ds_read2_b32 v[15:16], v10 offset0:32 offset1:48
	s_waitcnt lgkmcnt(0)
	v_fmac_f32_e32 v58, v15, v7
	v_fmac_f32_e32 v57, v16, v7
	ds_read2_b32 v[6:7], v10 offset0:64 offset1:80
	v_fmac_f32_e32 v55, v15, v12
	v_fmac_f32_e32 v39, v16, v12
	ds_read2_b32 v[11:12], v10 offset0:128 offset1:144
	s_waitcnt lgkmcnt(1)
	v_fmac_f32_e32 v58, v6, v8
	v_fmac_f32_e32 v57, v7, v8
	;; [unrolled: 1-line block ×4, first 2 shown]
	ds_read2_b32 v[6:7], v10 offset0:96 offset1:112
	s_waitcnt lgkmcnt(0)
	v_fmac_f32_e32 v58, v6, v9
	v_fmac_f32_e32 v57, v7, v9
	;; [unrolled: 1-line block ×4, first 2 shown]
	ds_read_b128 v[6:9], v51 offset:2096
	v_fmac_f32_e32 v58, v11, v2
	v_fmac_f32_e32 v57, v12, v2
	s_waitcnt lgkmcnt(0)
	v_fmac_f32_e32 v55, v11, v6
	v_fmac_f32_e32 v39, v12, v6
	ds_read2_b32 v[11:12], v10 offset0:160 offset1:176
	s_waitcnt lgkmcnt(0)
	v_fmac_f32_e32 v58, v11, v3
	v_fmac_f32_e32 v57, v12, v3
	ds_read2_b32 v[2:3], v10 offset0:192 offset1:208
	v_fmac_f32_e32 v55, v11, v7
	v_fmac_f32_e32 v39, v12, v7
	s_waitcnt lgkmcnt(0)
	v_fmac_f32_e32 v58, v2, v4
	v_fmac_f32_e32 v57, v3, v4
	;; [unrolled: 1-line block ×4, first 2 shown]
	ds_read2_b32 v[2:3], v10 offset0:224 offset1:240
	v_add_u32_e32 v10, 0x800, v49
	ds_read2_b32 v[11:12], v10 offset1:16
	s_waitcnt lgkmcnt(1)
	v_fmac_f32_e32 v58, v2, v5
	v_fmac_f32_e32 v57, v3, v5
	;; [unrolled: 1-line block ×4, first 2 shown]
	ds_read_b128 v[2:5], v51 offset:64
	ds_read_b128 v[6:9], v51 offset:2112
	s_waitcnt lgkmcnt(1)
	v_fmac_f32_e32 v58, v11, v2
	v_fmac_f32_e32 v57, v12, v2
	s_waitcnt lgkmcnt(0)
	v_fmac_f32_e32 v55, v11, v6
	v_fmac_f32_e32 v39, v12, v6
	ds_read2_b32 v[11:12], v10 offset0:32 offset1:48
	s_waitcnt lgkmcnt(0)
	v_fmac_f32_e32 v58, v11, v3
	v_fmac_f32_e32 v57, v12, v3
	ds_read2_b32 v[2:3], v10 offset0:64 offset1:80
	v_fmac_f32_e32 v55, v11, v7
	v_fmac_f32_e32 v39, v12, v7
	s_waitcnt lgkmcnt(0)
	v_fmac_f32_e32 v58, v2, v4
	v_fmac_f32_e32 v57, v3, v4
	;; [unrolled: 1-line block ×4, first 2 shown]
	ds_read2_b32 v[2:3], v10 offset0:96 offset1:112
	s_waitcnt lgkmcnt(0)
	v_fmac_f32_e32 v58, v2, v5
	v_fmac_f32_e32 v57, v3, v5
	;; [unrolled: 1-line block ×4, first 2 shown]
	ds_read_b128 v[2:5], v51 offset:80
	ds_read2_b32 v[11:12], v10 offset0:128 offset1:144
	ds_read_b128 v[6:9], v51 offset:2128
	s_waitcnt lgkmcnt(1)
	v_fmac_f32_e32 v58, v11, v2
	v_fmac_f32_e32 v57, v12, v2
	s_waitcnt lgkmcnt(0)
	v_fmac_f32_e32 v55, v11, v6
	v_fmac_f32_e32 v39, v12, v6
	ds_read2_b32 v[11:12], v10 offset0:160 offset1:176
	s_waitcnt lgkmcnt(0)
	v_fmac_f32_e32 v58, v11, v3
	v_fmac_f32_e32 v57, v12, v3
	ds_read2_b32 v[2:3], v10 offset0:192 offset1:208
	v_fmac_f32_e32 v55, v11, v7
	v_fmac_f32_e32 v39, v12, v7
	s_waitcnt lgkmcnt(0)
	v_fmac_f32_e32 v58, v2, v4
	v_fmac_f32_e32 v57, v3, v4
	;; [unrolled: 1-line block ×4, first 2 shown]
	ds_read2_b32 v[2:3], v10 offset0:224 offset1:240
	v_add_u32_e32 v10, 0xc00, v49
	ds_read2_b32 v[11:12], v10 offset1:16
	s_waitcnt lgkmcnt(1)
	v_fmac_f32_e32 v58, v2, v5
	v_fmac_f32_e32 v57, v3, v5
	v_fmac_f32_e32 v55, v2, v9
	v_fmac_f32_e32 v39, v3, v9
	ds_read_b128 v[2:5], v51 offset:96
	ds_read_b128 v[6:9], v51 offset:2144
	s_waitcnt lgkmcnt(1)
	v_fmac_f32_e32 v58, v11, v2
	v_fmac_f32_e32 v57, v12, v2
	s_waitcnt lgkmcnt(0)
	v_fmac_f32_e32 v55, v11, v6
	v_fmac_f32_e32 v39, v12, v6
	ds_read2_b32 v[11:12], v10 offset0:32 offset1:48
	s_waitcnt lgkmcnt(0)
	v_fmac_f32_e32 v58, v11, v3
	v_fmac_f32_e32 v57, v12, v3
	ds_read2_b32 v[2:3], v10 offset0:64 offset1:80
	v_fmac_f32_e32 v55, v11, v7
	v_fmac_f32_e32 v39, v12, v7
	s_waitcnt lgkmcnt(0)
	v_fmac_f32_e32 v58, v2, v4
	v_fmac_f32_e32 v57, v3, v4
	;; [unrolled: 1-line block ×4, first 2 shown]
	ds_read2_b32 v[2:3], v10 offset0:96 offset1:112
	s_waitcnt lgkmcnt(0)
	v_fmac_f32_e32 v58, v2, v5
	v_fmac_f32_e32 v57, v3, v5
	;; [unrolled: 1-line block ×4, first 2 shown]
	ds_read_b128 v[2:5], v51 offset:112
	ds_read2_b32 v[11:12], v10 offset0:128 offset1:144
	ds_read_b128 v[6:9], v51 offset:2160
	s_waitcnt lgkmcnt(1)
	v_fmac_f32_e32 v58, v11, v2
	v_fmac_f32_e32 v57, v12, v2
	s_waitcnt lgkmcnt(0)
	v_fmac_f32_e32 v55, v11, v6
	v_fmac_f32_e32 v39, v12, v6
	ds_read2_b32 v[11:12], v10 offset0:160 offset1:176
	s_waitcnt lgkmcnt(0)
	v_fmac_f32_e32 v58, v11, v3
	v_fmac_f32_e32 v57, v12, v3
	ds_read2_b32 v[2:3], v10 offset0:192 offset1:208
	v_fmac_f32_e32 v55, v11, v7
	v_fmac_f32_e32 v39, v12, v7
	s_waitcnt lgkmcnt(0)
	v_fmac_f32_e32 v58, v2, v4
	v_fmac_f32_e32 v57, v3, v4
	;; [unrolled: 1-line block ×4, first 2 shown]
	ds_read2_b32 v[2:3], v10 offset0:224 offset1:240
	s_waitcnt lgkmcnt(0)
	s_barrier
	v_fmac_f32_e32 v58, v2, v5
	v_fmac_f32_e32 v55, v2, v9
	v_mov_b32_e32 v2, s43
	v_addc_co_u32_e32 v47, vcc, v47, v2, vcc
	v_add_co_u32_e32 v40, vcc, s50, v40
	v_addc_co_u32_e32 v41, vcc, 0, v41, vcc
	v_add_co_u32_e32 v44, vcc, s42, v44
	;; [unrolled: 2-line block ×3, first 2 shown]
	v_fmac_f32_e32 v57, v3, v5
	v_fmac_f32_e32 v39, v3, v9
	v_addc_co_u32_e32 v43, vcc, 0, v43, vcc
	s_cbranch_scc1 .LBB1_43
.LBB1_7:                                ;   Parent Loop BB1_4 Depth=1
                                        ; =>  This Inner Loop Header: Depth=2
	v_mov_b32_e32 v3, s23
	v_add_co_u32_e32 v2, vcc, s22, v1
	v_addc_co_u32_e32 v3, vcc, 0, v3, vcc
	s_waitcnt vmcnt(1)
	v_add_co_u32_e32 v4, vcc, v44, v32
	s_waitcnt vmcnt(0)
	v_addc_co_u32_e32 v5, vcc, v45, v33, vcc
	v_cmp_le_i64_e64 s[12:13], s[38:39], v[2:3]
	v_cmp_eq_u64_e64 s[16:17], s[22:23], v[24:25]
	v_cmp_gt_i64_e32 vcc, v[2:3], v[18:19]
	s_and_b64 s[26:27], s[36:37], s[16:17]
	s_or_b64 s[16:17], s[12:13], vcc
	s_or_b64 s[16:17], s[16:17], s[26:27]
	s_nor_b64 s[16:17], s[0:1], s[16:17]
                                        ; implicit-def: $vgpr6
	s_and_saveexec_b64 s[18:19], s[16:17]
	s_xor_b64 s[16:17], exec, s[18:19]
	s_cbranch_execz .LBB1_9
; %bb.8:                                ;   in Loop: Header=BB1_7 Depth=2
	global_load_dword v6, v[4:5], off
.LBB1_9:                                ;   in Loop: Header=BB1_7 Depth=2
	s_andn2_saveexec_b64 s[16:17], s[16:17]
	s_cbranch_execz .LBB1_11
; %bb.10:                               ;   in Loop: Header=BB1_7 Depth=2
	s_waitcnt vmcnt(0)
	v_cndmask_b32_e64 v6, 0, 1.0, s[26:27]
.LBB1_11:                               ;   in Loop: Header=BB1_7 Depth=2
	s_or_b64 exec, exec, s[16:17]
	v_cmp_eq_u64_e64 s[16:17], s[22:23], v[28:29]
	v_cmp_lt_i64_e64 s[18:19], v[22:23], v[2:3]
	s_and_b64 s[16:17], s[36:37], s[16:17]
	s_or_b64 s[12:13], s[12:13], s[18:19]
	s_or_b64 s[12:13], s[12:13], s[16:17]
	s_nor_b64 s[12:13], s[2:3], s[12:13]
	s_waitcnt vmcnt(0)
	ds_write_b32 v50, v6
	s_and_saveexec_b64 s[18:19], s[12:13]
	s_xor_b64 s[12:13], exec, s[18:19]
	s_cbranch_execz .LBB1_13
; %bb.12:                               ;   in Loop: Header=BB1_7 Depth=2
	global_load_dword v4, v[4:5], off offset:64
	s_waitcnt vmcnt(0)
	ds_write_b32 v50, v4 offset:64
.LBB1_13:                               ;   in Loop: Header=BB1_7 Depth=2
	s_andn2_saveexec_b64 s[12:13], s[12:13]
	s_cbranch_execz .LBB1_19
; %bb.14:                               ;   in Loop: Header=BB1_7 Depth=2
	s_xor_b64 s[16:17], s[16:17], -1
	s_and_saveexec_b64 s[18:19], s[16:17]
	s_xor_b64 s[16:17], exec, s[18:19]
; %bb.15:                               ;   in Loop: Header=BB1_7 Depth=2
	ds_write_b32 v50, v48 offset:64
; %bb.16:                               ;   in Loop: Header=BB1_7 Depth=2
	s_andn2_saveexec_b64 s[16:17], s[16:17]
; %bb.17:                               ;   in Loop: Header=BB1_7 Depth=2
	ds_write_b32 v50, v53 offset:64
; %bb.18:                               ;   in Loop: Header=BB1_7 Depth=2
	s_or_b64 exec, exec, s[16:17]
.LBB1_19:                               ;   in Loop: Header=BB1_7 Depth=2
	s_or_b64 exec, exec, s[12:13]
	v_add_co_u32_e64 v4, s[12:13], 16, v2
	v_add_co_u32_e64 v2, s[16:17], v46, v32
	v_addc_co_u32_e64 v5, s[12:13], 0, v3, s[12:13]
	v_addc_co_u32_e64 v3, s[16:17], v47, v33, s[16:17]
	v_cmp_le_i64_e64 s[12:13], s[38:39], v[4:5]
	v_cmp_eq_u64_e64 s[16:17], s[22:23], v[30:31]
	v_cmp_gt_i64_e64 s[18:19], v[4:5], v[18:19]
	s_and_b64 s[16:17], s[36:37], s[16:17]
	s_or_b64 s[18:19], s[12:13], s[18:19]
	s_or_b64 s[18:19], s[18:19], s[16:17]
	s_nor_b64 s[18:19], s[0:1], s[18:19]
                                        ; implicit-def: $vgpr4
	s_and_saveexec_b64 s[52:53], s[18:19]
	s_xor_b64 s[18:19], exec, s[52:53]
	s_cbranch_execz .LBB1_21
; %bb.20:                               ;   in Loop: Header=BB1_7 Depth=2
	global_load_dword v4, v[2:3], off
.LBB1_21:                               ;   in Loop: Header=BB1_7 Depth=2
	s_andn2_saveexec_b64 s[18:19], s[18:19]
	s_cbranch_execz .LBB1_23
; %bb.22:                               ;   in Loop: Header=BB1_7 Depth=2
	s_waitcnt vmcnt(0)
	v_cndmask_b32_e64 v4, 0, 1.0, s[16:17]
.LBB1_23:                               ;   in Loop: Header=BB1_7 Depth=2
	s_or_b64 exec, exec, s[18:19]
	s_or_b64 s[12:13], s[12:13], vcc
	s_or_b64 s[12:13], s[12:13], s[26:27]
	s_nor_b64 s[12:13], s[2:3], s[12:13]
	s_waitcnt vmcnt(0)
	ds_write_b32 v50, v4 offset:2048
	s_and_saveexec_b64 s[16:17], s[12:13]
	s_xor_b64 s[12:13], exec, s[16:17]
	s_cbranch_execz .LBB1_25
; %bb.24:                               ;   in Loop: Header=BB1_7 Depth=2
	global_load_dword v2, v[2:3], off offset:64
	s_waitcnt vmcnt(0)
	ds_write_b32 v50, v2 offset:2112
.LBB1_25:                               ;   in Loop: Header=BB1_7 Depth=2
	s_andn2_saveexec_b64 s[12:13], s[12:13]
	s_cbranch_execz .LBB1_31
; %bb.26:                               ;   in Loop: Header=BB1_7 Depth=2
	s_xor_b64 s[16:17], s[26:27], -1
	s_and_saveexec_b64 s[18:19], s[16:17]
	s_xor_b64 s[16:17], exec, s[18:19]
; %bb.27:                               ;   in Loop: Header=BB1_7 Depth=2
	ds_write_b32 v50, v48 offset:2112
; %bb.28:                               ;   in Loop: Header=BB1_7 Depth=2
	s_andn2_saveexec_b64 s[16:17], s[16:17]
; %bb.29:                               ;   in Loop: Header=BB1_7 Depth=2
	ds_write_b32 v50, v53 offset:2112
; %bb.30:                               ;   in Loop: Header=BB1_7 Depth=2
	s_or_b64 exec, exec, s[16:17]
.LBB1_31:                               ;   in Loop: Header=BB1_7 Depth=2
	s_or_b64 exec, exec, s[12:13]
	v_mov_b32_e32 v3, s23
	v_add_co_u32_e32 v2, vcc, s22, v0
	v_addc_co_u32_e32 v3, vcc, 0, v3, vcc
	v_cmp_gt_i64_e32 vcc, s[38:39], v[2:3]
	v_mov_b32_e32 v4, 0
	s_and_b64 s[16:17], s[8:9], vcc
	s_and_saveexec_b64 s[12:13], s[16:17]
	s_cbranch_execz .LBB1_33
; %bb.32:                               ;   in Loop: Header=BB1_7 Depth=2
	global_load_dword v4, v[40:41], off offset:-64
.LBB1_33:                               ;   in Loop: Header=BB1_7 Depth=2
	s_or_b64 exec, exec, s[12:13]
	v_cmp_gt_i64_e64 s[12:13], s[44:45], v[2:3]
	s_waitcnt vmcnt(0)
	ds_write_b32 v52, v4
	s_and_b64 s[16:17], s[8:9], s[12:13]
	s_xor_b64 s[16:17], s[16:17], -1
	s_and_saveexec_b64 s[18:19], s[16:17]
	s_xor_b64 s[16:17], exec, s[18:19]
; %bb.34:                               ;   in Loop: Header=BB1_7 Depth=2
	ds_write_b32 v52, v48 offset:64
; %bb.35:                               ;   in Loop: Header=BB1_7 Depth=2
	s_andn2_saveexec_b64 s[16:17], s[16:17]
	s_cbranch_execz .LBB1_37
; %bb.36:                               ;   in Loop: Header=BB1_7 Depth=2
	global_load_dword v2, v[40:41], off
	s_waitcnt vmcnt(0)
	ds_write_b32 v52, v2 offset:64
.LBB1_37:                               ;   in Loop: Header=BB1_7 Depth=2
	s_or_b64 exec, exec, s[16:17]
	s_and_b64 s[18:19], s[10:11], vcc
	v_mov_b32_e32 v2, 0
	s_and_saveexec_b64 s[16:17], s[18:19]
	s_cbranch_execz .LBB1_39
; %bb.38:                               ;   in Loop: Header=BB1_7 Depth=2
	global_load_dword v2, v[42:43], off offset:-64
.LBB1_39:                               ;   in Loop: Header=BB1_7 Depth=2
	s_or_b64 exec, exec, s[16:17]
	s_and_b64 s[12:13], s[10:11], s[12:13]
	s_xor_b64 s[12:13], s[12:13], -1
	s_waitcnt vmcnt(0)
	ds_write_b32 v52, v2 offset:2048
	s_and_saveexec_b64 s[16:17], s[12:13]
	s_xor_b64 s[12:13], exec, s[16:17]
; %bb.40:                               ;   in Loop: Header=BB1_7 Depth=2
	ds_write_b32 v52, v48 offset:2112
; %bb.41:                               ;   in Loop: Header=BB1_7 Depth=2
	s_andn2_saveexec_b64 s[12:13], s[12:13]
	s_cbranch_execz .LBB1_6
; %bb.42:                               ;   in Loop: Header=BB1_7 Depth=2
	global_load_dword v2, v[42:43], off
	s_waitcnt vmcnt(0)
	ds_write_b32 v52, v2 offset:2112
	s_branch .LBB1_6
.LBB1_43:                               ;   in Loop: Header=BB1_4 Depth=1
	v_mul_lo_u32 v4, s41, v54
	v_mul_lo_u32 v5, s40, v56
	v_mad_u64_u32 v[2:3], s[8:9], s40, v54, 0
	v_cmp_gt_i32_e32 vcc, s30, v54
	v_add3_u32 v3, v3, v5, v4
	v_lshlrev_b64 v[2:3], 2, v[2:3]
	v_mov_b32_e32 v4, s47
	v_add_co_u32_e64 v2, s[8:9], s46, v2
	v_addc_co_u32_e64 v3, s[8:9], v4, v3, s[8:9]
	s_and_b64 s[8:9], s[4:5], vcc
	s_and_saveexec_b64 s[10:11], s[8:9]
	s_cbranch_execz .LBB1_45
; %bb.44:                               ;   in Loop: Header=BB1_4 Depth=1
	v_add_co_u32_e64 v4, s[8:9], v2, v32
	v_addc_co_u32_e64 v5, s[8:9], v3, v33, s[8:9]
	global_load_dword v6, v[4:5], off
	s_waitcnt vmcnt(0)
	v_fmac_f32_e32 v6, s31, v58
	global_store_dword v[4:5], v6, off
.LBB1_45:                               ;   in Loop: Header=BB1_4 Depth=1
	s_or_b64 exec, exec, s[10:11]
	s_and_b64 s[10:11], s[14:15], vcc
	s_and_saveexec_b64 s[8:9], s[10:11]
	s_cbranch_execz .LBB1_47
; %bb.46:                               ;   in Loop: Header=BB1_4 Depth=1
	v_add_co_u32_e32 v2, vcc, v2, v36
	v_addc_co_u32_e32 v3, vcc, v3, v37, vcc
	global_load_dword v4, v[2:3], off
	s_waitcnt vmcnt(0)
	v_fmac_f32_e32 v4, s31, v57
	global_store_dword v[2:3], v4, off
.LBB1_47:                               ;   in Loop: Header=BB1_4 Depth=1
	s_or_b64 exec, exec, s[8:9]
	v_add_u32_e32 v4, 16, v54
	v_ashrrev_i32_e32 v2, 31, v4
	v_mul_lo_u32 v5, s40, v2
	v_mul_lo_u32 v6, s41, v4
	v_mad_u64_u32 v[2:3], s[8:9], s40, v4, 0
	v_cmp_gt_i32_e32 vcc, s30, v4
	v_mov_b32_e32 v4, s47
	v_add3_u32 v3, v3, v5, v6
	v_lshlrev_b64 v[2:3], 2, v[2:3]
	v_add_co_u32_e64 v2, s[8:9], s46, v2
	v_addc_co_u32_e64 v3, s[8:9], v4, v3, s[8:9]
	s_and_b64 s[8:9], s[4:5], vcc
	s_and_saveexec_b64 s[10:11], s[8:9]
	s_cbranch_execz .LBB1_49
; %bb.48:                               ;   in Loop: Header=BB1_4 Depth=1
	v_add_co_u32_e64 v4, s[8:9], v2, v32
	v_addc_co_u32_e64 v5, s[8:9], v3, v33, s[8:9]
	global_load_dword v6, v[4:5], off
	s_waitcnt vmcnt(0)
	v_fmac_f32_e32 v6, s31, v55
	global_store_dword v[4:5], v6, off
.LBB1_49:                               ;   in Loop: Header=BB1_4 Depth=1
	s_or_b64 exec, exec, s[10:11]
	s_and_b64 s[10:11], s[14:15], vcc
	s_and_saveexec_b64 s[8:9], s[10:11]
	s_cbranch_execz .LBB1_3
; %bb.50:                               ;   in Loop: Header=BB1_4 Depth=1
	v_add_co_u32_e32 v2, vcc, v2, v36
	v_addc_co_u32_e32 v3, vcc, v3, v37, vcc
	global_load_dword v4, v[2:3], off
	s_waitcnt vmcnt(0)
	v_fmac_f32_e32 v4, s31, v39
	global_store_dword v[2:3], v4, off
	s_branch .LBB1_3
.LBB1_51:
	s_endpgm
	.section	.rodata,"a",@progbits
	.p2align	6, 0x0
	.amdhsa_kernel _ZL30rocblas_trmm_outofplace_kernelIfLi32ELi2ELb1ELb0ELb0ELb0EfKffEv17rocblas_diagonal_iiT6_lPT7_lllS4_lllPT8_llli
		.amdhsa_group_segment_fixed_size 8192
		.amdhsa_private_segment_fixed_size 12
		.amdhsa_kernarg_size 384
		.amdhsa_user_sgpr_count 6
		.amdhsa_user_sgpr_private_segment_buffer 1
		.amdhsa_user_sgpr_dispatch_ptr 0
		.amdhsa_user_sgpr_queue_ptr 0
		.amdhsa_user_sgpr_kernarg_segment_ptr 1
		.amdhsa_user_sgpr_dispatch_id 0
		.amdhsa_user_sgpr_flat_scratch_init 0
		.amdhsa_user_sgpr_private_segment_size 0
		.amdhsa_uses_dynamic_stack 0
		.amdhsa_system_sgpr_private_segment_wavefront_offset 1
		.amdhsa_system_sgpr_workgroup_id_x 1
		.amdhsa_system_sgpr_workgroup_id_y 1
		.amdhsa_system_sgpr_workgroup_id_z 1
		.amdhsa_system_sgpr_workgroup_info 0
		.amdhsa_system_vgpr_workitem_id 1
		.amdhsa_next_free_vgpr 63
		.amdhsa_next_free_sgpr 61
		.amdhsa_reserve_vcc 1
		.amdhsa_reserve_flat_scratch 0
		.amdhsa_float_round_mode_32 0
		.amdhsa_float_round_mode_16_64 0
		.amdhsa_float_denorm_mode_32 3
		.amdhsa_float_denorm_mode_16_64 3
		.amdhsa_dx10_clamp 1
		.amdhsa_ieee_mode 1
		.amdhsa_fp16_overflow 0
		.amdhsa_exception_fp_ieee_invalid_op 0
		.amdhsa_exception_fp_denorm_src 0
		.amdhsa_exception_fp_ieee_div_zero 0
		.amdhsa_exception_fp_ieee_overflow 0
		.amdhsa_exception_fp_ieee_underflow 0
		.amdhsa_exception_fp_ieee_inexact 0
		.amdhsa_exception_int_div_zero 0
	.end_amdhsa_kernel
	.section	.text._ZL30rocblas_trmm_outofplace_kernelIfLi32ELi2ELb1ELb0ELb0ELb0EfKffEv17rocblas_diagonal_iiT6_lPT7_lllS4_lllPT8_llli,"axG",@progbits,_ZL30rocblas_trmm_outofplace_kernelIfLi32ELi2ELb1ELb0ELb0ELb0EfKffEv17rocblas_diagonal_iiT6_lPT7_lllS4_lllPT8_llli,comdat
.Lfunc_end1:
	.size	_ZL30rocblas_trmm_outofplace_kernelIfLi32ELi2ELb1ELb0ELb0ELb0EfKffEv17rocblas_diagonal_iiT6_lPT7_lllS4_lllPT8_llli, .Lfunc_end1-_ZL30rocblas_trmm_outofplace_kernelIfLi32ELi2ELb1ELb0ELb0ELb0EfKffEv17rocblas_diagonal_iiT6_lPT7_lllS4_lllPT8_llli
                                        ; -- End function
	.set _ZL30rocblas_trmm_outofplace_kernelIfLi32ELi2ELb1ELb0ELb0ELb0EfKffEv17rocblas_diagonal_iiT6_lPT7_lllS4_lllPT8_llli.num_vgpr, 63
	.set _ZL30rocblas_trmm_outofplace_kernelIfLi32ELi2ELb1ELb0ELb0ELb0EfKffEv17rocblas_diagonal_iiT6_lPT7_lllS4_lllPT8_llli.num_agpr, 0
	.set _ZL30rocblas_trmm_outofplace_kernelIfLi32ELi2ELb1ELb0ELb0ELb0EfKffEv17rocblas_diagonal_iiT6_lPT7_lllS4_lllPT8_llli.numbered_sgpr, 60
	.set _ZL30rocblas_trmm_outofplace_kernelIfLi32ELi2ELb1ELb0ELb0ELb0EfKffEv17rocblas_diagonal_iiT6_lPT7_lllS4_lllPT8_llli.num_named_barrier, 0
	.set _ZL30rocblas_trmm_outofplace_kernelIfLi32ELi2ELb1ELb0ELb0ELb0EfKffEv17rocblas_diagonal_iiT6_lPT7_lllS4_lllPT8_llli.private_seg_size, 12
	.set _ZL30rocblas_trmm_outofplace_kernelIfLi32ELi2ELb1ELb0ELb0ELb0EfKffEv17rocblas_diagonal_iiT6_lPT7_lllS4_lllPT8_llli.uses_vcc, 1
	.set _ZL30rocblas_trmm_outofplace_kernelIfLi32ELi2ELb1ELb0ELb0ELb0EfKffEv17rocblas_diagonal_iiT6_lPT7_lllS4_lllPT8_llli.uses_flat_scratch, 0
	.set _ZL30rocblas_trmm_outofplace_kernelIfLi32ELi2ELb1ELb0ELb0ELb0EfKffEv17rocblas_diagonal_iiT6_lPT7_lllS4_lllPT8_llli.has_dyn_sized_stack, 0
	.set _ZL30rocblas_trmm_outofplace_kernelIfLi32ELi2ELb1ELb0ELb0ELb0EfKffEv17rocblas_diagonal_iiT6_lPT7_lllS4_lllPT8_llli.has_recursion, 0
	.set _ZL30rocblas_trmm_outofplace_kernelIfLi32ELi2ELb1ELb0ELb0ELb0EfKffEv17rocblas_diagonal_iiT6_lPT7_lllS4_lllPT8_llli.has_indirect_call, 0
	.section	.AMDGPU.csdata,"",@progbits
; Kernel info:
; codeLenInByte = 2936
; TotalNumSgprs: 64
; NumVgprs: 63
; ScratchSize: 12
; MemoryBound: 0
; FloatMode: 240
; IeeeMode: 1
; LDSByteSize: 8192 bytes/workgroup (compile time only)
; SGPRBlocks: 8
; VGPRBlocks: 15
; NumSGPRsForWavesPerEU: 65
; NumVGPRsForWavesPerEU: 63
; Occupancy: 4
; WaveLimiterHint : 0
; COMPUTE_PGM_RSRC2:SCRATCH_EN: 1
; COMPUTE_PGM_RSRC2:USER_SGPR: 6
; COMPUTE_PGM_RSRC2:TRAP_HANDLER: 0
; COMPUTE_PGM_RSRC2:TGID_X_EN: 1
; COMPUTE_PGM_RSRC2:TGID_Y_EN: 1
; COMPUTE_PGM_RSRC2:TGID_Z_EN: 1
; COMPUTE_PGM_RSRC2:TIDIG_COMP_CNT: 1
	.section	.text._ZL30rocblas_trmm_outofplace_kernelIfLi32ELi2ELb1ELb1ELb0ELb0EPKfS0_fEv17rocblas_diagonal_iiT6_lPT7_lllS5_lllPT8_llli,"axG",@progbits,_ZL30rocblas_trmm_outofplace_kernelIfLi32ELi2ELb1ELb1ELb0ELb0EPKfS0_fEv17rocblas_diagonal_iiT6_lPT7_lllS5_lllPT8_llli,comdat
	.globl	_ZL30rocblas_trmm_outofplace_kernelIfLi32ELi2ELb1ELb1ELb0ELb0EPKfS0_fEv17rocblas_diagonal_iiT6_lPT7_lllS5_lllPT8_llli ; -- Begin function _ZL30rocblas_trmm_outofplace_kernelIfLi32ELi2ELb1ELb1ELb0ELb0EPKfS0_fEv17rocblas_diagonal_iiT6_lPT7_lllS5_lllPT8_llli
	.p2align	8
	.type	_ZL30rocblas_trmm_outofplace_kernelIfLi32ELi2ELb1ELb1ELb0ELb0EPKfS0_fEv17rocblas_diagonal_iiT6_lPT7_lllS5_lllPT8_llli,@function
_ZL30rocblas_trmm_outofplace_kernelIfLi32ELi2ELb1ELb1ELb0ELb0EPKfS0_fEv17rocblas_diagonal_iiT6_lPT7_lllS5_lllPT8_llli: ; @_ZL30rocblas_trmm_outofplace_kernelIfLi32ELi2ELb1ELb1ELb0ELb0EPKfS0_fEv17rocblas_diagonal_iiT6_lPT7_lllS5_lllPT8_llli
; %bb.0:
	s_load_dwordx16 s[12:27], s[4:5], 0x10
	s_waitcnt lgkmcnt(0)
	s_mul_i32 s0, s15, s8
	s_mul_hi_u32 s1, s14, s8
	s_add_i32 s1, s1, s0
	s_mul_i32 s0, s14, s8
	s_lshl_b64 s[0:1], s[0:1], 2
	s_add_u32 s0, s12, s0
	s_addc_u32 s1, s13, s1
	s_load_dword s33, s[0:1], 0x0
	s_waitcnt lgkmcnt(0)
	v_cmp_eq_f32_e64 s[0:1], s33, 0
	s_and_b64 vcc, exec, s[0:1]
	s_cbranch_vccnz .LBB2_51
; %bb.1:
	s_load_dwordx4 s[28:31], s[4:5], 0x0
	s_waitcnt lgkmcnt(0)
	s_add_i32 s0, s30, -1
	s_ashr_i32 s1, s0, 31
	s_lshr_b32 s1, s1, 27
	s_add_i32 s0, s0, s1
	s_ashr_i32 s31, s0, 5
	s_cmp_gt_i32 s7, s31
	s_cbranch_scc1 .LBB2_51
; %bb.2:
	s_mul_i32 s0, s23, s8
	s_mul_hi_u32 s1, s22, s8
	s_load_dwordx8 s[36:43], s[4:5], 0x50
	s_load_dwordx4 s[44:47], s[4:5], 0x70
	s_add_i32 s1, s1, s0
	s_mul_i32 s0, s22, s8
	s_lshl_b64 s[10:11], s[0:1], 2
	s_add_u32 s0, s16, s10
	s_addc_u32 s1, s17, s11
	s_lshl_b64 s[12:13], s[18:19], 2
	s_add_u32 s2, s0, s12
	s_addc_u32 s3, s1, s13
	s_waitcnt lgkmcnt(0)
	s_mul_i32 s0, s47, s8
	s_mul_hi_u32 s1, s46, s8
	s_add_i32 s1, s1, s0
	s_mul_i32 s0, s46, s8
	s_lshl_b64 s[0:1], s[0:1], 2
	s_load_dword s48, s[4:5], 0x8c
	s_add_u32 s4, s40, s0
	s_addc_u32 s5, s41, s1
	s_lshl_b64 s[0:1], s[42:43], 2
	s_add_u32 s49, s4, s0
	s_addc_u32 s50, s5, s1
	s_lshl_b32 s4, s6, 5
	v_add_u32_e32 v14, s4, v1
	v_ashrrev_i32_e32 v15, 31, v14
	v_mul_lo_u32 v4, s20, v15
	v_mul_lo_u32 v5, s21, v14
	v_mad_u64_u32 v[2:3], s[0:1], s20, v14, 0
	s_sub_i32 s6, s29, s4
	v_add_u32_e32 v16, s4, v0
	v_add3_u32 v3, v3, v4, v5
	v_lshlrev_b64 v[2:3], 2, v[2:3]
	v_mov_b32_e32 v4, s3
	v_add_co_u32_e32 v18, vcc, s2, v2
	v_addc_co_u32_e32 v19, vcc, v4, v3, vcc
	s_cmp_gt_i32 s6, 0
	v_ashrrev_i32_e32 v17, 31, v16
	s_cselect_b64 s[22:23], -1, 0
	s_cmpk_eq_i32 s28, 0x84
	v_add_co_u32_e32 v20, vcc, 16, v16
	s_cselect_b64 s[34:35], -1, 0
	s_ashr_i32 s41, s29, 31
	s_ashr_i32 s51, s30, 31
	s_lshl_b64 s[42:43], s[20:21], 7
	v_addc_co_u32_e32 v21, vcc, 0, v17, vcc
	s_add_u32 s46, s29, -16
	v_sub_co_u32_e32 v24, vcc, v16, v14
	v_lshlrev_b32_e32 v2, 7, v1
	v_lshlrev_b32_e32 v0, 2, v0
	s_addc_u32 s47, s41, -1
	v_subb_co_u32_e32 v25, vcc, v17, v15, vcc
	v_add_u32_e32 v44, v0, v2
	v_add_u32_e32 v45, 0x1000, v2
	v_add_co_u32_e32 v26, vcc, 16, v24
	v_lshlrev_b64 v[2:3], 2, v[14:15]
	s_add_u32 s9, s16, s12
	v_addc_co_u32_e32 v27, vcc, 0, v25, vcc
	s_addc_u32 s12, s17, s13
	v_add_co_u32_e32 v4, vcc, 64, v2
	s_add_u32 s10, s9, s10
	v_addc_co_u32_e32 v5, vcc, 0, v3, vcc
	s_addc_u32 s11, s12, s11
	v_mov_b32_e32 v2, s10
	v_mov_b32_e32 v3, s11
	v_mad_u64_u32 v[28:29], s[10:11], s20, v4, v[2:3]
	s_mul_i32 s9, s39, s8
	s_mul_hi_u32 s10, s38, s8
	s_add_i32 s9, s10, s9
	s_mul_i32 s8, s38, s8
	s_lshl_b64 s[8:9], s[8:9], 2
	s_lshl_b64 s[10:11], s[26:27], 2
	s_add_u32 s8, s8, s10
	v_mul_lo_u32 v2, s20, v5
	v_mul_lo_u32 v3, s21, v4
	s_addc_u32 s9, s9, s11
	s_add_u32 s20, s24, s8
	s_mov_b32 s40, s29
	s_addc_u32 s21, s25, s9
	v_cmp_le_i64_e64 s[2:3], s[40:41], v[20:21]
	v_add_u32_e32 v22, 16, v16
	v_add_co_u32_e32 v30, vcc, -16, v24
	v_lshlrev_b64 v[32:33], 2, v[16:17]
	s_add_u32 s24, s20, 64
	v_add_u32_e32 v46, v45, v0
	v_cmp_le_i32_e64 s[0:1], s29, v16
	v_cmp_gt_i32_e64 s[4:5], s29, v16
	v_cmp_gt_i32_e64 s[14:15], s29, v22
	v_ashrrev_i32_e32 v23, 31, v22
	v_addc_co_u32_e32 v31, vcc, -1, v25, vcc
	v_add3_u32 v29, v3, v29, v2
	s_addc_u32 s25, s21, 0
	s_lshl_b64 s[26:27], s[36:37], 2
	s_waitcnt lgkmcnt(0)
	s_lshl_b32 s52, s48, 5
	v_mov_b32_e32 v47, 0
	v_mov_b32_e32 v48, 1.0
	s_movk_i32 s53, 0x80
	v_lshl_add_u32 v34, s7, 5, v1
	s_branch .LBB2_4
.LBB2_3:                                ;   in Loop: Header=BB2_4 Depth=1
	s_or_b64 exec, exec, s[8:9]
	s_add_i32 s7, s48, s7
	s_cmp_le_i32 s7, s31
	v_add_u32_e32 v34, s52, v34
	s_cbranch_scc0 .LBB2_51
.LBB2_4:                                ; =>This Loop Header: Depth=1
                                        ;     Child Loop BB2_7 Depth 2
	v_lshl_add_u32 v49, s7, 5, v1
	v_ashrrev_i32_e32 v51, 31, v49
	s_andn2_b64 vcc, exec, s[22:23]
	v_mov_b32_e32 v53, 0
	v_mov_b32_e32 v52, 0
	;; [unrolled: 1-line block ×4, first 2 shown]
	s_cbranch_vccnz .LBB2_43
; %bb.5:                                ;   in Loop: Header=BB2_4 Depth=1
	v_mov_b32_e32 v2, s24
	v_ashrrev_i32_e32 v35, 31, v34
	v_mov_b32_e32 v3, s25
	v_mad_u64_u32 v[36:37], s[8:9], s26, v34, v[2:3]
	v_lshlrev_b64 v[2:3], 2, v[34:35]
	v_mul_lo_u32 v4, s27, v34
	v_add_co_u32_e32 v6, vcc, 64, v2
	v_addc_co_u32_e32 v2, vcc, 0, v3, vcc
	v_mul_lo_u32 v7, s36, v2
	v_mov_b32_e32 v2, s20
	v_mov_b32_e32 v3, s21
	v_mul_lo_u32 v5, s26, v35
	v_mul_lo_u32 v8, s37, v6
	v_mad_u64_u32 v[38:39], s[8:9], s36, v6, v[2:3]
	v_mov_b32_e32 v3, s51
	v_sub_co_u32_e32 v2, vcc, s30, v49
	v_subb_co_u32_e32 v3, vcc, v3, v51, vcc
	v_cmp_lt_i64_e64 s[8:9], 0, v[2:3]
	v_cmp_lt_i64_e64 s[10:11], 16, v[2:3]
	v_mov_b32_e32 v41, v19
	v_mov_b32_e32 v43, v29
	v_add3_u32 v37, v4, v37, v5
	v_add3_u32 v39, v8, v39, v7
	s_mov_b64 s[28:29], 0
	v_mov_b32_e32 v35, 0
	v_mov_b32_e32 v40, v18
	;; [unrolled: 1-line block ×6, first 2 shown]
	s_branch .LBB2_7
.LBB2_6:                                ;   in Loop: Header=BB2_7 Depth=2
	s_or_b64 exec, exec, s[12:13]
	s_waitcnt lgkmcnt(0)
	s_barrier
	ds_read2_b32 v[58:59], v0 offset1:16
	ds_read_b128 v[2:5], v45
	ds_read_b128 v[10:13], v45 offset:16
	ds_read_b128 v[6:9], v45 offset:2048
	ds_read2_b32 v[60:61], v0 offset0:32 offset1:48
	ds_read_b128 v[54:57], v45 offset:2064
	s_waitcnt lgkmcnt(4)
	v_fmac_f32_e32 v53, v58, v2
	v_fmac_f32_e32 v52, v59, v2
	s_waitcnt lgkmcnt(2)
	v_fmac_f32_e32 v50, v58, v6
	v_fmac_f32_e32 v35, v59, v6
	ds_read2_b32 v[58:59], v0 offset0:64 offset1:80
	s_waitcnt lgkmcnt(2)
	v_fmac_f32_e32 v53, v60, v3
	v_fmac_f32_e32 v52, v61, v3
	v_fmac_f32_e32 v50, v60, v7
	v_fmac_f32_e32 v35, v61, v7
	ds_read2_b32 v[2:3], v0 offset0:96 offset1:112
	s_waitcnt lgkmcnt(1)
	v_fmac_f32_e32 v53, v58, v4
	v_fmac_f32_e32 v52, v59, v4
	;; [unrolled: 6-line block ×3, first 2 shown]
	v_fmac_f32_e32 v50, v2, v9
	v_fmac_f32_e32 v35, v3, v9
	ds_read_b128 v[6:9], v45 offset:32
	ds_read_b128 v[2:5], v45 offset:48
	ds_read2_b32 v[60:61], v0 offset0:160 offset1:176
	s_waitcnt lgkmcnt(3)
	v_fmac_f32_e32 v53, v58, v10
	v_fmac_f32_e32 v52, v59, v10
	v_fmac_f32_e32 v50, v58, v54
	v_fmac_f32_e32 v35, v59, v54
	ds_read2_b32 v[58:59], v0 offset0:192 offset1:208
	s_waitcnt lgkmcnt(1)
	v_fmac_f32_e32 v53, v60, v11
	v_fmac_f32_e32 v52, v61, v11
	;; [unrolled: 1-line block ×4, first 2 shown]
	ds_read2_b32 v[54:55], v0 offset0:224 offset1:240
	v_add_u32_e32 v10, 0x400, v0
	s_waitcnt lgkmcnt(1)
	v_fmac_f32_e32 v53, v58, v12
	v_fmac_f32_e32 v52, v59, v12
	;; [unrolled: 1-line block ×4, first 2 shown]
	ds_read2_b32 v[11:12], v10 offset1:16
	ds_read_b128 v[58:61], v45 offset:2080
	ds_read2_b32 v[62:63], v10 offset0:32 offset1:48
	s_waitcnt lgkmcnt(3)
	v_fmac_f32_e32 v53, v54, v13
	v_fmac_f32_e32 v52, v55, v13
	;; [unrolled: 1-line block ×4, first 2 shown]
	s_waitcnt lgkmcnt(2)
	v_fmac_f32_e32 v53, v11, v6
	v_fmac_f32_e32 v52, v12, v6
	ds_read_b128 v[54:57], v45 offset:2096
	s_waitcnt lgkmcnt(2)
	v_fmac_f32_e32 v50, v11, v58
	v_fmac_f32_e32 v35, v12, v58
	ds_read2_b32 v[11:12], v10 offset0:64 offset1:80
	s_waitcnt lgkmcnt(2)
	v_fmac_f32_e32 v53, v62, v7
	v_fmac_f32_e32 v52, v63, v7
	ds_read2_b32 v[6:7], v10 offset0:96 offset1:112
	v_fmac_f32_e32 v50, v62, v59
	v_fmac_f32_e32 v35, v63, v59
	s_waitcnt lgkmcnt(1)
	v_fmac_f32_e32 v53, v11, v8
	v_fmac_f32_e32 v52, v12, v8
	;; [unrolled: 1-line block ×4, first 2 shown]
	ds_read2_b32 v[11:12], v10 offset0:128 offset1:144
	s_waitcnt lgkmcnt(1)
	v_fmac_f32_e32 v53, v6, v9
	v_fmac_f32_e32 v52, v7, v9
	;; [unrolled: 1-line block ×4, first 2 shown]
	ds_read2_b32 v[6:7], v10 offset0:160 offset1:176
	ds_read2_b32 v[8:9], v10 offset0:192 offset1:208
	s_waitcnt lgkmcnt(2)
	v_fmac_f32_e32 v53, v11, v2
	v_fmac_f32_e32 v50, v11, v54
	ds_read2_b32 v[10:11], v10 offset0:224 offset1:240
	v_fmac_f32_e32 v52, v12, v2
	v_fmac_f32_e32 v35, v12, v54
	s_waitcnt lgkmcnt(2)
	v_fmac_f32_e32 v53, v6, v3
	v_fmac_f32_e32 v52, v7, v3
	;; [unrolled: 1-line block ×4, first 2 shown]
	s_waitcnt lgkmcnt(1)
	v_fmac_f32_e32 v53, v8, v4
	v_fmac_f32_e32 v52, v9, v4
	;; [unrolled: 1-line block ×3, first 2 shown]
	v_add_u32_e32 v2, 0x800, v0
	v_fmac_f32_e32 v35, v9, v56
	s_waitcnt lgkmcnt(0)
	v_fmac_f32_e32 v53, v10, v5
	v_fmac_f32_e32 v52, v11, v5
	ds_read_b128 v[3:6], v45 offset:64
	ds_read2_b32 v[12:13], v2 offset1:16
	v_fmac_f32_e32 v50, v10, v57
	ds_read_b128 v[7:10], v45 offset:2112
	v_fmac_f32_e32 v35, v11, v57
	ds_read2_b32 v[62:63], v2 offset0:32 offset1:48
	ds_read_b128 v[54:57], v45 offset:80
	s_waitcnt lgkmcnt(3)
	v_fmac_f32_e32 v53, v12, v3
	v_fmac_f32_e32 v52, v13, v3
	s_waitcnt lgkmcnt(2)
	v_fmac_f32_e32 v50, v12, v7
	ds_read2_b32 v[11:12], v2 offset0:64 offset1:80
	s_waitcnt lgkmcnt(2)
	v_fmac_f32_e32 v53, v62, v4
	v_fmac_f32_e32 v52, v63, v4
	ds_read2_b32 v[3:4], v2 offset0:96 offset1:112
	v_fmac_f32_e32 v35, v13, v7
	v_fmac_f32_e32 v50, v62, v8
	;; [unrolled: 1-line block ×3, first 2 shown]
	ds_read_b128 v[58:61], v45 offset:2128
	s_waitcnt lgkmcnt(2)
	v_fmac_f32_e32 v53, v11, v5
	v_fmac_f32_e32 v52, v12, v5
	;; [unrolled: 1-line block ×4, first 2 shown]
	ds_read2_b32 v[7:8], v2 offset0:128 offset1:144
	s_waitcnt lgkmcnt(2)
	v_fmac_f32_e32 v53, v3, v6
	v_fmac_f32_e32 v52, v4, v6
	v_fmac_f32_e32 v50, v3, v10
	v_fmac_f32_e32 v35, v4, v10
	ds_read2_b32 v[3:4], v2 offset0:160 offset1:176
	ds_read2_b32 v[5:6], v2 offset0:192 offset1:208
	;; [unrolled: 1-line block ×3, first 2 shown]
	s_waitcnt lgkmcnt(3)
	v_fmac_f32_e32 v53, v7, v54
	v_fmac_f32_e32 v50, v7, v58
	;; [unrolled: 1-line block ×4, first 2 shown]
	s_waitcnt lgkmcnt(2)
	v_fmac_f32_e32 v53, v3, v55
	v_fmac_f32_e32 v50, v3, v59
	;; [unrolled: 1-line block ×4, first 2 shown]
	s_waitcnt lgkmcnt(1)
	v_fmac_f32_e32 v53, v5, v56
	v_fmac_f32_e32 v50, v5, v60
	v_add_u32_e32 v2, 0xc00, v0
	v_fmac_f32_e32 v52, v6, v56
	v_fmac_f32_e32 v35, v6, v60
	s_waitcnt lgkmcnt(0)
	v_fmac_f32_e32 v53, v10, v57
	ds_read_b128 v[3:6], v45 offset:96
	ds_read2_b32 v[12:13], v2 offset1:16
	v_fmac_f32_e32 v50, v10, v61
	ds_read_b128 v[7:10], v45 offset:2144
	v_fmac_f32_e32 v52, v11, v57
	ds_read2_b32 v[62:63], v2 offset0:32 offset1:48
	ds_read_b128 v[54:57], v45 offset:112
	v_fmac_f32_e32 v35, v11, v61
	s_waitcnt lgkmcnt(3)
	v_fmac_f32_e32 v53, v12, v3
	v_fmac_f32_e32 v52, v13, v3
	s_waitcnt lgkmcnt(2)
	v_fmac_f32_e32 v50, v12, v7
	ds_read2_b32 v[11:12], v2 offset0:64 offset1:80
	s_waitcnt lgkmcnt(2)
	v_fmac_f32_e32 v53, v62, v4
	v_fmac_f32_e32 v52, v63, v4
	ds_read2_b32 v[3:4], v2 offset0:96 offset1:112
	v_fmac_f32_e32 v35, v13, v7
	v_fmac_f32_e32 v50, v62, v8
	;; [unrolled: 1-line block ×3, first 2 shown]
	ds_read_b128 v[58:61], v45 offset:2160
	s_waitcnt lgkmcnt(2)
	v_fmac_f32_e32 v53, v11, v5
	v_fmac_f32_e32 v52, v12, v5
	;; [unrolled: 1-line block ×4, first 2 shown]
	ds_read2_b32 v[7:8], v2 offset0:128 offset1:144
	s_waitcnt lgkmcnt(2)
	v_fmac_f32_e32 v53, v3, v6
	v_fmac_f32_e32 v52, v4, v6
	v_fmac_f32_e32 v50, v3, v10
	v_fmac_f32_e32 v35, v4, v10
	ds_read2_b32 v[3:4], v2 offset0:160 offset1:176
	s_waitcnt lgkmcnt(1)
	v_fmac_f32_e32 v53, v7, v54
	v_fmac_f32_e32 v50, v7, v58
	ds_read2_b32 v[5:6], v2 offset0:192 offset1:208
	v_add_co_u32_e32 v42, vcc, s42, v42
	s_waitcnt lgkmcnt(1)
	v_fmac_f32_e32 v53, v3, v55
	v_fmac_f32_e32 v50, v3, v59
	ds_read2_b32 v[2:3], v2 offset0:224 offset1:240
	s_waitcnt lgkmcnt(1)
	v_fmac_f32_e32 v53, v5, v56
	v_fmac_f32_e32 v50, v5, v60
	v_fmac_f32_e32 v52, v8, v54
	v_fmac_f32_e32 v35, v8, v58
	s_waitcnt lgkmcnt(0)
	v_fmac_f32_e32 v53, v2, v57
	v_fmac_f32_e32 v50, v2, v61
	v_mov_b32_e32 v2, s43
	v_addc_co_u32_e32 v43, vcc, v43, v2, vcc
	v_add_co_u32_e32 v36, vcc, s53, v36
	v_addc_co_u32_e32 v37, vcc, 0, v37, vcc
	v_add_co_u32_e32 v40, vcc, s42, v40
	v_fmac_f32_e32 v52, v4, v55
	v_fmac_f32_e32 v35, v4, v59
	s_add_u32 s28, s28, 32
	v_addc_co_u32_e32 v41, vcc, v41, v2, vcc
	v_fmac_f32_e32 v52, v6, v56
	v_fmac_f32_e32 v35, v6, v60
	s_addc_u32 s29, s29, 0
	v_add_co_u32_e32 v38, vcc, 0x80, v38
	v_fmac_f32_e32 v52, v3, v57
	v_fmac_f32_e32 v35, v3, v61
	s_cmp_ge_i32 s28, s6
	v_addc_co_u32_e32 v39, vcc, 0, v39, vcc
	s_barrier
	s_cbranch_scc1 .LBB2_43
.LBB2_7:                                ;   Parent Loop BB2_4 Depth=1
                                        ; =>  This Inner Loop Header: Depth=2
	v_mov_b32_e32 v3, s29
	v_add_co_u32_e32 v2, vcc, s28, v14
	v_addc_co_u32_e32 v3, vcc, v15, v3, vcc
	v_add_co_u32_e32 v4, vcc, v40, v32
	v_addc_co_u32_e32 v5, vcc, v41, v33, vcc
	v_cmp_le_i64_e64 s[12:13], s[40:41], v[2:3]
	v_cmp_eq_u64_e64 s[16:17], s[28:29], v[24:25]
	v_cmp_lt_i64_e32 vcc, v[2:3], v[16:17]
	s_and_b64 s[38:39], s[34:35], s[16:17]
	s_or_b64 s[16:17], s[12:13], vcc
	s_or_b64 s[16:17], s[16:17], s[38:39]
	s_nor_b64 s[16:17], s[0:1], s[16:17]
                                        ; implicit-def: $vgpr6
	s_and_saveexec_b64 s[18:19], s[16:17]
	s_xor_b64 s[16:17], exec, s[18:19]
	s_cbranch_execz .LBB2_9
; %bb.8:                                ;   in Loop: Header=BB2_7 Depth=2
	global_load_dword v6, v[4:5], off
.LBB2_9:                                ;   in Loop: Header=BB2_7 Depth=2
	s_andn2_saveexec_b64 s[16:17], s[16:17]
	s_cbranch_execz .LBB2_11
; %bb.10:                               ;   in Loop: Header=BB2_7 Depth=2
	s_waitcnt vmcnt(0)
	v_cndmask_b32_e64 v6, 0, 1.0, s[38:39]
.LBB2_11:                               ;   in Loop: Header=BB2_7 Depth=2
	s_or_b64 exec, exec, s[16:17]
	v_cmp_eq_u64_e64 s[16:17], s[28:29], v[26:27]
	v_cmp_gt_i64_e64 s[18:19], v[20:21], v[2:3]
	s_and_b64 s[16:17], s[34:35], s[16:17]
	s_or_b64 s[12:13], s[12:13], s[18:19]
	s_or_b64 s[12:13], s[12:13], s[16:17]
	s_nor_b64 s[12:13], s[2:3], s[12:13]
	s_waitcnt vmcnt(0)
	ds_write_b32 v44, v6
	s_and_saveexec_b64 s[18:19], s[12:13]
	s_xor_b64 s[12:13], exec, s[18:19]
	s_cbranch_execz .LBB2_13
; %bb.12:                               ;   in Loop: Header=BB2_7 Depth=2
	global_load_dword v4, v[4:5], off offset:64
	s_waitcnt vmcnt(0)
	ds_write_b32 v44, v4 offset:64
.LBB2_13:                               ;   in Loop: Header=BB2_7 Depth=2
	s_andn2_saveexec_b64 s[12:13], s[12:13]
	s_cbranch_execz .LBB2_19
; %bb.14:                               ;   in Loop: Header=BB2_7 Depth=2
	s_xor_b64 s[16:17], s[16:17], -1
	s_and_saveexec_b64 s[18:19], s[16:17]
	s_xor_b64 s[16:17], exec, s[18:19]
; %bb.15:                               ;   in Loop: Header=BB2_7 Depth=2
	ds_write_b32 v44, v47 offset:64
; %bb.16:                               ;   in Loop: Header=BB2_7 Depth=2
	s_andn2_saveexec_b64 s[16:17], s[16:17]
; %bb.17:                               ;   in Loop: Header=BB2_7 Depth=2
	ds_write_b32 v44, v48 offset:64
; %bb.18:                               ;   in Loop: Header=BB2_7 Depth=2
	s_or_b64 exec, exec, s[16:17]
.LBB2_19:                               ;   in Loop: Header=BB2_7 Depth=2
	s_or_b64 exec, exec, s[12:13]
	v_add_co_u32_e64 v4, s[12:13], 16, v2
	v_add_co_u32_e64 v2, s[16:17], v42, v32
	v_addc_co_u32_e64 v5, s[12:13], 0, v3, s[12:13]
	v_addc_co_u32_e64 v3, s[16:17], v43, v33, s[16:17]
	v_cmp_le_i64_e64 s[12:13], s[40:41], v[4:5]
	v_cmp_eq_u64_e64 s[16:17], s[28:29], v[30:31]
	v_cmp_lt_i64_e64 s[18:19], v[4:5], v[16:17]
	s_and_b64 s[16:17], s[34:35], s[16:17]
	s_or_b64 s[18:19], s[12:13], s[18:19]
	s_or_b64 s[18:19], s[18:19], s[16:17]
	s_nor_b64 s[18:19], s[0:1], s[18:19]
                                        ; implicit-def: $vgpr4
	s_and_saveexec_b64 s[54:55], s[18:19]
	s_xor_b64 s[18:19], exec, s[54:55]
	s_cbranch_execz .LBB2_21
; %bb.20:                               ;   in Loop: Header=BB2_7 Depth=2
	global_load_dword v4, v[2:3], off
.LBB2_21:                               ;   in Loop: Header=BB2_7 Depth=2
	s_andn2_saveexec_b64 s[18:19], s[18:19]
	s_cbranch_execz .LBB2_23
; %bb.22:                               ;   in Loop: Header=BB2_7 Depth=2
	s_waitcnt vmcnt(0)
	v_cndmask_b32_e64 v4, 0, 1.0, s[16:17]
.LBB2_23:                               ;   in Loop: Header=BB2_7 Depth=2
	s_or_b64 exec, exec, s[18:19]
	s_or_b64 s[12:13], s[12:13], vcc
	s_or_b64 s[12:13], s[12:13], s[38:39]
	s_nor_b64 s[12:13], s[2:3], s[12:13]
	s_waitcnt vmcnt(0)
	ds_write_b32 v44, v4 offset:2048
	s_and_saveexec_b64 s[16:17], s[12:13]
	s_xor_b64 s[12:13], exec, s[16:17]
	s_cbranch_execz .LBB2_25
; %bb.24:                               ;   in Loop: Header=BB2_7 Depth=2
	global_load_dword v2, v[2:3], off offset:64
	s_waitcnt vmcnt(0)
	ds_write_b32 v44, v2 offset:2112
.LBB2_25:                               ;   in Loop: Header=BB2_7 Depth=2
	s_andn2_saveexec_b64 s[12:13], s[12:13]
	s_cbranch_execz .LBB2_31
; %bb.26:                               ;   in Loop: Header=BB2_7 Depth=2
	s_xor_b64 s[16:17], s[38:39], -1
	s_and_saveexec_b64 s[18:19], s[16:17]
	s_xor_b64 s[16:17], exec, s[18:19]
; %bb.27:                               ;   in Loop: Header=BB2_7 Depth=2
	ds_write_b32 v44, v47 offset:2112
; %bb.28:                               ;   in Loop: Header=BB2_7 Depth=2
	s_andn2_saveexec_b64 s[16:17], s[16:17]
; %bb.29:                               ;   in Loop: Header=BB2_7 Depth=2
	ds_write_b32 v44, v48 offset:2112
; %bb.30:                               ;   in Loop: Header=BB2_7 Depth=2
	s_or_b64 exec, exec, s[16:17]
.LBB2_31:                               ;   in Loop: Header=BB2_7 Depth=2
	s_or_b64 exec, exec, s[12:13]
	v_mov_b32_e32 v2, s29
	v_add_co_u32_e32 v4, vcc, s28, v16
	v_addc_co_u32_e32 v5, vcc, v17, v2, vcc
	v_cmp_gt_i64_e32 vcc, s[40:41], v[4:5]
	v_add_co_u32_e64 v2, s[12:13], v36, v32
	v_addc_co_u32_e64 v3, s[12:13], v37, v33, s[12:13]
	s_and_b64 s[16:17], s[8:9], vcc
	v_mov_b32_e32 v6, 0
	s_and_saveexec_b64 s[12:13], s[16:17]
	s_cbranch_execz .LBB2_33
; %bb.32:                               ;   in Loop: Header=BB2_7 Depth=2
	global_load_dword v6, v[2:3], off offset:-64
.LBB2_33:                               ;   in Loop: Header=BB2_7 Depth=2
	s_or_b64 exec, exec, s[12:13]
	v_cmp_gt_i64_e64 s[12:13], s[46:47], v[4:5]
	s_waitcnt vmcnt(0)
	ds_write_b32 v46, v6
	s_and_b64 s[16:17], s[8:9], s[12:13]
	s_xor_b64 s[16:17], s[16:17], -1
	s_and_saveexec_b64 s[18:19], s[16:17]
	s_xor_b64 s[16:17], exec, s[18:19]
; %bb.34:                               ;   in Loop: Header=BB2_7 Depth=2
	ds_write_b32 v46, v47 offset:64
                                        ; implicit-def: $vgpr2_vgpr3
; %bb.35:                               ;   in Loop: Header=BB2_7 Depth=2
	s_andn2_saveexec_b64 s[16:17], s[16:17]
	s_cbranch_execz .LBB2_37
; %bb.36:                               ;   in Loop: Header=BB2_7 Depth=2
	global_load_dword v2, v[2:3], off
	s_waitcnt vmcnt(0)
	ds_write_b32 v46, v2 offset:64
.LBB2_37:                               ;   in Loop: Header=BB2_7 Depth=2
	s_or_b64 exec, exec, s[16:17]
	v_add_co_u32_e64 v2, s[16:17], v38, v32
	v_addc_co_u32_e64 v3, s[16:17], v39, v33, s[16:17]
	s_and_b64 s[18:19], s[10:11], vcc
	v_mov_b32_e32 v4, 0
	s_and_saveexec_b64 s[16:17], s[18:19]
	s_cbranch_execz .LBB2_39
; %bb.38:                               ;   in Loop: Header=BB2_7 Depth=2
	global_load_dword v4, v[2:3], off
.LBB2_39:                               ;   in Loop: Header=BB2_7 Depth=2
	s_or_b64 exec, exec, s[16:17]
	s_and_b64 s[12:13], s[10:11], s[12:13]
	s_xor_b64 s[12:13], s[12:13], -1
	s_waitcnt vmcnt(0)
	ds_write_b32 v46, v4 offset:2048
	s_and_saveexec_b64 s[16:17], s[12:13]
	s_xor_b64 s[12:13], exec, s[16:17]
; %bb.40:                               ;   in Loop: Header=BB2_7 Depth=2
	ds_write_b32 v46, v47 offset:2112
                                        ; implicit-def: $vgpr2_vgpr3
; %bb.41:                               ;   in Loop: Header=BB2_7 Depth=2
	s_andn2_saveexec_b64 s[12:13], s[12:13]
	s_cbranch_execz .LBB2_6
; %bb.42:                               ;   in Loop: Header=BB2_7 Depth=2
	global_load_dword v2, v[2:3], off offset:64
	s_waitcnt vmcnt(0)
	ds_write_b32 v46, v2 offset:2112
	s_branch .LBB2_6
.LBB2_43:                               ;   in Loop: Header=BB2_4 Depth=1
	v_mul_lo_u32 v4, s45, v49
	v_mul_lo_u32 v5, s44, v51
	v_mad_u64_u32 v[2:3], s[8:9], s44, v49, 0
	v_cmp_gt_i32_e32 vcc, s30, v49
	v_add3_u32 v3, v3, v5, v4
	v_lshlrev_b64 v[2:3], 2, v[2:3]
	v_mov_b32_e32 v4, s50
	v_add_co_u32_e64 v2, s[8:9], s49, v2
	v_addc_co_u32_e64 v3, s[8:9], v4, v3, s[8:9]
	s_and_b64 s[8:9], s[4:5], vcc
	s_and_saveexec_b64 s[10:11], s[8:9]
	s_cbranch_execz .LBB2_45
; %bb.44:                               ;   in Loop: Header=BB2_4 Depth=1
	v_add_co_u32_e64 v4, s[8:9], v2, v32
	v_addc_co_u32_e64 v5, s[8:9], v3, v33, s[8:9]
	global_load_dword v6, v[4:5], off
	s_waitcnt vmcnt(0)
	v_fmac_f32_e32 v6, s33, v53
	global_store_dword v[4:5], v6, off
.LBB2_45:                               ;   in Loop: Header=BB2_4 Depth=1
	s_or_b64 exec, exec, s[10:11]
	s_and_b64 s[10:11], s[14:15], vcc
	s_and_saveexec_b64 s[8:9], s[10:11]
	s_cbranch_execz .LBB2_47
; %bb.46:                               ;   in Loop: Header=BB2_4 Depth=1
	v_lshlrev_b64 v[4:5], 2, v[22:23]
	v_add_co_u32_e32 v2, vcc, v2, v4
	v_addc_co_u32_e32 v3, vcc, v3, v5, vcc
	global_load_dword v4, v[2:3], off
	s_waitcnt vmcnt(0)
	v_fmac_f32_e32 v4, s33, v52
	global_store_dword v[2:3], v4, off
.LBB2_47:                               ;   in Loop: Header=BB2_4 Depth=1
	s_or_b64 exec, exec, s[8:9]
	v_add_u32_e32 v4, 16, v49
	v_ashrrev_i32_e32 v2, 31, v4
	v_mul_lo_u32 v5, s44, v2
	v_mul_lo_u32 v6, s45, v4
	v_mad_u64_u32 v[2:3], s[8:9], s44, v4, 0
	v_cmp_gt_i32_e32 vcc, s30, v4
	v_mov_b32_e32 v4, s50
	v_add3_u32 v3, v3, v5, v6
	v_lshlrev_b64 v[2:3], 2, v[2:3]
	v_add_co_u32_e64 v2, s[8:9], s49, v2
	v_addc_co_u32_e64 v3, s[8:9], v4, v3, s[8:9]
	s_and_b64 s[8:9], s[4:5], vcc
	s_and_saveexec_b64 s[10:11], s[8:9]
	s_cbranch_execz .LBB2_49
; %bb.48:                               ;   in Loop: Header=BB2_4 Depth=1
	v_add_co_u32_e64 v4, s[8:9], v2, v32
	v_addc_co_u32_e64 v5, s[8:9], v3, v33, s[8:9]
	global_load_dword v6, v[4:5], off
	s_waitcnt vmcnt(0)
	v_fmac_f32_e32 v6, s33, v50
	global_store_dword v[4:5], v6, off
.LBB2_49:                               ;   in Loop: Header=BB2_4 Depth=1
	s_or_b64 exec, exec, s[10:11]
	s_and_b64 s[10:11], s[14:15], vcc
	s_and_saveexec_b64 s[8:9], s[10:11]
	s_cbranch_execz .LBB2_3
; %bb.50:                               ;   in Loop: Header=BB2_4 Depth=1
	v_lshlrev_b64 v[4:5], 2, v[22:23]
	v_add_co_u32_e32 v2, vcc, v2, v4
	v_addc_co_u32_e32 v3, vcc, v3, v5, vcc
	global_load_dword v4, v[2:3], off
	s_waitcnt vmcnt(0)
	v_fmac_f32_e32 v4, s33, v35
	global_store_dword v[2:3], v4, off
	s_branch .LBB2_3
.LBB2_51:
	s_endpgm
	.section	.rodata,"a",@progbits
	.p2align	6, 0x0
	.amdhsa_kernel _ZL30rocblas_trmm_outofplace_kernelIfLi32ELi2ELb1ELb1ELb0ELb0EPKfS0_fEv17rocblas_diagonal_iiT6_lPT7_lllS5_lllPT8_llli
		.amdhsa_group_segment_fixed_size 8192
		.amdhsa_private_segment_fixed_size 0
		.amdhsa_kernarg_size 392
		.amdhsa_user_sgpr_count 6
		.amdhsa_user_sgpr_private_segment_buffer 1
		.amdhsa_user_sgpr_dispatch_ptr 0
		.amdhsa_user_sgpr_queue_ptr 0
		.amdhsa_user_sgpr_kernarg_segment_ptr 1
		.amdhsa_user_sgpr_dispatch_id 0
		.amdhsa_user_sgpr_flat_scratch_init 0
		.amdhsa_user_sgpr_private_segment_size 0
		.amdhsa_uses_dynamic_stack 0
		.amdhsa_system_sgpr_private_segment_wavefront_offset 0
		.amdhsa_system_sgpr_workgroup_id_x 1
		.amdhsa_system_sgpr_workgroup_id_y 1
		.amdhsa_system_sgpr_workgroup_id_z 1
		.amdhsa_system_sgpr_workgroup_info 0
		.amdhsa_system_vgpr_workitem_id 1
		.amdhsa_next_free_vgpr 64
		.amdhsa_next_free_sgpr 61
		.amdhsa_reserve_vcc 1
		.amdhsa_reserve_flat_scratch 0
		.amdhsa_float_round_mode_32 0
		.amdhsa_float_round_mode_16_64 0
		.amdhsa_float_denorm_mode_32 3
		.amdhsa_float_denorm_mode_16_64 3
		.amdhsa_dx10_clamp 1
		.amdhsa_ieee_mode 1
		.amdhsa_fp16_overflow 0
		.amdhsa_exception_fp_ieee_invalid_op 0
		.amdhsa_exception_fp_denorm_src 0
		.amdhsa_exception_fp_ieee_div_zero 0
		.amdhsa_exception_fp_ieee_overflow 0
		.amdhsa_exception_fp_ieee_underflow 0
		.amdhsa_exception_fp_ieee_inexact 0
		.amdhsa_exception_int_div_zero 0
	.end_amdhsa_kernel
	.section	.text._ZL30rocblas_trmm_outofplace_kernelIfLi32ELi2ELb1ELb1ELb0ELb0EPKfS0_fEv17rocblas_diagonal_iiT6_lPT7_lllS5_lllPT8_llli,"axG",@progbits,_ZL30rocblas_trmm_outofplace_kernelIfLi32ELi2ELb1ELb1ELb0ELb0EPKfS0_fEv17rocblas_diagonal_iiT6_lPT7_lllS5_lllPT8_llli,comdat
.Lfunc_end2:
	.size	_ZL30rocblas_trmm_outofplace_kernelIfLi32ELi2ELb1ELb1ELb0ELb0EPKfS0_fEv17rocblas_diagonal_iiT6_lPT7_lllS5_lllPT8_llli, .Lfunc_end2-_ZL30rocblas_trmm_outofplace_kernelIfLi32ELi2ELb1ELb1ELb0ELb0EPKfS0_fEv17rocblas_diagonal_iiT6_lPT7_lllS5_lllPT8_llli
                                        ; -- End function
	.set _ZL30rocblas_trmm_outofplace_kernelIfLi32ELi2ELb1ELb1ELb0ELb0EPKfS0_fEv17rocblas_diagonal_iiT6_lPT7_lllS5_lllPT8_llli.num_vgpr, 64
	.set _ZL30rocblas_trmm_outofplace_kernelIfLi32ELi2ELb1ELb1ELb0ELb0EPKfS0_fEv17rocblas_diagonal_iiT6_lPT7_lllS5_lllPT8_llli.num_agpr, 0
	.set _ZL30rocblas_trmm_outofplace_kernelIfLi32ELi2ELb1ELb1ELb0ELb0EPKfS0_fEv17rocblas_diagonal_iiT6_lPT7_lllS5_lllPT8_llli.numbered_sgpr, 56
	.set _ZL30rocblas_trmm_outofplace_kernelIfLi32ELi2ELb1ELb1ELb0ELb0EPKfS0_fEv17rocblas_diagonal_iiT6_lPT7_lllS5_lllPT8_llli.num_named_barrier, 0
	.set _ZL30rocblas_trmm_outofplace_kernelIfLi32ELi2ELb1ELb1ELb0ELb0EPKfS0_fEv17rocblas_diagonal_iiT6_lPT7_lllS5_lllPT8_llli.private_seg_size, 0
	.set _ZL30rocblas_trmm_outofplace_kernelIfLi32ELi2ELb1ELb1ELb0ELb0EPKfS0_fEv17rocblas_diagonal_iiT6_lPT7_lllS5_lllPT8_llli.uses_vcc, 1
	.set _ZL30rocblas_trmm_outofplace_kernelIfLi32ELi2ELb1ELb1ELb0ELb0EPKfS0_fEv17rocblas_diagonal_iiT6_lPT7_lllS5_lllPT8_llli.uses_flat_scratch, 0
	.set _ZL30rocblas_trmm_outofplace_kernelIfLi32ELi2ELb1ELb1ELb0ELb0EPKfS0_fEv17rocblas_diagonal_iiT6_lPT7_lllS5_lllPT8_llli.has_dyn_sized_stack, 0
	.set _ZL30rocblas_trmm_outofplace_kernelIfLi32ELi2ELb1ELb1ELb0ELb0EPKfS0_fEv17rocblas_diagonal_iiT6_lPT7_lllS5_lllPT8_llli.has_recursion, 0
	.set _ZL30rocblas_trmm_outofplace_kernelIfLi32ELi2ELb1ELb1ELb0ELb0EPKfS0_fEv17rocblas_diagonal_iiT6_lPT7_lllS5_lllPT8_llli.has_indirect_call, 0
	.section	.AMDGPU.csdata,"",@progbits
; Kernel info:
; codeLenInByte = 3008
; TotalNumSgprs: 60
; NumVgprs: 64
; ScratchSize: 0
; MemoryBound: 0
; FloatMode: 240
; IeeeMode: 1
; LDSByteSize: 8192 bytes/workgroup (compile time only)
; SGPRBlocks: 8
; VGPRBlocks: 15
; NumSGPRsForWavesPerEU: 65
; NumVGPRsForWavesPerEU: 64
; Occupancy: 4
; WaveLimiterHint : 0
; COMPUTE_PGM_RSRC2:SCRATCH_EN: 0
; COMPUTE_PGM_RSRC2:USER_SGPR: 6
; COMPUTE_PGM_RSRC2:TRAP_HANDLER: 0
; COMPUTE_PGM_RSRC2:TGID_X_EN: 1
; COMPUTE_PGM_RSRC2:TGID_Y_EN: 1
; COMPUTE_PGM_RSRC2:TGID_Z_EN: 1
; COMPUTE_PGM_RSRC2:TIDIG_COMP_CNT: 1
	.section	.text._ZL30rocblas_trmm_outofplace_kernelIfLi32ELi2ELb1ELb1ELb0ELb0EfKffEv17rocblas_diagonal_iiT6_lPT7_lllS4_lllPT8_llli,"axG",@progbits,_ZL30rocblas_trmm_outofplace_kernelIfLi32ELi2ELb1ELb1ELb0ELb0EfKffEv17rocblas_diagonal_iiT6_lPT7_lllS4_lllPT8_llli,comdat
	.globl	_ZL30rocblas_trmm_outofplace_kernelIfLi32ELi2ELb1ELb1ELb0ELb0EfKffEv17rocblas_diagonal_iiT6_lPT7_lllS4_lllPT8_llli ; -- Begin function _ZL30rocblas_trmm_outofplace_kernelIfLi32ELi2ELb1ELb1ELb0ELb0EfKffEv17rocblas_diagonal_iiT6_lPT7_lllS4_lllPT8_llli
	.p2align	8
	.type	_ZL30rocblas_trmm_outofplace_kernelIfLi32ELi2ELb1ELb1ELb0ELb0EfKffEv17rocblas_diagonal_iiT6_lPT7_lllS4_lllPT8_llli,@function
_ZL30rocblas_trmm_outofplace_kernelIfLi32ELi2ELb1ELb1ELb0ELb0EfKffEv17rocblas_diagonal_iiT6_lPT7_lllS4_lllPT8_llli: ; @_ZL30rocblas_trmm_outofplace_kernelIfLi32ELi2ELb1ELb1ELb0ELb0EfKffEv17rocblas_diagonal_iiT6_lPT7_lllS4_lllPT8_llli
; %bb.0:
	s_load_dwordx4 s[28:31], s[4:5], 0x0
	s_waitcnt lgkmcnt(0)
	v_cmp_eq_f32_e64 s[0:1], s31, 0
	s_and_b64 vcc, exec, s[0:1]
	s_cbranch_vccnz .LBB3_51
; %bb.1:
	s_add_i32 s0, s30, -1
	s_ashr_i32 s1, s0, 31
	s_lshr_b32 s1, s1, 27
	s_add_i32 s0, s0, s1
	s_ashr_i32 s33, s0, 5
	s_cmp_gt_i32 s7, s33
	s_cbranch_scc1 .LBB3_51
; %bb.2:
	s_load_dwordx16 s[12:27], s[4:5], 0x18
	s_load_dwordx8 s[36:43], s[4:5], 0x58
	s_load_dword s52, s[4:5], 0x84
	s_mov_b32 s51, s30
	v_mov_b32_e32 v47, 0
	s_waitcnt lgkmcnt(0)
	s_mul_i32 s1, s19, s8
	s_mul_hi_u32 s2, s18, s8
	s_mul_i32 s0, s18, s8
	s_add_i32 s1, s2, s1
	s_lshl_b64 s[10:11], s[0:1], 2
	s_add_u32 s0, s12, s10
	s_addc_u32 s1, s13, s11
	s_lshl_b64 s[18:19], s[14:15], 2
	s_add_u32 s2, s0, s18
	s_addc_u32 s3, s1, s19
	s_mul_i32 s0, s43, s8
	s_mul_hi_u32 s1, s42, s8
	s_add_i32 s1, s1, s0
	s_mul_i32 s0, s42, s8
	s_lshl_b64 s[0:1], s[0:1], 2
	s_add_u32 s9, s36, s0
	s_addc_u32 s14, s37, s1
	s_lshl_b64 s[0:1], s[38:39], 2
	s_add_u32 s48, s9, s0
	s_addc_u32 s49, s14, s1
	s_lshl_b32 s6, s6, 5
	v_add_u32_e32 v14, s6, v1
	v_ashrrev_i32_e32 v15, 31, v14
	v_mul_lo_u32 v4, s16, v15
	v_mul_lo_u32 v5, s17, v14
	v_mad_u64_u32 v[2:3], s[0:1], s16, v14, 0
	v_add_u32_e32 v16, s6, v0
	s_sub_i32 s6, s29, s6
	v_add3_u32 v3, v3, v4, v5
	v_lshlrev_b64 v[2:3], 2, v[2:3]
	v_mov_b32_e32 v4, s3
	v_add_co_u32_e32 v18, vcc, s2, v2
	v_addc_co_u32_e32 v19, vcc, v4, v3, vcc
	s_cmp_gt_i32 s6, 0
	v_ashrrev_i32_e32 v17, 31, v16
	s_cselect_b64 s[34:35], -1, 0
	s_cmpk_eq_i32 s28, 0x84
	v_add_co_u32_e32 v20, vcc, 16, v16
	s_cselect_b64 s[36:37], -1, 0
	s_ashr_i32 s39, s29, 31
	s_ashr_i32 s50, s30, 31
	s_lshl_b64 s[42:43], s[16:17], 7
	v_addc_co_u32_e32 v21, vcc, 0, v17, vcc
	s_add_u32 s44, s29, -16
	v_sub_co_u32_e32 v24, vcc, v16, v14
	v_lshlrev_b32_e32 v2, 7, v1
	v_lshlrev_b32_e32 v0, 2, v0
	s_addc_u32 s45, s39, -1
	v_subb_co_u32_e32 v25, vcc, v17, v15, vcc
	v_add_u32_e32 v44, v0, v2
	v_add_u32_e32 v45, 0x1000, v2
	v_add_co_u32_e32 v26, vcc, 16, v24
	v_lshlrev_b64 v[2:3], 2, v[14:15]
	s_add_u32 s9, s12, s18
	v_addc_co_u32_e32 v27, vcc, 0, v25, vcc
	s_addc_u32 s12, s13, s19
	v_add_co_u32_e32 v4, vcc, 64, v2
	s_add_u32 s10, s9, s10
	v_addc_co_u32_e32 v5, vcc, 0, v3, vcc
	s_addc_u32 s11, s12, s11
	v_mov_b32_e32 v2, s10
	v_mov_b32_e32 v3, s11
	v_mad_u64_u32 v[28:29], s[10:11], s16, v4, v[2:3]
	s_mul_i32 s9, s27, s8
	s_mul_hi_u32 s10, s26, s8
	s_add_i32 s9, s10, s9
	s_mul_i32 s8, s26, s8
	s_lshl_b64 s[8:9], s[8:9], 2
	s_lshl_b64 s[10:11], s[22:23], 2
	s_add_u32 s8, s8, s10
	v_mul_lo_u32 v2, s16, v5
	v_mul_lo_u32 v3, s17, v4
	s_addc_u32 s9, s9, s11
	s_add_u32 s20, s20, s8
	s_mov_b32 s38, s29
	s_addc_u32 s21, s21, s9
	v_cmp_le_i64_e64 s[2:3], s[38:39], v[20:21]
	v_add_u32_e32 v22, 16, v16
	v_add_co_u32_e32 v30, vcc, -16, v24
	v_lshlrev_b64 v[32:33], 2, v[16:17]
	s_add_u32 s22, s20, 64
	v_add_u32_e32 v46, v45, v0
	v_cmp_le_i32_e64 s[0:1], s29, v16
	v_cmp_gt_i32_e64 s[4:5], s29, v16
	v_cmp_gt_i32_e64 s[14:15], s29, v22
	v_ashrrev_i32_e32 v23, 31, v22
	v_addc_co_u32_e32 v31, vcc, -1, v25, vcc
	v_add3_u32 v29, v3, v29, v2
	s_addc_u32 s23, s21, 0
	s_lshl_b64 s[26:27], s[24:25], 2
	s_lshl_b32 s53, s52, 5
	v_mov_b32_e32 v48, 1.0
	s_movk_i32 s54, 0x80
	v_lshl_add_u32 v34, s7, 5, v1
	s_branch .LBB3_4
.LBB3_3:                                ;   in Loop: Header=BB3_4 Depth=1
	s_or_b64 exec, exec, s[8:9]
	s_add_i32 s7, s52, s7
	s_cmp_le_i32 s7, s33
	v_add_u32_e32 v34, s53, v34
	s_cbranch_scc0 .LBB3_51
.LBB3_4:                                ; =>This Loop Header: Depth=1
                                        ;     Child Loop BB3_7 Depth 2
	v_lshl_add_u32 v49, s7, 5, v1
	v_ashrrev_i32_e32 v51, 31, v49
	s_andn2_b64 vcc, exec, s[34:35]
	v_mov_b32_e32 v53, 0
	v_mov_b32_e32 v52, 0
	;; [unrolled: 1-line block ×4, first 2 shown]
	s_cbranch_vccnz .LBB3_43
; %bb.5:                                ;   in Loop: Header=BB3_4 Depth=1
	v_mov_b32_e32 v2, s22
	v_ashrrev_i32_e32 v35, 31, v34
	v_mov_b32_e32 v3, s23
	v_mad_u64_u32 v[36:37], s[8:9], s26, v34, v[2:3]
	v_lshlrev_b64 v[2:3], 2, v[34:35]
	v_mul_lo_u32 v4, s27, v34
	v_add_co_u32_e32 v6, vcc, 64, v2
	v_addc_co_u32_e32 v2, vcc, 0, v3, vcc
	v_mul_lo_u32 v7, s24, v2
	v_mov_b32_e32 v2, s20
	v_mov_b32_e32 v3, s21
	v_mul_lo_u32 v5, s26, v35
	v_mul_lo_u32 v8, s25, v6
	v_mad_u64_u32 v[38:39], s[8:9], s24, v6, v[2:3]
	v_mov_b32_e32 v3, s50
	v_sub_co_u32_e32 v2, vcc, s51, v49
	v_subb_co_u32_e32 v3, vcc, v3, v51, vcc
	v_cmp_lt_i64_e64 s[8:9], 0, v[2:3]
	v_cmp_lt_i64_e64 s[10:11], 16, v[2:3]
	v_mov_b32_e32 v41, v19
	v_mov_b32_e32 v43, v29
	v_add3_u32 v37, v4, v37, v5
	v_add3_u32 v39, v8, v39, v7
	s_mov_b64 s[28:29], 0
	v_mov_b32_e32 v35, 0
	v_mov_b32_e32 v40, v18
	v_mov_b32_e32 v42, v28
	v_mov_b32_e32 v50, 0
	v_mov_b32_e32 v52, 0
	v_mov_b32_e32 v53, 0
	s_branch .LBB3_7
.LBB3_6:                                ;   in Loop: Header=BB3_7 Depth=2
	s_or_b64 exec, exec, s[12:13]
	s_waitcnt lgkmcnt(0)
	s_barrier
	ds_read2_b32 v[58:59], v0 offset1:16
	ds_read_b128 v[2:5], v45
	ds_read_b128 v[10:13], v45 offset:16
	ds_read_b128 v[6:9], v45 offset:2048
	ds_read2_b32 v[60:61], v0 offset0:32 offset1:48
	ds_read_b128 v[54:57], v45 offset:2064
	s_waitcnt lgkmcnt(4)
	v_fmac_f32_e32 v53, v58, v2
	v_fmac_f32_e32 v52, v59, v2
	s_waitcnt lgkmcnt(2)
	v_fmac_f32_e32 v50, v58, v6
	v_fmac_f32_e32 v35, v59, v6
	ds_read2_b32 v[58:59], v0 offset0:64 offset1:80
	s_waitcnt lgkmcnt(2)
	v_fmac_f32_e32 v53, v60, v3
	v_fmac_f32_e32 v52, v61, v3
	v_fmac_f32_e32 v50, v60, v7
	v_fmac_f32_e32 v35, v61, v7
	ds_read2_b32 v[2:3], v0 offset0:96 offset1:112
	s_waitcnt lgkmcnt(1)
	v_fmac_f32_e32 v53, v58, v4
	v_fmac_f32_e32 v52, v59, v4
	;; [unrolled: 6-line block ×3, first 2 shown]
	v_fmac_f32_e32 v50, v2, v9
	v_fmac_f32_e32 v35, v3, v9
	ds_read_b128 v[6:9], v45 offset:32
	ds_read_b128 v[2:5], v45 offset:48
	ds_read2_b32 v[60:61], v0 offset0:160 offset1:176
	s_waitcnt lgkmcnt(3)
	v_fmac_f32_e32 v53, v58, v10
	v_fmac_f32_e32 v52, v59, v10
	v_fmac_f32_e32 v50, v58, v54
	v_fmac_f32_e32 v35, v59, v54
	ds_read2_b32 v[58:59], v0 offset0:192 offset1:208
	s_waitcnt lgkmcnt(1)
	v_fmac_f32_e32 v53, v60, v11
	v_fmac_f32_e32 v52, v61, v11
	;; [unrolled: 1-line block ×4, first 2 shown]
	ds_read2_b32 v[54:55], v0 offset0:224 offset1:240
	v_add_u32_e32 v10, 0x400, v0
	s_waitcnt lgkmcnt(1)
	v_fmac_f32_e32 v53, v58, v12
	v_fmac_f32_e32 v52, v59, v12
	;; [unrolled: 1-line block ×4, first 2 shown]
	ds_read2_b32 v[11:12], v10 offset1:16
	ds_read_b128 v[58:61], v45 offset:2080
	ds_read2_b32 v[62:63], v10 offset0:32 offset1:48
	s_waitcnt lgkmcnt(3)
	v_fmac_f32_e32 v53, v54, v13
	v_fmac_f32_e32 v52, v55, v13
	;; [unrolled: 1-line block ×4, first 2 shown]
	s_waitcnt lgkmcnt(2)
	v_fmac_f32_e32 v53, v11, v6
	v_fmac_f32_e32 v52, v12, v6
	ds_read_b128 v[54:57], v45 offset:2096
	s_waitcnt lgkmcnt(2)
	v_fmac_f32_e32 v50, v11, v58
	v_fmac_f32_e32 v35, v12, v58
	ds_read2_b32 v[11:12], v10 offset0:64 offset1:80
	s_waitcnt lgkmcnt(2)
	v_fmac_f32_e32 v53, v62, v7
	v_fmac_f32_e32 v52, v63, v7
	ds_read2_b32 v[6:7], v10 offset0:96 offset1:112
	v_fmac_f32_e32 v50, v62, v59
	v_fmac_f32_e32 v35, v63, v59
	s_waitcnt lgkmcnt(1)
	v_fmac_f32_e32 v53, v11, v8
	v_fmac_f32_e32 v52, v12, v8
	;; [unrolled: 1-line block ×4, first 2 shown]
	ds_read2_b32 v[11:12], v10 offset0:128 offset1:144
	s_waitcnt lgkmcnt(1)
	v_fmac_f32_e32 v53, v6, v9
	v_fmac_f32_e32 v52, v7, v9
	;; [unrolled: 1-line block ×4, first 2 shown]
	ds_read2_b32 v[6:7], v10 offset0:160 offset1:176
	ds_read2_b32 v[8:9], v10 offset0:192 offset1:208
	s_waitcnt lgkmcnt(2)
	v_fmac_f32_e32 v53, v11, v2
	v_fmac_f32_e32 v50, v11, v54
	ds_read2_b32 v[10:11], v10 offset0:224 offset1:240
	v_fmac_f32_e32 v52, v12, v2
	v_fmac_f32_e32 v35, v12, v54
	s_waitcnt lgkmcnt(2)
	v_fmac_f32_e32 v53, v6, v3
	v_fmac_f32_e32 v52, v7, v3
	;; [unrolled: 1-line block ×4, first 2 shown]
	s_waitcnt lgkmcnt(1)
	v_fmac_f32_e32 v53, v8, v4
	v_fmac_f32_e32 v52, v9, v4
	;; [unrolled: 1-line block ×3, first 2 shown]
	v_add_u32_e32 v2, 0x800, v0
	v_fmac_f32_e32 v35, v9, v56
	s_waitcnt lgkmcnt(0)
	v_fmac_f32_e32 v53, v10, v5
	v_fmac_f32_e32 v52, v11, v5
	ds_read_b128 v[3:6], v45 offset:64
	ds_read2_b32 v[12:13], v2 offset1:16
	v_fmac_f32_e32 v50, v10, v57
	ds_read_b128 v[7:10], v45 offset:2112
	v_fmac_f32_e32 v35, v11, v57
	ds_read2_b32 v[62:63], v2 offset0:32 offset1:48
	ds_read_b128 v[54:57], v45 offset:80
	s_waitcnt lgkmcnt(3)
	v_fmac_f32_e32 v53, v12, v3
	v_fmac_f32_e32 v52, v13, v3
	s_waitcnt lgkmcnt(2)
	v_fmac_f32_e32 v50, v12, v7
	ds_read2_b32 v[11:12], v2 offset0:64 offset1:80
	s_waitcnt lgkmcnt(2)
	v_fmac_f32_e32 v53, v62, v4
	v_fmac_f32_e32 v52, v63, v4
	ds_read2_b32 v[3:4], v2 offset0:96 offset1:112
	v_fmac_f32_e32 v35, v13, v7
	v_fmac_f32_e32 v50, v62, v8
	;; [unrolled: 1-line block ×3, first 2 shown]
	ds_read_b128 v[58:61], v45 offset:2128
	s_waitcnt lgkmcnt(2)
	v_fmac_f32_e32 v53, v11, v5
	v_fmac_f32_e32 v52, v12, v5
	;; [unrolled: 1-line block ×4, first 2 shown]
	ds_read2_b32 v[7:8], v2 offset0:128 offset1:144
	s_waitcnt lgkmcnt(2)
	v_fmac_f32_e32 v53, v3, v6
	v_fmac_f32_e32 v52, v4, v6
	;; [unrolled: 1-line block ×4, first 2 shown]
	ds_read2_b32 v[3:4], v2 offset0:160 offset1:176
	ds_read2_b32 v[5:6], v2 offset0:192 offset1:208
	;; [unrolled: 1-line block ×3, first 2 shown]
	s_waitcnt lgkmcnt(3)
	v_fmac_f32_e32 v53, v7, v54
	v_fmac_f32_e32 v50, v7, v58
	;; [unrolled: 1-line block ×4, first 2 shown]
	s_waitcnt lgkmcnt(2)
	v_fmac_f32_e32 v53, v3, v55
	v_fmac_f32_e32 v50, v3, v59
	;; [unrolled: 1-line block ×4, first 2 shown]
	s_waitcnt lgkmcnt(1)
	v_fmac_f32_e32 v53, v5, v56
	v_fmac_f32_e32 v50, v5, v60
	v_add_u32_e32 v2, 0xc00, v0
	v_fmac_f32_e32 v52, v6, v56
	v_fmac_f32_e32 v35, v6, v60
	s_waitcnt lgkmcnt(0)
	v_fmac_f32_e32 v53, v10, v57
	ds_read_b128 v[3:6], v45 offset:96
	ds_read2_b32 v[12:13], v2 offset1:16
	v_fmac_f32_e32 v50, v10, v61
	ds_read_b128 v[7:10], v45 offset:2144
	v_fmac_f32_e32 v52, v11, v57
	ds_read2_b32 v[62:63], v2 offset0:32 offset1:48
	ds_read_b128 v[54:57], v45 offset:112
	v_fmac_f32_e32 v35, v11, v61
	s_waitcnt lgkmcnt(3)
	v_fmac_f32_e32 v53, v12, v3
	v_fmac_f32_e32 v52, v13, v3
	s_waitcnt lgkmcnt(2)
	v_fmac_f32_e32 v50, v12, v7
	ds_read2_b32 v[11:12], v2 offset0:64 offset1:80
	s_waitcnt lgkmcnt(2)
	v_fmac_f32_e32 v53, v62, v4
	v_fmac_f32_e32 v52, v63, v4
	ds_read2_b32 v[3:4], v2 offset0:96 offset1:112
	v_fmac_f32_e32 v35, v13, v7
	v_fmac_f32_e32 v50, v62, v8
	;; [unrolled: 1-line block ×3, first 2 shown]
	ds_read_b128 v[58:61], v45 offset:2160
	s_waitcnt lgkmcnt(2)
	v_fmac_f32_e32 v53, v11, v5
	v_fmac_f32_e32 v52, v12, v5
	;; [unrolled: 1-line block ×4, first 2 shown]
	ds_read2_b32 v[7:8], v2 offset0:128 offset1:144
	s_waitcnt lgkmcnt(2)
	v_fmac_f32_e32 v53, v3, v6
	v_fmac_f32_e32 v52, v4, v6
	;; [unrolled: 1-line block ×4, first 2 shown]
	ds_read2_b32 v[3:4], v2 offset0:160 offset1:176
	s_waitcnt lgkmcnt(1)
	v_fmac_f32_e32 v53, v7, v54
	v_fmac_f32_e32 v50, v7, v58
	ds_read2_b32 v[5:6], v2 offset0:192 offset1:208
	v_add_co_u32_e32 v42, vcc, s42, v42
	s_waitcnt lgkmcnt(1)
	v_fmac_f32_e32 v53, v3, v55
	v_fmac_f32_e32 v50, v3, v59
	ds_read2_b32 v[2:3], v2 offset0:224 offset1:240
	s_waitcnt lgkmcnt(1)
	v_fmac_f32_e32 v53, v5, v56
	v_fmac_f32_e32 v50, v5, v60
	;; [unrolled: 1-line block ×4, first 2 shown]
	s_waitcnt lgkmcnt(0)
	v_fmac_f32_e32 v53, v2, v57
	v_fmac_f32_e32 v50, v2, v61
	v_mov_b32_e32 v2, s43
	v_addc_co_u32_e32 v43, vcc, v43, v2, vcc
	v_add_co_u32_e32 v36, vcc, s54, v36
	v_addc_co_u32_e32 v37, vcc, 0, v37, vcc
	v_add_co_u32_e32 v40, vcc, s42, v40
	v_fmac_f32_e32 v52, v4, v55
	v_fmac_f32_e32 v35, v4, v59
	s_add_u32 s28, s28, 32
	v_addc_co_u32_e32 v41, vcc, v41, v2, vcc
	v_fmac_f32_e32 v52, v6, v56
	v_fmac_f32_e32 v35, v6, v60
	s_addc_u32 s29, s29, 0
	v_add_co_u32_e32 v38, vcc, 0x80, v38
	v_fmac_f32_e32 v52, v3, v57
	v_fmac_f32_e32 v35, v3, v61
	s_cmp_ge_i32 s28, s6
	v_addc_co_u32_e32 v39, vcc, 0, v39, vcc
	s_barrier
	s_cbranch_scc1 .LBB3_43
.LBB3_7:                                ;   Parent Loop BB3_4 Depth=1
                                        ; =>  This Inner Loop Header: Depth=2
	v_mov_b32_e32 v3, s29
	v_add_co_u32_e32 v2, vcc, s28, v14
	v_addc_co_u32_e32 v3, vcc, v15, v3, vcc
	v_add_co_u32_e32 v4, vcc, v40, v32
	v_addc_co_u32_e32 v5, vcc, v41, v33, vcc
	v_cmp_le_i64_e64 s[12:13], s[38:39], v[2:3]
	v_cmp_eq_u64_e64 s[16:17], s[28:29], v[24:25]
	v_cmp_lt_i64_e32 vcc, v[2:3], v[16:17]
	s_and_b64 s[46:47], s[36:37], s[16:17]
	s_or_b64 s[16:17], s[12:13], vcc
	s_or_b64 s[16:17], s[16:17], s[46:47]
	s_nor_b64 s[16:17], s[0:1], s[16:17]
                                        ; implicit-def: $vgpr6
	s_and_saveexec_b64 s[18:19], s[16:17]
	s_xor_b64 s[16:17], exec, s[18:19]
	s_cbranch_execz .LBB3_9
; %bb.8:                                ;   in Loop: Header=BB3_7 Depth=2
	global_load_dword v6, v[4:5], off
.LBB3_9:                                ;   in Loop: Header=BB3_7 Depth=2
	s_andn2_saveexec_b64 s[16:17], s[16:17]
	s_cbranch_execz .LBB3_11
; %bb.10:                               ;   in Loop: Header=BB3_7 Depth=2
	s_waitcnt vmcnt(0)
	v_cndmask_b32_e64 v6, 0, 1.0, s[46:47]
.LBB3_11:                               ;   in Loop: Header=BB3_7 Depth=2
	s_or_b64 exec, exec, s[16:17]
	v_cmp_eq_u64_e64 s[16:17], s[28:29], v[26:27]
	v_cmp_gt_i64_e64 s[18:19], v[20:21], v[2:3]
	s_and_b64 s[16:17], s[36:37], s[16:17]
	s_or_b64 s[12:13], s[12:13], s[18:19]
	s_or_b64 s[12:13], s[12:13], s[16:17]
	s_nor_b64 s[12:13], s[2:3], s[12:13]
	s_waitcnt vmcnt(0)
	ds_write_b32 v44, v6
	s_and_saveexec_b64 s[18:19], s[12:13]
	s_xor_b64 s[12:13], exec, s[18:19]
	s_cbranch_execz .LBB3_13
; %bb.12:                               ;   in Loop: Header=BB3_7 Depth=2
	global_load_dword v4, v[4:5], off offset:64
	s_waitcnt vmcnt(0)
	ds_write_b32 v44, v4 offset:64
.LBB3_13:                               ;   in Loop: Header=BB3_7 Depth=2
	s_andn2_saveexec_b64 s[12:13], s[12:13]
	s_cbranch_execz .LBB3_19
; %bb.14:                               ;   in Loop: Header=BB3_7 Depth=2
	s_xor_b64 s[16:17], s[16:17], -1
	s_and_saveexec_b64 s[18:19], s[16:17]
	s_xor_b64 s[16:17], exec, s[18:19]
; %bb.15:                               ;   in Loop: Header=BB3_7 Depth=2
	ds_write_b32 v44, v47 offset:64
; %bb.16:                               ;   in Loop: Header=BB3_7 Depth=2
	s_andn2_saveexec_b64 s[16:17], s[16:17]
; %bb.17:                               ;   in Loop: Header=BB3_7 Depth=2
	ds_write_b32 v44, v48 offset:64
; %bb.18:                               ;   in Loop: Header=BB3_7 Depth=2
	s_or_b64 exec, exec, s[16:17]
.LBB3_19:                               ;   in Loop: Header=BB3_7 Depth=2
	s_or_b64 exec, exec, s[12:13]
	v_add_co_u32_e64 v4, s[12:13], 16, v2
	v_add_co_u32_e64 v2, s[16:17], v42, v32
	v_addc_co_u32_e64 v5, s[12:13], 0, v3, s[12:13]
	v_addc_co_u32_e64 v3, s[16:17], v43, v33, s[16:17]
	v_cmp_le_i64_e64 s[12:13], s[38:39], v[4:5]
	v_cmp_eq_u64_e64 s[16:17], s[28:29], v[30:31]
	v_cmp_lt_i64_e64 s[18:19], v[4:5], v[16:17]
	s_and_b64 s[16:17], s[36:37], s[16:17]
	s_or_b64 s[18:19], s[12:13], s[18:19]
	s_or_b64 s[18:19], s[18:19], s[16:17]
	s_nor_b64 s[18:19], s[0:1], s[18:19]
                                        ; implicit-def: $vgpr4
	s_and_saveexec_b64 s[56:57], s[18:19]
	s_xor_b64 s[18:19], exec, s[56:57]
	s_cbranch_execz .LBB3_21
; %bb.20:                               ;   in Loop: Header=BB3_7 Depth=2
	global_load_dword v4, v[2:3], off
.LBB3_21:                               ;   in Loop: Header=BB3_7 Depth=2
	s_andn2_saveexec_b64 s[18:19], s[18:19]
	s_cbranch_execz .LBB3_23
; %bb.22:                               ;   in Loop: Header=BB3_7 Depth=2
	s_waitcnt vmcnt(0)
	v_cndmask_b32_e64 v4, 0, 1.0, s[16:17]
.LBB3_23:                               ;   in Loop: Header=BB3_7 Depth=2
	s_or_b64 exec, exec, s[18:19]
	s_or_b64 s[12:13], s[12:13], vcc
	s_or_b64 s[12:13], s[12:13], s[46:47]
	s_nor_b64 s[12:13], s[2:3], s[12:13]
	s_waitcnt vmcnt(0)
	ds_write_b32 v44, v4 offset:2048
	s_and_saveexec_b64 s[16:17], s[12:13]
	s_xor_b64 s[12:13], exec, s[16:17]
	s_cbranch_execz .LBB3_25
; %bb.24:                               ;   in Loop: Header=BB3_7 Depth=2
	global_load_dword v2, v[2:3], off offset:64
	s_waitcnt vmcnt(0)
	ds_write_b32 v44, v2 offset:2112
.LBB3_25:                               ;   in Loop: Header=BB3_7 Depth=2
	s_andn2_saveexec_b64 s[12:13], s[12:13]
	s_cbranch_execz .LBB3_31
; %bb.26:                               ;   in Loop: Header=BB3_7 Depth=2
	s_xor_b64 s[16:17], s[46:47], -1
	s_and_saveexec_b64 s[18:19], s[16:17]
	s_xor_b64 s[16:17], exec, s[18:19]
; %bb.27:                               ;   in Loop: Header=BB3_7 Depth=2
	ds_write_b32 v44, v47 offset:2112
; %bb.28:                               ;   in Loop: Header=BB3_7 Depth=2
	s_andn2_saveexec_b64 s[16:17], s[16:17]
; %bb.29:                               ;   in Loop: Header=BB3_7 Depth=2
	ds_write_b32 v44, v48 offset:2112
; %bb.30:                               ;   in Loop: Header=BB3_7 Depth=2
	s_or_b64 exec, exec, s[16:17]
.LBB3_31:                               ;   in Loop: Header=BB3_7 Depth=2
	s_or_b64 exec, exec, s[12:13]
	v_mov_b32_e32 v2, s29
	v_add_co_u32_e32 v4, vcc, s28, v16
	v_addc_co_u32_e32 v5, vcc, v17, v2, vcc
	v_cmp_gt_i64_e32 vcc, s[38:39], v[4:5]
	v_add_co_u32_e64 v2, s[12:13], v36, v32
	v_addc_co_u32_e64 v3, s[12:13], v37, v33, s[12:13]
	s_and_b64 s[16:17], s[8:9], vcc
	v_mov_b32_e32 v6, 0
	s_and_saveexec_b64 s[12:13], s[16:17]
	s_cbranch_execz .LBB3_33
; %bb.32:                               ;   in Loop: Header=BB3_7 Depth=2
	global_load_dword v6, v[2:3], off offset:-64
.LBB3_33:                               ;   in Loop: Header=BB3_7 Depth=2
	s_or_b64 exec, exec, s[12:13]
	v_cmp_gt_i64_e64 s[12:13], s[44:45], v[4:5]
	s_waitcnt vmcnt(0)
	ds_write_b32 v46, v6
	s_and_b64 s[16:17], s[8:9], s[12:13]
	s_xor_b64 s[16:17], s[16:17], -1
	s_and_saveexec_b64 s[18:19], s[16:17]
	s_xor_b64 s[16:17], exec, s[18:19]
; %bb.34:                               ;   in Loop: Header=BB3_7 Depth=2
	ds_write_b32 v46, v47 offset:64
                                        ; implicit-def: $vgpr2_vgpr3
; %bb.35:                               ;   in Loop: Header=BB3_7 Depth=2
	s_andn2_saveexec_b64 s[16:17], s[16:17]
	s_cbranch_execz .LBB3_37
; %bb.36:                               ;   in Loop: Header=BB3_7 Depth=2
	global_load_dword v2, v[2:3], off
	s_waitcnt vmcnt(0)
	ds_write_b32 v46, v2 offset:64
.LBB3_37:                               ;   in Loop: Header=BB3_7 Depth=2
	s_or_b64 exec, exec, s[16:17]
	v_add_co_u32_e64 v2, s[16:17], v38, v32
	v_addc_co_u32_e64 v3, s[16:17], v39, v33, s[16:17]
	s_and_b64 s[18:19], s[10:11], vcc
	v_mov_b32_e32 v4, 0
	s_and_saveexec_b64 s[16:17], s[18:19]
	s_cbranch_execz .LBB3_39
; %bb.38:                               ;   in Loop: Header=BB3_7 Depth=2
	global_load_dword v4, v[2:3], off
.LBB3_39:                               ;   in Loop: Header=BB3_7 Depth=2
	s_or_b64 exec, exec, s[16:17]
	s_and_b64 s[12:13], s[10:11], s[12:13]
	s_xor_b64 s[12:13], s[12:13], -1
	s_waitcnt vmcnt(0)
	ds_write_b32 v46, v4 offset:2048
	s_and_saveexec_b64 s[16:17], s[12:13]
	s_xor_b64 s[12:13], exec, s[16:17]
; %bb.40:                               ;   in Loop: Header=BB3_7 Depth=2
	ds_write_b32 v46, v47 offset:2112
                                        ; implicit-def: $vgpr2_vgpr3
; %bb.41:                               ;   in Loop: Header=BB3_7 Depth=2
	s_andn2_saveexec_b64 s[12:13], s[12:13]
	s_cbranch_execz .LBB3_6
; %bb.42:                               ;   in Loop: Header=BB3_7 Depth=2
	global_load_dword v2, v[2:3], off offset:64
	s_waitcnt vmcnt(0)
	ds_write_b32 v46, v2 offset:2112
	s_branch .LBB3_6
.LBB3_43:                               ;   in Loop: Header=BB3_4 Depth=1
	v_mul_lo_u32 v4, s41, v49
	v_mul_lo_u32 v5, s40, v51
	v_mad_u64_u32 v[2:3], s[8:9], s40, v49, 0
	v_cmp_gt_i32_e32 vcc, s30, v49
	v_add3_u32 v3, v3, v5, v4
	v_lshlrev_b64 v[2:3], 2, v[2:3]
	v_mov_b32_e32 v4, s49
	v_add_co_u32_e64 v2, s[8:9], s48, v2
	v_addc_co_u32_e64 v3, s[8:9], v4, v3, s[8:9]
	s_and_b64 s[8:9], s[4:5], vcc
	s_and_saveexec_b64 s[10:11], s[8:9]
	s_cbranch_execz .LBB3_45
; %bb.44:                               ;   in Loop: Header=BB3_4 Depth=1
	v_add_co_u32_e64 v4, s[8:9], v2, v32
	v_addc_co_u32_e64 v5, s[8:9], v3, v33, s[8:9]
	global_load_dword v6, v[4:5], off
	s_waitcnt vmcnt(0)
	v_fmac_f32_e32 v6, s31, v53
	global_store_dword v[4:5], v6, off
.LBB3_45:                               ;   in Loop: Header=BB3_4 Depth=1
	s_or_b64 exec, exec, s[10:11]
	s_and_b64 s[10:11], s[14:15], vcc
	s_and_saveexec_b64 s[8:9], s[10:11]
	s_cbranch_execz .LBB3_47
; %bb.46:                               ;   in Loop: Header=BB3_4 Depth=1
	v_lshlrev_b64 v[4:5], 2, v[22:23]
	v_add_co_u32_e32 v2, vcc, v2, v4
	v_addc_co_u32_e32 v3, vcc, v3, v5, vcc
	global_load_dword v4, v[2:3], off
	s_waitcnt vmcnt(0)
	v_fmac_f32_e32 v4, s31, v52
	global_store_dword v[2:3], v4, off
.LBB3_47:                               ;   in Loop: Header=BB3_4 Depth=1
	s_or_b64 exec, exec, s[8:9]
	v_add_u32_e32 v4, 16, v49
	v_ashrrev_i32_e32 v2, 31, v4
	v_mul_lo_u32 v5, s40, v2
	v_mul_lo_u32 v6, s41, v4
	v_mad_u64_u32 v[2:3], s[8:9], s40, v4, 0
	v_cmp_gt_i32_e32 vcc, s30, v4
	v_mov_b32_e32 v4, s49
	v_add3_u32 v3, v3, v5, v6
	v_lshlrev_b64 v[2:3], 2, v[2:3]
	v_add_co_u32_e64 v2, s[8:9], s48, v2
	v_addc_co_u32_e64 v3, s[8:9], v4, v3, s[8:9]
	s_and_b64 s[8:9], s[4:5], vcc
	s_and_saveexec_b64 s[10:11], s[8:9]
	s_cbranch_execz .LBB3_49
; %bb.48:                               ;   in Loop: Header=BB3_4 Depth=1
	v_add_co_u32_e64 v4, s[8:9], v2, v32
	v_addc_co_u32_e64 v5, s[8:9], v3, v33, s[8:9]
	global_load_dword v6, v[4:5], off
	s_waitcnt vmcnt(0)
	v_fmac_f32_e32 v6, s31, v50
	global_store_dword v[4:5], v6, off
.LBB3_49:                               ;   in Loop: Header=BB3_4 Depth=1
	s_or_b64 exec, exec, s[10:11]
	s_and_b64 s[10:11], s[14:15], vcc
	s_and_saveexec_b64 s[8:9], s[10:11]
	s_cbranch_execz .LBB3_3
; %bb.50:                               ;   in Loop: Header=BB3_4 Depth=1
	v_lshlrev_b64 v[4:5], 2, v[22:23]
	v_add_co_u32_e32 v2, vcc, v2, v4
	v_addc_co_u32_e32 v3, vcc, v3, v5, vcc
	global_load_dword v4, v[2:3], off
	s_waitcnt vmcnt(0)
	v_fmac_f32_e32 v4, s31, v35
	global_store_dword v[2:3], v4, off
	s_branch .LBB3_3
.LBB3_51:
	s_endpgm
	.section	.rodata,"a",@progbits
	.p2align	6, 0x0
	.amdhsa_kernel _ZL30rocblas_trmm_outofplace_kernelIfLi32ELi2ELb1ELb1ELb0ELb0EfKffEv17rocblas_diagonal_iiT6_lPT7_lllS4_lllPT8_llli
		.amdhsa_group_segment_fixed_size 8192
		.amdhsa_private_segment_fixed_size 0
		.amdhsa_kernarg_size 384
		.amdhsa_user_sgpr_count 6
		.amdhsa_user_sgpr_private_segment_buffer 1
		.amdhsa_user_sgpr_dispatch_ptr 0
		.amdhsa_user_sgpr_queue_ptr 0
		.amdhsa_user_sgpr_kernarg_segment_ptr 1
		.amdhsa_user_sgpr_dispatch_id 0
		.amdhsa_user_sgpr_flat_scratch_init 0
		.amdhsa_user_sgpr_private_segment_size 0
		.amdhsa_uses_dynamic_stack 0
		.amdhsa_system_sgpr_private_segment_wavefront_offset 0
		.amdhsa_system_sgpr_workgroup_id_x 1
		.amdhsa_system_sgpr_workgroup_id_y 1
		.amdhsa_system_sgpr_workgroup_id_z 1
		.amdhsa_system_sgpr_workgroup_info 0
		.amdhsa_system_vgpr_workitem_id 1
		.amdhsa_next_free_vgpr 64
		.amdhsa_next_free_sgpr 61
		.amdhsa_reserve_vcc 1
		.amdhsa_reserve_flat_scratch 0
		.amdhsa_float_round_mode_32 0
		.amdhsa_float_round_mode_16_64 0
		.amdhsa_float_denorm_mode_32 3
		.amdhsa_float_denorm_mode_16_64 3
		.amdhsa_dx10_clamp 1
		.amdhsa_ieee_mode 1
		.amdhsa_fp16_overflow 0
		.amdhsa_exception_fp_ieee_invalid_op 0
		.amdhsa_exception_fp_denorm_src 0
		.amdhsa_exception_fp_ieee_div_zero 0
		.amdhsa_exception_fp_ieee_overflow 0
		.amdhsa_exception_fp_ieee_underflow 0
		.amdhsa_exception_fp_ieee_inexact 0
		.amdhsa_exception_int_div_zero 0
	.end_amdhsa_kernel
	.section	.text._ZL30rocblas_trmm_outofplace_kernelIfLi32ELi2ELb1ELb1ELb0ELb0EfKffEv17rocblas_diagonal_iiT6_lPT7_lllS4_lllPT8_llli,"axG",@progbits,_ZL30rocblas_trmm_outofplace_kernelIfLi32ELi2ELb1ELb1ELb0ELb0EfKffEv17rocblas_diagonal_iiT6_lPT7_lllS4_lllPT8_llli,comdat
.Lfunc_end3:
	.size	_ZL30rocblas_trmm_outofplace_kernelIfLi32ELi2ELb1ELb1ELb0ELb0EfKffEv17rocblas_diagonal_iiT6_lPT7_lllS4_lllPT8_llli, .Lfunc_end3-_ZL30rocblas_trmm_outofplace_kernelIfLi32ELi2ELb1ELb1ELb0ELb0EfKffEv17rocblas_diagonal_iiT6_lPT7_lllS4_lllPT8_llli
                                        ; -- End function
	.set _ZL30rocblas_trmm_outofplace_kernelIfLi32ELi2ELb1ELb1ELb0ELb0EfKffEv17rocblas_diagonal_iiT6_lPT7_lllS4_lllPT8_llli.num_vgpr, 64
	.set _ZL30rocblas_trmm_outofplace_kernelIfLi32ELi2ELb1ELb1ELb0ELb0EfKffEv17rocblas_diagonal_iiT6_lPT7_lllS4_lllPT8_llli.num_agpr, 0
	.set _ZL30rocblas_trmm_outofplace_kernelIfLi32ELi2ELb1ELb1ELb0ELb0EfKffEv17rocblas_diagonal_iiT6_lPT7_lllS4_lllPT8_llli.numbered_sgpr, 58
	.set _ZL30rocblas_trmm_outofplace_kernelIfLi32ELi2ELb1ELb1ELb0ELb0EfKffEv17rocblas_diagonal_iiT6_lPT7_lllS4_lllPT8_llli.num_named_barrier, 0
	.set _ZL30rocblas_trmm_outofplace_kernelIfLi32ELi2ELb1ELb1ELb0ELb0EfKffEv17rocblas_diagonal_iiT6_lPT7_lllS4_lllPT8_llli.private_seg_size, 0
	.set _ZL30rocblas_trmm_outofplace_kernelIfLi32ELi2ELb1ELb1ELb0ELb0EfKffEv17rocblas_diagonal_iiT6_lPT7_lllS4_lllPT8_llli.uses_vcc, 1
	.set _ZL30rocblas_trmm_outofplace_kernelIfLi32ELi2ELb1ELb1ELb0ELb0EfKffEv17rocblas_diagonal_iiT6_lPT7_lllS4_lllPT8_llli.uses_flat_scratch, 0
	.set _ZL30rocblas_trmm_outofplace_kernelIfLi32ELi2ELb1ELb1ELb0ELb0EfKffEv17rocblas_diagonal_iiT6_lPT7_lllS4_lllPT8_llli.has_dyn_sized_stack, 0
	.set _ZL30rocblas_trmm_outofplace_kernelIfLi32ELi2ELb1ELb1ELb0ELb0EfKffEv17rocblas_diagonal_iiT6_lPT7_lllS4_lllPT8_llli.has_recursion, 0
	.set _ZL30rocblas_trmm_outofplace_kernelIfLi32ELi2ELb1ELb1ELb0ELb0EfKffEv17rocblas_diagonal_iiT6_lPT7_lllS4_lllPT8_llli.has_indirect_call, 0
	.section	.AMDGPU.csdata,"",@progbits
; Kernel info:
; codeLenInByte = 2956
; TotalNumSgprs: 62
; NumVgprs: 64
; ScratchSize: 0
; MemoryBound: 0
; FloatMode: 240
; IeeeMode: 1
; LDSByteSize: 8192 bytes/workgroup (compile time only)
; SGPRBlocks: 8
; VGPRBlocks: 15
; NumSGPRsForWavesPerEU: 65
; NumVGPRsForWavesPerEU: 64
; Occupancy: 4
; WaveLimiterHint : 0
; COMPUTE_PGM_RSRC2:SCRATCH_EN: 0
; COMPUTE_PGM_RSRC2:USER_SGPR: 6
; COMPUTE_PGM_RSRC2:TRAP_HANDLER: 0
; COMPUTE_PGM_RSRC2:TGID_X_EN: 1
; COMPUTE_PGM_RSRC2:TGID_Y_EN: 1
; COMPUTE_PGM_RSRC2:TGID_Z_EN: 1
; COMPUTE_PGM_RSRC2:TIDIG_COMP_CNT: 1
	.section	.text._ZL30rocblas_trmm_outofplace_kernelIfLi32ELi2ELb1ELb0ELb1ELb0EPKfS0_fEv17rocblas_diagonal_iiT6_lPT7_lllS5_lllPT8_llli,"axG",@progbits,_ZL30rocblas_trmm_outofplace_kernelIfLi32ELi2ELb1ELb0ELb1ELb0EPKfS0_fEv17rocblas_diagonal_iiT6_lPT7_lllS5_lllPT8_llli,comdat
	.globl	_ZL30rocblas_trmm_outofplace_kernelIfLi32ELi2ELb1ELb0ELb1ELb0EPKfS0_fEv17rocblas_diagonal_iiT6_lPT7_lllS5_lllPT8_llli ; -- Begin function _ZL30rocblas_trmm_outofplace_kernelIfLi32ELi2ELb1ELb0ELb1ELb0EPKfS0_fEv17rocblas_diagonal_iiT6_lPT7_lllS5_lllPT8_llli
	.p2align	8
	.type	_ZL30rocblas_trmm_outofplace_kernelIfLi32ELi2ELb1ELb0ELb1ELb0EPKfS0_fEv17rocblas_diagonal_iiT6_lPT7_lllS5_lllPT8_llli,@function
_ZL30rocblas_trmm_outofplace_kernelIfLi32ELi2ELb1ELb0ELb1ELb0EPKfS0_fEv17rocblas_diagonal_iiT6_lPT7_lllS5_lllPT8_llli: ; @_ZL30rocblas_trmm_outofplace_kernelIfLi32ELi2ELb1ELb0ELb1ELb0EPKfS0_fEv17rocblas_diagonal_iiT6_lPT7_lllS5_lllPT8_llli
; %bb.0:
	s_load_dwordx16 s[12:27], s[4:5], 0x10
	s_waitcnt lgkmcnt(0)
	s_mul_i32 s0, s15, s8
	s_mul_hi_u32 s1, s14, s8
	s_add_i32 s1, s1, s0
	s_mul_i32 s0, s14, s8
	s_lshl_b64 s[0:1], s[0:1], 2
	s_add_u32 s0, s12, s0
	s_addc_u32 s1, s13, s1
	s_load_dword s33, s[0:1], 0x0
	s_waitcnt lgkmcnt(0)
	v_cmp_eq_f32_e64 s[0:1], s33, 0
	s_and_b64 vcc, exec, s[0:1]
	s_cbranch_vccnz .LBB4_51
; %bb.1:
	s_load_dwordx4 s[28:31], s[4:5], 0x0
	s_waitcnt lgkmcnt(0)
	s_add_i32 s0, s30, -1
	s_ashr_i32 s1, s0, 31
	s_lshr_b32 s1, s1, 27
	s_add_i32 s0, s0, s1
	s_ashr_i32 s31, s0, 5
	s_cmp_gt_i32 s7, s31
	s_cbranch_scc1 .LBB4_51
; %bb.2:
	s_mul_i32 s0, s23, s8
	s_mul_hi_u32 s1, s22, s8
	s_load_dwordx8 s[36:43], s[4:5], 0x50
	s_load_dwordx4 s[44:47], s[4:5], 0x70
	s_add_i32 s1, s1, s0
	s_mul_i32 s0, s22, s8
	s_lshl_b64 s[10:11], s[0:1], 2
	s_add_u32 s0, s16, s10
	s_addc_u32 s1, s17, s11
	s_lshl_b64 s[12:13], s[18:19], 2
	s_add_u32 s2, s0, s12
	s_addc_u32 s3, s1, s13
	s_waitcnt lgkmcnt(0)
	s_mul_i32 s0, s47, s8
	s_mul_hi_u32 s1, s46, s8
	s_add_i32 s1, s1, s0
	s_mul_i32 s0, s46, s8
	s_lshl_b64 s[0:1], s[0:1], 2
	s_load_dword s48, s[4:5], 0x8c
	s_add_u32 s4, s40, s0
	s_addc_u32 s5, s41, s1
	s_lshl_b64 s[0:1], s[42:43], 2
	s_add_u32 s46, s4, s0
	s_addc_u32 s47, s5, s1
	s_lshl_b32 s4, s6, 5
	v_add_u32_e32 v18, s4, v0
	v_ashrrev_i32_e32 v19, 31, v18
	v_mul_lo_u32 v4, s20, v19
	v_mul_lo_u32 v5, s21, v18
	v_mad_u64_u32 v[2:3], s[0:1], s20, v18, 0
	s_sub_i32 s6, s29, s4
	v_add_u32_e32 v20, s4, v1
	v_add3_u32 v3, v3, v4, v5
	v_lshlrev_b64 v[2:3], 2, v[2:3]
	s_cmp_gt_i32 s6, 0
	v_ashrrev_i32_e32 v21, 31, v20
	v_mov_b32_e32 v4, s3
	v_add_co_u32_e32 v5, vcc, s2, v2
	s_cselect_b64 s[22:23], -1, 0
	s_cmpk_eq_i32 s28, 0x84
	v_addc_co_u32_e32 v4, vcc, v4, v3, vcc
	v_lshlrev_b64 v[2:3], 2, v[20:21]
	s_cselect_b64 s[34:35], -1, 0
	s_ashr_i32 s41, s29, 31
	s_ashr_i32 s49, s30, 31
	s_add_u32 s42, s29, -16
	s_mul_i32 s9, s39, s8
	s_mul_hi_u32 s18, s38, s8
	v_add_co_u32_e32 v44, vcc, v5, v2
	s_addc_u32 s43, s41, -1
	s_add_i32 s9, s18, s9
	s_mul_i32 s8, s38, s8
	v_addc_co_u32_e32 v45, vcc, v4, v3, vcc
	s_lshl_b64 s[8:9], s[8:9], 2
	s_lshl_b64 s[18:19], s[26:27], 2
	v_add_co_u32_e32 v22, vcc, 16, v18
	s_add_u32 s8, s8, s18
	v_addc_co_u32_e32 v23, vcc, 0, v19, vcc
	s_addc_u32 s9, s9, s19
	v_sub_co_u32_e32 v26, vcc, v18, v20
	v_lshlrev_b64 v[28:29], 2, v[18:19]
	s_add_u32 s8, s24, s8
	v_lshlrev_b32_e32 v4, 7, v1
	v_lshlrev_b32_e32 v0, 2, v0
	v_subb_co_u32_e32 v27, vcc, v19, v21, vcc
	s_addc_u32 s9, s25, s9
	v_add_u32_e32 v46, v0, v4
	v_add_u32_e32 v47, 0x1000, v4
	v_mov_b32_e32 v4, s9
	v_add_co_u32_e32 v30, vcc, s8, v28
	s_lshl_b64 s[24:25], s[36:37], 2
	s_waitcnt lgkmcnt(0)
	s_lshl_b32 s38, s48, 5
	v_addc_co_u32_e32 v31, vcc, v4, v29, vcc
	s_add_u32 s8, s12, s10
	v_add_co_u32_e32 v6, vcc, 64, v28
	s_addc_u32 s9, s13, s11
	v_mov_b32_e32 v4, s8
	v_addc_co_u32_e32 v7, vcc, 0, v29, vcc
	v_mov_b32_e32 v5, s9
	v_mad_u64_u32 v[4:5], s[8:9], s20, v6, v[4:5]
	v_mul_lo_u32 v7, s20, v7
	v_mul_lo_u32 v6, s21, v6
	v_add_co_u32_e32 v32, vcc, 16, v26
	v_addc_co_u32_e32 v33, vcc, 0, v27, vcc
	v_add_co_u32_e32 v34, vcc, -16, v26
	v_addc_co_u32_e32 v35, vcc, -1, v27, vcc
	v_add3_u32 v5, v6, v5, v7
	v_add_co_u32_e32 v2, vcc, v4, v2
	v_addc_co_u32_e32 v3, vcc, v5, v3, vcc
	v_mov_b32_e32 v4, s17
	v_add_co_u32_e32 v48, vcc, s16, v2
	s_mov_b32 s40, s29
	v_addc_co_u32_e32 v49, vcc, v4, v3, vcc
	v_cmp_le_i64_e64 s[2:3], s[40:41], v[22:23]
	v_add_u32_e32 v24, 16, v18
	v_add_co_u32_e32 v36, vcc, 64, v30
	v_cmp_le_i32_e64 s[0:1], s29, v18
	v_cmp_gt_i32_e64 s[4:5], s29, v18
	v_cmp_gt_i32_e64 s[14:15], s29, v24
	v_ashrrev_i32_e32 v25, 31, v24
	v_addc_co_u32_e32 v37, vcc, 0, v31, vcc
	v_add_u32_e32 v50, v47, v0
	v_mov_b32_e32 v51, 0
	v_mov_b32_e32 v52, 1.0
	v_lshl_add_u32 v38, s7, 5, v1
	s_branch .LBB4_4
.LBB4_3:                                ;   in Loop: Header=BB4_4 Depth=1
	s_or_b64 exec, exec, s[8:9]
	s_add_i32 s7, s48, s7
	s_cmp_le_i32 s7, s31
	v_add_u32_e32 v38, s38, v38
	s_cbranch_scc0 .LBB4_51
.LBB4_4:                                ; =>This Loop Header: Depth=1
                                        ;     Child Loop BB4_7 Depth 2
	v_lshl_add_u32 v53, s7, 5, v1
	v_ashrrev_i32_e32 v56, 31, v53
	s_andn2_b64 vcc, exec, s[22:23]
	v_mov_b32_e32 v57, 0
	v_mov_b32_e32 v55, 0
	v_mov_b32_e32 v54, 0
	v_mov_b32_e32 v39, 0
	s_cbranch_vccnz .LBB4_43
; %bb.5:                                ;   in Loop: Header=BB4_4 Depth=1
	v_ashrrev_i32_e32 v39, 31, v38
	v_lshlrev_b64 v[2:3], 2, v[38:39]
	v_mad_u64_u32 v[40:41], s[8:9], s24, v38, v[36:37]
	v_add_co_u32_e32 v2, vcc, 64, v2
	v_addc_co_u32_e32 v3, vcc, 0, v3, vcc
	v_mul_lo_u32 v3, s36, v3
	v_mul_lo_u32 v6, s37, v2
	v_mad_u64_u32 v[42:43], s[8:9], s36, v2, v[30:31]
	v_mul_lo_u32 v4, s25, v38
	v_mul_lo_u32 v5, s24, v39
	v_add3_u32 v43, v6, v43, v3
	v_mov_b32_e32 v3, s49
	v_sub_co_u32_e32 v2, vcc, s30, v53
	v_subb_co_u32_e32 v3, vcc, v3, v56, vcc
	v_cmp_lt_i64_e32 vcc, 0, v[2:3]
	v_cmp_lt_i64_e64 s[8:9], 16, v[2:3]
	v_add3_u32 v41, v4, v41, v5
	s_mov_b64 s[20:21], 0
	v_mov_b32_e32 v39, 0
	s_mov_b64 s[26:27], 0
	v_mov_b32_e32 v54, 0
	v_mov_b32_e32 v55, 0
	;; [unrolled: 1-line block ×3, first 2 shown]
	s_branch .LBB4_7
.LBB4_6:                                ;   in Loop: Header=BB4_7 Depth=2
	s_or_b64 exec, exec, s[10:11]
	s_waitcnt lgkmcnt(0)
	s_barrier
	ds_read_b128 v[14:17], v47
	ds_read_b128 v[10:13], v47 offset:16
	ds_read_b128 v[6:9], v47 offset:32
	;; [unrolled: 1-line block ×3, first 2 shown]
	ds_read2_b32 v[62:63], v0 offset1:16
	ds_read_b128 v[58:61], v47 offset:2048
	s_add_u32 s26, s26, 32
	s_addc_u32 s27, s27, 0
	s_add_u32 s20, s20, 0x80
	s_waitcnt lgkmcnt(1)
	v_fmac_f32_e32 v57, v62, v14
	v_fmac_f32_e32 v55, v63, v14
	s_waitcnt lgkmcnt(0)
	v_fmac_f32_e32 v54, v62, v58
	v_fmac_f32_e32 v39, v63, v58
	ds_read2_b32 v[62:63], v0 offset0:32 offset1:48
	s_addc_u32 s21, s21, 0
	s_cmp_ge_i32 s26, s6
	s_waitcnt lgkmcnt(0)
	v_fmac_f32_e32 v57, v62, v15
	v_fmac_f32_e32 v55, v63, v15
	ds_read2_b32 v[14:15], v0 offset0:64 offset1:80
	v_fmac_f32_e32 v54, v62, v59
	v_fmac_f32_e32 v39, v63, v59
	ds_read2_b32 v[58:59], v0 offset0:128 offset1:144
	s_waitcnt lgkmcnt(1)
	v_fmac_f32_e32 v57, v14, v16
	v_fmac_f32_e32 v55, v15, v16
	;; [unrolled: 1-line block ×4, first 2 shown]
	ds_read2_b32 v[14:15], v0 offset0:96 offset1:112
	s_waitcnt lgkmcnt(0)
	v_fmac_f32_e32 v57, v14, v17
	v_fmac_f32_e32 v55, v15, v17
	;; [unrolled: 1-line block ×4, first 2 shown]
	ds_read_b128 v[14:17], v47 offset:2064
	v_fmac_f32_e32 v57, v58, v10
	v_fmac_f32_e32 v55, v59, v10
	s_waitcnt lgkmcnt(0)
	v_fmac_f32_e32 v54, v58, v14
	v_fmac_f32_e32 v39, v59, v14
	ds_read2_b32 v[58:59], v0 offset0:160 offset1:176
	s_waitcnt lgkmcnt(0)
	v_fmac_f32_e32 v57, v58, v11
	v_fmac_f32_e32 v55, v59, v11
	ds_read2_b32 v[10:11], v0 offset0:192 offset1:208
	v_fmac_f32_e32 v54, v58, v15
	v_fmac_f32_e32 v39, v59, v15
	s_waitcnt lgkmcnt(0)
	v_fmac_f32_e32 v57, v10, v12
	v_fmac_f32_e32 v55, v11, v12
	;; [unrolled: 1-line block ×4, first 2 shown]
	ds_read2_b32 v[10:11], v0 offset0:224 offset1:240
	s_waitcnt lgkmcnt(0)
	v_fmac_f32_e32 v57, v10, v13
	v_fmac_f32_e32 v54, v10, v17
	v_add_u32_e32 v10, 0x400, v0
	v_fmac_f32_e32 v55, v11, v13
	v_fmac_f32_e32 v39, v11, v17
	ds_read2_b32 v[15:16], v10 offset1:16
	ds_read_b128 v[11:14], v47 offset:2080
	s_waitcnt lgkmcnt(1)
	v_fmac_f32_e32 v57, v15, v6
	v_fmac_f32_e32 v55, v16, v6
	s_waitcnt lgkmcnt(0)
	v_fmac_f32_e32 v54, v15, v11
	v_fmac_f32_e32 v39, v16, v11
	ds_read2_b32 v[15:16], v10 offset0:32 offset1:48
	s_waitcnt lgkmcnt(0)
	v_fmac_f32_e32 v57, v15, v7
	v_fmac_f32_e32 v55, v16, v7
	ds_read2_b32 v[6:7], v10 offset0:64 offset1:80
	v_fmac_f32_e32 v54, v15, v12
	v_fmac_f32_e32 v39, v16, v12
	ds_read2_b32 v[11:12], v10 offset0:128 offset1:144
	s_waitcnt lgkmcnt(1)
	v_fmac_f32_e32 v57, v6, v8
	v_fmac_f32_e32 v55, v7, v8
	;; [unrolled: 1-line block ×4, first 2 shown]
	ds_read2_b32 v[6:7], v10 offset0:96 offset1:112
	s_waitcnt lgkmcnt(0)
	v_fmac_f32_e32 v57, v6, v9
	v_fmac_f32_e32 v55, v7, v9
	;; [unrolled: 1-line block ×4, first 2 shown]
	ds_read_b128 v[6:9], v47 offset:2096
	v_fmac_f32_e32 v57, v11, v2
	v_fmac_f32_e32 v55, v12, v2
	s_waitcnt lgkmcnt(0)
	v_fmac_f32_e32 v54, v11, v6
	v_fmac_f32_e32 v39, v12, v6
	ds_read2_b32 v[11:12], v10 offset0:160 offset1:176
	s_waitcnt lgkmcnt(0)
	v_fmac_f32_e32 v57, v11, v3
	v_fmac_f32_e32 v55, v12, v3
	ds_read2_b32 v[2:3], v10 offset0:192 offset1:208
	v_fmac_f32_e32 v54, v11, v7
	v_fmac_f32_e32 v39, v12, v7
	s_waitcnt lgkmcnt(0)
	v_fmac_f32_e32 v57, v2, v4
	v_fmac_f32_e32 v55, v3, v4
	;; [unrolled: 1-line block ×4, first 2 shown]
	ds_read2_b32 v[2:3], v10 offset0:224 offset1:240
	v_add_u32_e32 v10, 0x800, v0
	ds_read2_b32 v[11:12], v10 offset1:16
	s_waitcnt lgkmcnt(1)
	v_fmac_f32_e32 v57, v2, v5
	v_fmac_f32_e32 v55, v3, v5
	v_fmac_f32_e32 v54, v2, v9
	v_fmac_f32_e32 v39, v3, v9
	ds_read_b128 v[2:5], v47 offset:64
	ds_read_b128 v[6:9], v47 offset:2112
	s_waitcnt lgkmcnt(1)
	v_fmac_f32_e32 v57, v11, v2
	v_fmac_f32_e32 v55, v12, v2
	s_waitcnt lgkmcnt(0)
	v_fmac_f32_e32 v54, v11, v6
	v_fmac_f32_e32 v39, v12, v6
	ds_read2_b32 v[11:12], v10 offset0:32 offset1:48
	s_waitcnt lgkmcnt(0)
	v_fmac_f32_e32 v57, v11, v3
	v_fmac_f32_e32 v55, v12, v3
	ds_read2_b32 v[2:3], v10 offset0:64 offset1:80
	v_fmac_f32_e32 v54, v11, v7
	v_fmac_f32_e32 v39, v12, v7
	s_waitcnt lgkmcnt(0)
	v_fmac_f32_e32 v57, v2, v4
	v_fmac_f32_e32 v55, v3, v4
	v_fmac_f32_e32 v54, v2, v8
	v_fmac_f32_e32 v39, v3, v8
	ds_read2_b32 v[2:3], v10 offset0:96 offset1:112
	s_waitcnt lgkmcnt(0)
	v_fmac_f32_e32 v57, v2, v5
	v_fmac_f32_e32 v55, v3, v5
	;; [unrolled: 1-line block ×4, first 2 shown]
	ds_read_b128 v[2:5], v47 offset:80
	ds_read2_b32 v[11:12], v10 offset0:128 offset1:144
	ds_read_b128 v[6:9], v47 offset:2128
	s_waitcnt lgkmcnt(1)
	v_fmac_f32_e32 v57, v11, v2
	v_fmac_f32_e32 v55, v12, v2
	s_waitcnt lgkmcnt(0)
	v_fmac_f32_e32 v54, v11, v6
	v_fmac_f32_e32 v39, v12, v6
	ds_read2_b32 v[11:12], v10 offset0:160 offset1:176
	s_waitcnt lgkmcnt(0)
	v_fmac_f32_e32 v57, v11, v3
	v_fmac_f32_e32 v55, v12, v3
	ds_read2_b32 v[2:3], v10 offset0:192 offset1:208
	v_fmac_f32_e32 v54, v11, v7
	v_fmac_f32_e32 v39, v12, v7
	s_waitcnt lgkmcnt(0)
	v_fmac_f32_e32 v57, v2, v4
	v_fmac_f32_e32 v55, v3, v4
	;; [unrolled: 1-line block ×4, first 2 shown]
	ds_read2_b32 v[2:3], v10 offset0:224 offset1:240
	v_add_u32_e32 v10, 0xc00, v0
	ds_read2_b32 v[11:12], v10 offset1:16
	s_waitcnt lgkmcnt(1)
	v_fmac_f32_e32 v57, v2, v5
	v_fmac_f32_e32 v55, v3, v5
	;; [unrolled: 1-line block ×4, first 2 shown]
	ds_read_b128 v[2:5], v47 offset:96
	ds_read_b128 v[6:9], v47 offset:2144
	s_waitcnt lgkmcnt(1)
	v_fmac_f32_e32 v57, v11, v2
	v_fmac_f32_e32 v55, v12, v2
	s_waitcnt lgkmcnt(0)
	v_fmac_f32_e32 v54, v11, v6
	v_fmac_f32_e32 v39, v12, v6
	ds_read2_b32 v[11:12], v10 offset0:32 offset1:48
	s_waitcnt lgkmcnt(0)
	v_fmac_f32_e32 v57, v11, v3
	v_fmac_f32_e32 v55, v12, v3
	ds_read2_b32 v[2:3], v10 offset0:64 offset1:80
	v_fmac_f32_e32 v54, v11, v7
	v_fmac_f32_e32 v39, v12, v7
	s_waitcnt lgkmcnt(0)
	v_fmac_f32_e32 v57, v2, v4
	v_fmac_f32_e32 v55, v3, v4
	;; [unrolled: 1-line block ×4, first 2 shown]
	ds_read2_b32 v[2:3], v10 offset0:96 offset1:112
	s_waitcnt lgkmcnt(0)
	v_fmac_f32_e32 v57, v2, v5
	v_fmac_f32_e32 v55, v3, v5
	;; [unrolled: 1-line block ×4, first 2 shown]
	ds_read_b128 v[2:5], v47 offset:112
	ds_read2_b32 v[11:12], v10 offset0:128 offset1:144
	ds_read_b128 v[6:9], v47 offset:2160
	s_waitcnt lgkmcnt(1)
	v_fmac_f32_e32 v57, v11, v2
	v_fmac_f32_e32 v55, v12, v2
	s_waitcnt lgkmcnt(0)
	v_fmac_f32_e32 v54, v11, v6
	v_fmac_f32_e32 v39, v12, v6
	ds_read2_b32 v[11:12], v10 offset0:160 offset1:176
	s_waitcnt lgkmcnt(0)
	v_fmac_f32_e32 v57, v11, v3
	v_fmac_f32_e32 v55, v12, v3
	ds_read2_b32 v[2:3], v10 offset0:192 offset1:208
	v_fmac_f32_e32 v54, v11, v7
	v_fmac_f32_e32 v39, v12, v7
	s_waitcnt lgkmcnt(0)
	v_fmac_f32_e32 v57, v2, v4
	v_fmac_f32_e32 v55, v3, v4
	;; [unrolled: 1-line block ×4, first 2 shown]
	ds_read2_b32 v[2:3], v10 offset0:224 offset1:240
	s_waitcnt lgkmcnt(0)
	s_barrier
	v_fmac_f32_e32 v57, v2, v5
	v_fmac_f32_e32 v55, v3, v5
	;; [unrolled: 1-line block ×4, first 2 shown]
	s_cbranch_scc1 .LBB4_43
.LBB4_7:                                ;   Parent Loop BB4_4 Depth=1
                                        ; =>  This Inner Loop Header: Depth=2
	v_mov_b32_e32 v2, s27
	v_add_co_u32_e64 v4, s[10:11], s26, v20
	v_addc_co_u32_e64 v5, s[10:11], v21, v2, s[10:11]
	v_mov_b32_e32 v3, s21
	v_add_co_u32_e64 v2, s[10:11], s20, v44
	v_addc_co_u32_e64 v3, s[10:11], v45, v3, s[10:11]
	v_cmp_le_i64_e64 s[12:13], s[40:41], v[4:5]
	v_cmp_eq_u64_e64 s[16:17], s[26:27], v[26:27]
	v_cmp_lt_i64_e64 s[10:11], v[4:5], v[18:19]
	s_and_b64 s[28:29], s[34:35], s[16:17]
	s_or_b64 s[16:17], s[12:13], s[10:11]
	s_or_b64 s[16:17], s[16:17], s[28:29]
	s_nor_b64 s[16:17], s[0:1], s[16:17]
                                        ; implicit-def: $vgpr6
	s_and_saveexec_b64 s[18:19], s[16:17]
	s_xor_b64 s[16:17], exec, s[18:19]
	s_cbranch_execz .LBB4_9
; %bb.8:                                ;   in Loop: Header=BB4_7 Depth=2
	global_load_dword v6, v[2:3], off
.LBB4_9:                                ;   in Loop: Header=BB4_7 Depth=2
	s_andn2_saveexec_b64 s[16:17], s[16:17]
	s_cbranch_execz .LBB4_11
; %bb.10:                               ;   in Loop: Header=BB4_7 Depth=2
	s_waitcnt vmcnt(0)
	v_cndmask_b32_e64 v6, 0, 1.0, s[28:29]
.LBB4_11:                               ;   in Loop: Header=BB4_7 Depth=2
	s_or_b64 exec, exec, s[16:17]
	v_cmp_eq_u64_e64 s[16:17], s[26:27], v[32:33]
	v_cmp_gt_i64_e64 s[18:19], v[22:23], v[4:5]
	s_and_b64 s[16:17], s[34:35], s[16:17]
	s_or_b64 s[12:13], s[12:13], s[18:19]
	s_or_b64 s[12:13], s[12:13], s[16:17]
	s_nor_b64 s[12:13], s[2:3], s[12:13]
	s_waitcnt vmcnt(0)
	ds_write_b32 v46, v6
	s_and_saveexec_b64 s[18:19], s[12:13]
	s_xor_b64 s[18:19], exec, s[18:19]
	s_cbranch_execz .LBB4_13
; %bb.12:                               ;   in Loop: Header=BB4_7 Depth=2
	v_mov_b32_e32 v7, s21
	v_add_co_u32_e64 v6, s[12:13], s20, v48
	v_addc_co_u32_e64 v7, s[12:13], v49, v7, s[12:13]
	global_load_dword v6, v[6:7], off
	s_waitcnt vmcnt(0)
	ds_write_b32 v46, v6 offset:64
.LBB4_13:                               ;   in Loop: Header=BB4_7 Depth=2
	s_andn2_saveexec_b64 s[12:13], s[18:19]
	s_cbranch_execz .LBB4_19
; %bb.14:                               ;   in Loop: Header=BB4_7 Depth=2
	s_xor_b64 s[16:17], s[16:17], -1
	s_and_saveexec_b64 s[18:19], s[16:17]
	s_xor_b64 s[16:17], exec, s[18:19]
; %bb.15:                               ;   in Loop: Header=BB4_7 Depth=2
	ds_write_b32 v46, v51 offset:64
; %bb.16:                               ;   in Loop: Header=BB4_7 Depth=2
	s_andn2_saveexec_b64 s[16:17], s[16:17]
; %bb.17:                               ;   in Loop: Header=BB4_7 Depth=2
	ds_write_b32 v46, v52 offset:64
; %bb.18:                               ;   in Loop: Header=BB4_7 Depth=2
	s_or_b64 exec, exec, s[16:17]
.LBB4_19:                               ;   in Loop: Header=BB4_7 Depth=2
	s_or_b64 exec, exec, s[12:13]
	v_add_co_u32_e64 v4, s[12:13], 16, v4
	v_addc_co_u32_e64 v5, s[12:13], 0, v5, s[12:13]
	v_cmp_le_i64_e64 s[12:13], s[40:41], v[4:5]
	v_cmp_eq_u64_e64 s[16:17], s[26:27], v[34:35]
	v_cmp_lt_i64_e64 s[18:19], v[4:5], v[18:19]
	s_and_b64 s[16:17], s[34:35], s[16:17]
	s_or_b64 s[18:19], s[12:13], s[18:19]
	s_or_b64 s[18:19], s[18:19], s[16:17]
	s_nor_b64 s[18:19], s[0:1], s[18:19]
                                        ; implicit-def: $vgpr4
	s_and_saveexec_b64 s[50:51], s[18:19]
	s_xor_b64 s[18:19], exec, s[50:51]
	s_cbranch_execz .LBB4_21
; %bb.20:                               ;   in Loop: Header=BB4_7 Depth=2
	global_load_dword v4, v[2:3], off offset:64
.LBB4_21:                               ;   in Loop: Header=BB4_7 Depth=2
	s_andn2_saveexec_b64 s[18:19], s[18:19]
	s_cbranch_execz .LBB4_23
; %bb.22:                               ;   in Loop: Header=BB4_7 Depth=2
	s_waitcnt vmcnt(0)
	v_cndmask_b32_e64 v4, 0, 1.0, s[16:17]
.LBB4_23:                               ;   in Loop: Header=BB4_7 Depth=2
	s_or_b64 exec, exec, s[18:19]
	s_or_b64 s[10:11], s[12:13], s[10:11]
	s_or_b64 s[10:11], s[10:11], s[28:29]
	s_nor_b64 s[10:11], s[2:3], s[10:11]
	s_waitcnt vmcnt(0)
	ds_write_b32 v46, v4 offset:2048
	s_and_saveexec_b64 s[12:13], s[10:11]
	s_xor_b64 s[12:13], exec, s[12:13]
	s_cbranch_execz .LBB4_25
; %bb.24:                               ;   in Loop: Header=BB4_7 Depth=2
	v_mov_b32_e32 v3, s21
	v_add_co_u32_e64 v2, s[10:11], s20, v48
	v_addc_co_u32_e64 v3, s[10:11], v49, v3, s[10:11]
	global_load_dword v2, v[2:3], off offset:64
	s_waitcnt vmcnt(0)
	ds_write_b32 v46, v2 offset:2112
.LBB4_25:                               ;   in Loop: Header=BB4_7 Depth=2
	s_andn2_saveexec_b64 s[10:11], s[12:13]
	s_cbranch_execz .LBB4_31
; %bb.26:                               ;   in Loop: Header=BB4_7 Depth=2
	s_xor_b64 s[12:13], s[28:29], -1
	s_and_saveexec_b64 s[16:17], s[12:13]
	s_xor_b64 s[12:13], exec, s[16:17]
; %bb.27:                               ;   in Loop: Header=BB4_7 Depth=2
	ds_write_b32 v46, v51 offset:2112
; %bb.28:                               ;   in Loop: Header=BB4_7 Depth=2
	s_andn2_saveexec_b64 s[12:13], s[12:13]
; %bb.29:                               ;   in Loop: Header=BB4_7 Depth=2
	ds_write_b32 v46, v52 offset:2112
; %bb.30:                               ;   in Loop: Header=BB4_7 Depth=2
	s_or_b64 exec, exec, s[12:13]
.LBB4_31:                               ;   in Loop: Header=BB4_7 Depth=2
	s_or_b64 exec, exec, s[10:11]
	v_mov_b32_e32 v2, s27
	v_add_co_u32_e64 v4, s[10:11], s26, v18
	v_addc_co_u32_e64 v5, s[10:11], v19, v2, s[10:11]
	v_cmp_gt_i64_e64 s[10:11], s[40:41], v[4:5]
	v_mov_b32_e32 v3, s21
	v_add_co_u32_e64 v2, s[12:13], s20, v40
	v_addc_co_u32_e64 v3, s[12:13], v41, v3, s[12:13]
	s_and_b64 s[16:17], vcc, s[10:11]
	v_mov_b32_e32 v6, 0
	s_and_saveexec_b64 s[12:13], s[16:17]
	s_cbranch_execz .LBB4_33
; %bb.32:                               ;   in Loop: Header=BB4_7 Depth=2
	global_load_dword v6, v[2:3], off offset:-64
.LBB4_33:                               ;   in Loop: Header=BB4_7 Depth=2
	s_or_b64 exec, exec, s[12:13]
	v_cmp_gt_i64_e64 s[12:13], s[42:43], v[4:5]
	s_waitcnt vmcnt(0)
	ds_write_b32 v50, v6
	s_and_b64 s[16:17], vcc, s[12:13]
	s_xor_b64 s[16:17], s[16:17], -1
	s_and_saveexec_b64 s[18:19], s[16:17]
	s_xor_b64 s[16:17], exec, s[18:19]
; %bb.34:                               ;   in Loop: Header=BB4_7 Depth=2
	ds_write_b32 v50, v51 offset:64
                                        ; implicit-def: $vgpr2_vgpr3
; %bb.35:                               ;   in Loop: Header=BB4_7 Depth=2
	s_andn2_saveexec_b64 s[16:17], s[16:17]
	s_cbranch_execz .LBB4_37
; %bb.36:                               ;   in Loop: Header=BB4_7 Depth=2
	global_load_dword v2, v[2:3], off
	s_waitcnt vmcnt(0)
	ds_write_b32 v50, v2 offset:64
.LBB4_37:                               ;   in Loop: Header=BB4_7 Depth=2
	s_or_b64 exec, exec, s[16:17]
	v_mov_b32_e32 v3, s21
	v_add_co_u32_e64 v2, s[16:17], s20, v42
	v_addc_co_u32_e64 v3, s[16:17], v43, v3, s[16:17]
	s_and_b64 s[16:17], s[8:9], s[10:11]
	v_mov_b32_e32 v4, 0
	s_and_saveexec_b64 s[10:11], s[16:17]
	s_cbranch_execz .LBB4_39
; %bb.38:                               ;   in Loop: Header=BB4_7 Depth=2
	global_load_dword v4, v[2:3], off
.LBB4_39:                               ;   in Loop: Header=BB4_7 Depth=2
	s_or_b64 exec, exec, s[10:11]
	s_and_b64 s[10:11], s[8:9], s[12:13]
	s_xor_b64 s[10:11], s[10:11], -1
	s_waitcnt vmcnt(0)
	ds_write_b32 v50, v4 offset:2048
	s_and_saveexec_b64 s[12:13], s[10:11]
	s_xor_b64 s[10:11], exec, s[12:13]
; %bb.40:                               ;   in Loop: Header=BB4_7 Depth=2
	ds_write_b32 v50, v51 offset:2112
                                        ; implicit-def: $vgpr2_vgpr3
; %bb.41:                               ;   in Loop: Header=BB4_7 Depth=2
	s_andn2_saveexec_b64 s[10:11], s[10:11]
	s_cbranch_execz .LBB4_6
; %bb.42:                               ;   in Loop: Header=BB4_7 Depth=2
	global_load_dword v2, v[2:3], off offset:64
	s_waitcnt vmcnt(0)
	ds_write_b32 v50, v2 offset:2112
	s_branch .LBB4_6
.LBB4_43:                               ;   in Loop: Header=BB4_4 Depth=1
	v_mul_lo_u32 v4, s45, v53
	v_mul_lo_u32 v5, s44, v56
	v_mad_u64_u32 v[2:3], s[8:9], s44, v53, 0
	v_cmp_gt_i32_e32 vcc, s30, v53
	v_add3_u32 v3, v3, v5, v4
	v_lshlrev_b64 v[2:3], 2, v[2:3]
	v_mov_b32_e32 v4, s47
	v_add_co_u32_e64 v2, s[8:9], s46, v2
	v_addc_co_u32_e64 v3, s[8:9], v4, v3, s[8:9]
	s_and_b64 s[8:9], s[4:5], vcc
	s_and_saveexec_b64 s[10:11], s[8:9]
	s_cbranch_execz .LBB4_45
; %bb.44:                               ;   in Loop: Header=BB4_4 Depth=1
	v_add_co_u32_e64 v4, s[8:9], v2, v28
	v_addc_co_u32_e64 v5, s[8:9], v3, v29, s[8:9]
	global_load_dword v6, v[4:5], off
	s_waitcnt vmcnt(0)
	v_fmac_f32_e32 v6, s33, v57
	global_store_dword v[4:5], v6, off
.LBB4_45:                               ;   in Loop: Header=BB4_4 Depth=1
	s_or_b64 exec, exec, s[10:11]
	s_and_b64 s[10:11], s[14:15], vcc
	s_and_saveexec_b64 s[8:9], s[10:11]
	s_cbranch_execz .LBB4_47
; %bb.46:                               ;   in Loop: Header=BB4_4 Depth=1
	v_lshlrev_b64 v[4:5], 2, v[24:25]
	v_add_co_u32_e32 v2, vcc, v2, v4
	v_addc_co_u32_e32 v3, vcc, v3, v5, vcc
	global_load_dword v4, v[2:3], off
	s_waitcnt vmcnt(0)
	v_fmac_f32_e32 v4, s33, v55
	global_store_dword v[2:3], v4, off
.LBB4_47:                               ;   in Loop: Header=BB4_4 Depth=1
	s_or_b64 exec, exec, s[8:9]
	v_add_u32_e32 v4, 16, v53
	v_ashrrev_i32_e32 v2, 31, v4
	v_mul_lo_u32 v5, s44, v2
	v_mul_lo_u32 v6, s45, v4
	v_mad_u64_u32 v[2:3], s[8:9], s44, v4, 0
	v_cmp_gt_i32_e32 vcc, s30, v4
	v_mov_b32_e32 v4, s47
	v_add3_u32 v3, v3, v5, v6
	v_lshlrev_b64 v[2:3], 2, v[2:3]
	v_add_co_u32_e64 v2, s[8:9], s46, v2
	v_addc_co_u32_e64 v3, s[8:9], v4, v3, s[8:9]
	s_and_b64 s[8:9], s[4:5], vcc
	s_and_saveexec_b64 s[10:11], s[8:9]
	s_cbranch_execz .LBB4_49
; %bb.48:                               ;   in Loop: Header=BB4_4 Depth=1
	v_add_co_u32_e64 v4, s[8:9], v2, v28
	v_addc_co_u32_e64 v5, s[8:9], v3, v29, s[8:9]
	global_load_dword v6, v[4:5], off
	s_waitcnt vmcnt(0)
	v_fmac_f32_e32 v6, s33, v54
	global_store_dword v[4:5], v6, off
.LBB4_49:                               ;   in Loop: Header=BB4_4 Depth=1
	s_or_b64 exec, exec, s[10:11]
	s_and_b64 s[10:11], s[14:15], vcc
	s_and_saveexec_b64 s[8:9], s[10:11]
	s_cbranch_execz .LBB4_3
; %bb.50:                               ;   in Loop: Header=BB4_4 Depth=1
	v_lshlrev_b64 v[4:5], 2, v[24:25]
	v_add_co_u32_e32 v2, vcc, v2, v4
	v_addc_co_u32_e32 v3, vcc, v3, v5, vcc
	global_load_dword v4, v[2:3], off
	s_waitcnt vmcnt(0)
	v_fmac_f32_e32 v4, s33, v39
	global_store_dword v[2:3], v4, off
	s_branch .LBB4_3
.LBB4_51:
	s_endpgm
	.section	.rodata,"a",@progbits
	.p2align	6, 0x0
	.amdhsa_kernel _ZL30rocblas_trmm_outofplace_kernelIfLi32ELi2ELb1ELb0ELb1ELb0EPKfS0_fEv17rocblas_diagonal_iiT6_lPT7_lllS5_lllPT8_llli
		.amdhsa_group_segment_fixed_size 8192
		.amdhsa_private_segment_fixed_size 0
		.amdhsa_kernarg_size 392
		.amdhsa_user_sgpr_count 6
		.amdhsa_user_sgpr_private_segment_buffer 1
		.amdhsa_user_sgpr_dispatch_ptr 0
		.amdhsa_user_sgpr_queue_ptr 0
		.amdhsa_user_sgpr_kernarg_segment_ptr 1
		.amdhsa_user_sgpr_dispatch_id 0
		.amdhsa_user_sgpr_flat_scratch_init 0
		.amdhsa_user_sgpr_private_segment_size 0
		.amdhsa_uses_dynamic_stack 0
		.amdhsa_system_sgpr_private_segment_wavefront_offset 0
		.amdhsa_system_sgpr_workgroup_id_x 1
		.amdhsa_system_sgpr_workgroup_id_y 1
		.amdhsa_system_sgpr_workgroup_id_z 1
		.amdhsa_system_sgpr_workgroup_info 0
		.amdhsa_system_vgpr_workitem_id 1
		.amdhsa_next_free_vgpr 64
		.amdhsa_next_free_sgpr 61
		.amdhsa_reserve_vcc 1
		.amdhsa_reserve_flat_scratch 0
		.amdhsa_float_round_mode_32 0
		.amdhsa_float_round_mode_16_64 0
		.amdhsa_float_denorm_mode_32 3
		.amdhsa_float_denorm_mode_16_64 3
		.amdhsa_dx10_clamp 1
		.amdhsa_ieee_mode 1
		.amdhsa_fp16_overflow 0
		.amdhsa_exception_fp_ieee_invalid_op 0
		.amdhsa_exception_fp_denorm_src 0
		.amdhsa_exception_fp_ieee_div_zero 0
		.amdhsa_exception_fp_ieee_overflow 0
		.amdhsa_exception_fp_ieee_underflow 0
		.amdhsa_exception_fp_ieee_inexact 0
		.amdhsa_exception_int_div_zero 0
	.end_amdhsa_kernel
	.section	.text._ZL30rocblas_trmm_outofplace_kernelIfLi32ELi2ELb1ELb0ELb1ELb0EPKfS0_fEv17rocblas_diagonal_iiT6_lPT7_lllS5_lllPT8_llli,"axG",@progbits,_ZL30rocblas_trmm_outofplace_kernelIfLi32ELi2ELb1ELb0ELb1ELb0EPKfS0_fEv17rocblas_diagonal_iiT6_lPT7_lllS5_lllPT8_llli,comdat
.Lfunc_end4:
	.size	_ZL30rocblas_trmm_outofplace_kernelIfLi32ELi2ELb1ELb0ELb1ELb0EPKfS0_fEv17rocblas_diagonal_iiT6_lPT7_lllS5_lllPT8_llli, .Lfunc_end4-_ZL30rocblas_trmm_outofplace_kernelIfLi32ELi2ELb1ELb0ELb1ELb0EPKfS0_fEv17rocblas_diagonal_iiT6_lPT7_lllS5_lllPT8_llli
                                        ; -- End function
	.set _ZL30rocblas_trmm_outofplace_kernelIfLi32ELi2ELb1ELb0ELb1ELb0EPKfS0_fEv17rocblas_diagonal_iiT6_lPT7_lllS5_lllPT8_llli.num_vgpr, 64
	.set _ZL30rocblas_trmm_outofplace_kernelIfLi32ELi2ELb1ELb0ELb1ELb0EPKfS0_fEv17rocblas_diagonal_iiT6_lPT7_lllS5_lllPT8_llli.num_agpr, 0
	.set _ZL30rocblas_trmm_outofplace_kernelIfLi32ELi2ELb1ELb0ELb1ELb0EPKfS0_fEv17rocblas_diagonal_iiT6_lPT7_lllS5_lllPT8_llli.numbered_sgpr, 52
	.set _ZL30rocblas_trmm_outofplace_kernelIfLi32ELi2ELb1ELb0ELb1ELb0EPKfS0_fEv17rocblas_diagonal_iiT6_lPT7_lllS5_lllPT8_llli.num_named_barrier, 0
	.set _ZL30rocblas_trmm_outofplace_kernelIfLi32ELi2ELb1ELb0ELb1ELb0EPKfS0_fEv17rocblas_diagonal_iiT6_lPT7_lllS5_lllPT8_llli.private_seg_size, 0
	.set _ZL30rocblas_trmm_outofplace_kernelIfLi32ELi2ELb1ELb0ELb1ELb0EPKfS0_fEv17rocblas_diagonal_iiT6_lPT7_lllS5_lllPT8_llli.uses_vcc, 1
	.set _ZL30rocblas_trmm_outofplace_kernelIfLi32ELi2ELb1ELb0ELb1ELb0EPKfS0_fEv17rocblas_diagonal_iiT6_lPT7_lllS5_lllPT8_llli.uses_flat_scratch, 0
	.set _ZL30rocblas_trmm_outofplace_kernelIfLi32ELi2ELb1ELb0ELb1ELb0EPKfS0_fEv17rocblas_diagonal_iiT6_lPT7_lllS5_lllPT8_llli.has_dyn_sized_stack, 0
	.set _ZL30rocblas_trmm_outofplace_kernelIfLi32ELi2ELb1ELb0ELb1ELb0EPKfS0_fEv17rocblas_diagonal_iiT6_lPT7_lllS5_lllPT8_llli.has_recursion, 0
	.set _ZL30rocblas_trmm_outofplace_kernelIfLi32ELi2ELb1ELb0ELb1ELb0EPKfS0_fEv17rocblas_diagonal_iiT6_lPT7_lllS5_lllPT8_llli.has_indirect_call, 0
	.section	.AMDGPU.csdata,"",@progbits
; Kernel info:
; codeLenInByte = 3048
; TotalNumSgprs: 56
; NumVgprs: 64
; ScratchSize: 0
; MemoryBound: 0
; FloatMode: 240
; IeeeMode: 1
; LDSByteSize: 8192 bytes/workgroup (compile time only)
; SGPRBlocks: 8
; VGPRBlocks: 15
; NumSGPRsForWavesPerEU: 65
; NumVGPRsForWavesPerEU: 64
; Occupancy: 4
; WaveLimiterHint : 0
; COMPUTE_PGM_RSRC2:SCRATCH_EN: 0
; COMPUTE_PGM_RSRC2:USER_SGPR: 6
; COMPUTE_PGM_RSRC2:TRAP_HANDLER: 0
; COMPUTE_PGM_RSRC2:TGID_X_EN: 1
; COMPUTE_PGM_RSRC2:TGID_Y_EN: 1
; COMPUTE_PGM_RSRC2:TGID_Z_EN: 1
; COMPUTE_PGM_RSRC2:TIDIG_COMP_CNT: 1
	.section	.text._ZL30rocblas_trmm_outofplace_kernelIfLi32ELi2ELb1ELb0ELb1ELb0EfKffEv17rocblas_diagonal_iiT6_lPT7_lllS4_lllPT8_llli,"axG",@progbits,_ZL30rocblas_trmm_outofplace_kernelIfLi32ELi2ELb1ELb0ELb1ELb0EfKffEv17rocblas_diagonal_iiT6_lPT7_lllS4_lllPT8_llli,comdat
	.globl	_ZL30rocblas_trmm_outofplace_kernelIfLi32ELi2ELb1ELb0ELb1ELb0EfKffEv17rocblas_diagonal_iiT6_lPT7_lllS4_lllPT8_llli ; -- Begin function _ZL30rocblas_trmm_outofplace_kernelIfLi32ELi2ELb1ELb0ELb1ELb0EfKffEv17rocblas_diagonal_iiT6_lPT7_lllS4_lllPT8_llli
	.p2align	8
	.type	_ZL30rocblas_trmm_outofplace_kernelIfLi32ELi2ELb1ELb0ELb1ELb0EfKffEv17rocblas_diagonal_iiT6_lPT7_lllS4_lllPT8_llli,@function
_ZL30rocblas_trmm_outofplace_kernelIfLi32ELi2ELb1ELb0ELb1ELb0EfKffEv17rocblas_diagonal_iiT6_lPT7_lllS4_lllPT8_llli: ; @_ZL30rocblas_trmm_outofplace_kernelIfLi32ELi2ELb1ELb0ELb1ELb0EfKffEv17rocblas_diagonal_iiT6_lPT7_lllS4_lllPT8_llli
; %bb.0:
	s_load_dwordx4 s[28:31], s[4:5], 0x0
	s_waitcnt lgkmcnt(0)
	v_cmp_eq_f32_e64 s[0:1], s31, 0
	s_and_b64 vcc, exec, s[0:1]
	s_cbranch_vccnz .LBB5_51
; %bb.1:
	s_add_i32 s0, s30, -1
	s_ashr_i32 s1, s0, 31
	s_lshr_b32 s1, s1, 27
	s_add_i32 s0, s0, s1
	s_ashr_i32 s33, s0, 5
	s_cmp_gt_i32 s7, s33
	s_cbranch_scc1 .LBB5_51
; %bb.2:
	s_load_dwordx16 s[12:27], s[4:5], 0x18
	s_load_dwordx8 s[36:43], s[4:5], 0x58
	s_load_dword s48, s[4:5], 0x84
	s_mov_b32 s47, s30
	v_mov_b32_e32 v51, 0
	s_waitcnt lgkmcnt(0)
	s_mul_i32 s1, s19, s8
	s_mul_hi_u32 s2, s18, s8
	s_mul_i32 s0, s18, s8
	s_add_i32 s1, s2, s1
	s_lshl_b64 s[10:11], s[0:1], 2
	s_add_u32 s0, s12, s10
	s_addc_u32 s1, s13, s11
	s_lshl_b64 s[18:19], s[14:15], 2
	s_add_u32 s2, s0, s18
	s_addc_u32 s3, s1, s19
	s_mul_i32 s0, s43, s8
	s_mul_hi_u32 s1, s42, s8
	s_add_i32 s1, s1, s0
	s_mul_i32 s0, s42, s8
	s_lshl_b64 s[0:1], s[0:1], 2
	s_add_u32 s9, s36, s0
	s_addc_u32 s14, s37, s1
	s_lshl_b64 s[0:1], s[38:39], 2
	s_add_u32 s44, s9, s0
	s_addc_u32 s45, s14, s1
	s_lshl_b32 s6, s6, 5
	v_add_u32_e32 v18, s6, v0
	v_ashrrev_i32_e32 v19, 31, v18
	v_mul_lo_u32 v4, s16, v19
	v_mul_lo_u32 v5, s17, v18
	v_mad_u64_u32 v[2:3], s[0:1], s16, v18, 0
	v_add_u32_e32 v20, s6, v1
	s_sub_i32 s6, s29, s6
	v_add3_u32 v3, v3, v4, v5
	v_lshlrev_b64 v[2:3], 2, v[2:3]
	s_cmp_gt_i32 s6, 0
	v_ashrrev_i32_e32 v21, 31, v20
	v_mov_b32_e32 v4, s3
	v_add_co_u32_e32 v5, vcc, s2, v2
	s_cselect_b64 s[34:35], -1, 0
	s_cmpk_eq_i32 s28, 0x84
	v_addc_co_u32_e32 v4, vcc, v4, v3, vcc
	v_lshlrev_b64 v[2:3], 2, v[20:21]
	s_cselect_b64 s[36:37], -1, 0
	s_ashr_i32 s39, s29, 31
	s_ashr_i32 s46, s30, 31
	s_add_u32 s42, s29, -16
	s_mul_i32 s9, s27, s8
	s_mul_hi_u32 s27, s26, s8
	v_add_co_u32_e32 v44, vcc, v5, v2
	s_addc_u32 s43, s39, -1
	s_add_i32 s9, s27, s9
	s_mul_i32 s8, s26, s8
	v_addc_co_u32_e32 v45, vcc, v4, v3, vcc
	s_lshl_b64 s[8:9], s[8:9], 2
	s_lshl_b64 s[22:23], s[22:23], 2
	v_add_co_u32_e32 v22, vcc, 16, v18
	s_add_u32 s8, s8, s22
	v_addc_co_u32_e32 v23, vcc, 0, v19, vcc
	s_addc_u32 s9, s9, s23
	v_sub_co_u32_e32 v26, vcc, v18, v20
	v_lshlrev_b64 v[28:29], 2, v[18:19]
	s_add_u32 s8, s20, s8
	v_lshlrev_b32_e32 v4, 7, v1
	v_lshlrev_b32_e32 v0, 2, v0
	v_subb_co_u32_e32 v27, vcc, v19, v21, vcc
	s_addc_u32 s9, s21, s9
	v_add_u32_e32 v46, v0, v4
	v_add_u32_e32 v47, 0x1000, v4
	v_mov_b32_e32 v4, s9
	v_add_co_u32_e32 v30, vcc, s8, v28
	s_lshl_b64 s[20:21], s[24:25], 2
	s_lshl_b32 s49, s48, 5
	v_addc_co_u32_e32 v31, vcc, v4, v29, vcc
	s_add_u32 s8, s18, s10
	v_add_co_u32_e32 v6, vcc, 64, v28
	s_addc_u32 s9, s19, s11
	v_mov_b32_e32 v4, s8
	v_addc_co_u32_e32 v7, vcc, 0, v29, vcc
	v_mov_b32_e32 v5, s9
	v_mad_u64_u32 v[4:5], s[8:9], s16, v6, v[4:5]
	v_mul_lo_u32 v7, s16, v7
	v_mul_lo_u32 v6, s17, v6
	v_add_co_u32_e32 v32, vcc, 16, v26
	v_addc_co_u32_e32 v33, vcc, 0, v27, vcc
	v_add_co_u32_e32 v34, vcc, -16, v26
	v_addc_co_u32_e32 v35, vcc, -1, v27, vcc
	v_add3_u32 v5, v6, v5, v7
	v_add_co_u32_e32 v2, vcc, v4, v2
	v_addc_co_u32_e32 v3, vcc, v5, v3, vcc
	v_mov_b32_e32 v4, s13
	v_add_co_u32_e32 v48, vcc, s12, v2
	s_mov_b32 s38, s29
	v_addc_co_u32_e32 v49, vcc, v4, v3, vcc
	v_cmp_le_i64_e64 s[2:3], s[38:39], v[22:23]
	v_add_u32_e32 v24, 16, v18
	v_add_co_u32_e32 v36, vcc, 64, v30
	v_cmp_le_i32_e64 s[0:1], s29, v18
	v_cmp_gt_i32_e64 s[4:5], s29, v18
	v_cmp_gt_i32_e64 s[14:15], s29, v24
	v_ashrrev_i32_e32 v25, 31, v24
	v_addc_co_u32_e32 v37, vcc, 0, v31, vcc
	v_add_u32_e32 v50, v47, v0
	v_mov_b32_e32 v52, 1.0
	v_lshl_add_u32 v38, s7, 5, v1
	s_branch .LBB5_4
.LBB5_3:                                ;   in Loop: Header=BB5_4 Depth=1
	s_or_b64 exec, exec, s[8:9]
	s_add_i32 s7, s48, s7
	s_cmp_le_i32 s7, s33
	v_add_u32_e32 v38, s49, v38
	s_cbranch_scc0 .LBB5_51
.LBB5_4:                                ; =>This Loop Header: Depth=1
                                        ;     Child Loop BB5_7 Depth 2
	v_lshl_add_u32 v53, s7, 5, v1
	v_ashrrev_i32_e32 v56, 31, v53
	s_andn2_b64 vcc, exec, s[34:35]
	v_mov_b32_e32 v57, 0
	v_mov_b32_e32 v55, 0
	v_mov_b32_e32 v54, 0
	v_mov_b32_e32 v39, 0
	s_cbranch_vccnz .LBB5_43
; %bb.5:                                ;   in Loop: Header=BB5_4 Depth=1
	v_ashrrev_i32_e32 v39, 31, v38
	v_lshlrev_b64 v[2:3], 2, v[38:39]
	v_mad_u64_u32 v[40:41], s[8:9], s20, v38, v[36:37]
	v_add_co_u32_e32 v2, vcc, 64, v2
	v_addc_co_u32_e32 v3, vcc, 0, v3, vcc
	v_mul_lo_u32 v3, s24, v3
	v_mul_lo_u32 v6, s25, v2
	v_mad_u64_u32 v[42:43], s[8:9], s24, v2, v[30:31]
	v_mul_lo_u32 v4, s21, v38
	v_mul_lo_u32 v5, s20, v39
	v_add3_u32 v43, v6, v43, v3
	v_mov_b32_e32 v3, s46
	v_sub_co_u32_e32 v2, vcc, s47, v53
	v_subb_co_u32_e32 v3, vcc, v3, v56, vcc
	v_cmp_lt_i64_e32 vcc, 0, v[2:3]
	v_cmp_lt_i64_e64 s[8:9], 16, v[2:3]
	v_add3_u32 v41, v4, v41, v5
	s_mov_b64 s[22:23], 0
	v_mov_b32_e32 v39, 0
	s_mov_b64 s[26:27], 0
	v_mov_b32_e32 v54, 0
	v_mov_b32_e32 v55, 0
	;; [unrolled: 1-line block ×3, first 2 shown]
	s_branch .LBB5_7
.LBB5_6:                                ;   in Loop: Header=BB5_7 Depth=2
	s_or_b64 exec, exec, s[10:11]
	s_waitcnt lgkmcnt(0)
	s_barrier
	ds_read_b128 v[14:17], v47
	ds_read_b128 v[10:13], v47 offset:16
	ds_read_b128 v[6:9], v47 offset:32
	;; [unrolled: 1-line block ×3, first 2 shown]
	ds_read2_b32 v[62:63], v0 offset1:16
	ds_read_b128 v[58:61], v47 offset:2048
	s_add_u32 s26, s26, 32
	s_addc_u32 s27, s27, 0
	s_add_u32 s22, s22, 0x80
	s_waitcnt lgkmcnt(1)
	v_fmac_f32_e32 v57, v62, v14
	v_fmac_f32_e32 v55, v63, v14
	s_waitcnt lgkmcnt(0)
	v_fmac_f32_e32 v54, v62, v58
	v_fmac_f32_e32 v39, v63, v58
	ds_read2_b32 v[62:63], v0 offset0:32 offset1:48
	s_addc_u32 s23, s23, 0
	s_cmp_ge_i32 s26, s6
	s_waitcnt lgkmcnt(0)
	v_fmac_f32_e32 v57, v62, v15
	v_fmac_f32_e32 v55, v63, v15
	ds_read2_b32 v[14:15], v0 offset0:64 offset1:80
	v_fmac_f32_e32 v54, v62, v59
	v_fmac_f32_e32 v39, v63, v59
	ds_read2_b32 v[58:59], v0 offset0:128 offset1:144
	s_waitcnt lgkmcnt(1)
	v_fmac_f32_e32 v57, v14, v16
	v_fmac_f32_e32 v55, v15, v16
	;; [unrolled: 1-line block ×4, first 2 shown]
	ds_read2_b32 v[14:15], v0 offset0:96 offset1:112
	s_waitcnt lgkmcnt(0)
	v_fmac_f32_e32 v57, v14, v17
	v_fmac_f32_e32 v55, v15, v17
	;; [unrolled: 1-line block ×4, first 2 shown]
	ds_read_b128 v[14:17], v47 offset:2064
	v_fmac_f32_e32 v57, v58, v10
	v_fmac_f32_e32 v55, v59, v10
	s_waitcnt lgkmcnt(0)
	v_fmac_f32_e32 v54, v58, v14
	v_fmac_f32_e32 v39, v59, v14
	ds_read2_b32 v[58:59], v0 offset0:160 offset1:176
	s_waitcnt lgkmcnt(0)
	v_fmac_f32_e32 v57, v58, v11
	v_fmac_f32_e32 v55, v59, v11
	ds_read2_b32 v[10:11], v0 offset0:192 offset1:208
	v_fmac_f32_e32 v54, v58, v15
	v_fmac_f32_e32 v39, v59, v15
	s_waitcnt lgkmcnt(0)
	v_fmac_f32_e32 v57, v10, v12
	v_fmac_f32_e32 v55, v11, v12
	;; [unrolled: 1-line block ×4, first 2 shown]
	ds_read2_b32 v[10:11], v0 offset0:224 offset1:240
	s_waitcnt lgkmcnt(0)
	v_fmac_f32_e32 v57, v10, v13
	v_fmac_f32_e32 v54, v10, v17
	v_add_u32_e32 v10, 0x400, v0
	v_fmac_f32_e32 v55, v11, v13
	v_fmac_f32_e32 v39, v11, v17
	ds_read2_b32 v[15:16], v10 offset1:16
	ds_read_b128 v[11:14], v47 offset:2080
	s_waitcnt lgkmcnt(1)
	v_fmac_f32_e32 v57, v15, v6
	v_fmac_f32_e32 v55, v16, v6
	s_waitcnt lgkmcnt(0)
	v_fmac_f32_e32 v54, v15, v11
	v_fmac_f32_e32 v39, v16, v11
	ds_read2_b32 v[15:16], v10 offset0:32 offset1:48
	s_waitcnt lgkmcnt(0)
	v_fmac_f32_e32 v57, v15, v7
	v_fmac_f32_e32 v55, v16, v7
	ds_read2_b32 v[6:7], v10 offset0:64 offset1:80
	v_fmac_f32_e32 v54, v15, v12
	v_fmac_f32_e32 v39, v16, v12
	ds_read2_b32 v[11:12], v10 offset0:128 offset1:144
	s_waitcnt lgkmcnt(1)
	v_fmac_f32_e32 v57, v6, v8
	v_fmac_f32_e32 v55, v7, v8
	;; [unrolled: 1-line block ×4, first 2 shown]
	ds_read2_b32 v[6:7], v10 offset0:96 offset1:112
	s_waitcnt lgkmcnt(0)
	v_fmac_f32_e32 v57, v6, v9
	v_fmac_f32_e32 v55, v7, v9
	;; [unrolled: 1-line block ×4, first 2 shown]
	ds_read_b128 v[6:9], v47 offset:2096
	v_fmac_f32_e32 v57, v11, v2
	v_fmac_f32_e32 v55, v12, v2
	s_waitcnt lgkmcnt(0)
	v_fmac_f32_e32 v54, v11, v6
	v_fmac_f32_e32 v39, v12, v6
	ds_read2_b32 v[11:12], v10 offset0:160 offset1:176
	s_waitcnt lgkmcnt(0)
	v_fmac_f32_e32 v57, v11, v3
	v_fmac_f32_e32 v55, v12, v3
	ds_read2_b32 v[2:3], v10 offset0:192 offset1:208
	v_fmac_f32_e32 v54, v11, v7
	v_fmac_f32_e32 v39, v12, v7
	s_waitcnt lgkmcnt(0)
	v_fmac_f32_e32 v57, v2, v4
	v_fmac_f32_e32 v55, v3, v4
	;; [unrolled: 1-line block ×4, first 2 shown]
	ds_read2_b32 v[2:3], v10 offset0:224 offset1:240
	v_add_u32_e32 v10, 0x800, v0
	ds_read2_b32 v[11:12], v10 offset1:16
	s_waitcnt lgkmcnt(1)
	v_fmac_f32_e32 v57, v2, v5
	v_fmac_f32_e32 v55, v3, v5
	;; [unrolled: 1-line block ×4, first 2 shown]
	ds_read_b128 v[2:5], v47 offset:64
	ds_read_b128 v[6:9], v47 offset:2112
	s_waitcnt lgkmcnt(1)
	v_fmac_f32_e32 v57, v11, v2
	v_fmac_f32_e32 v55, v12, v2
	s_waitcnt lgkmcnt(0)
	v_fmac_f32_e32 v54, v11, v6
	v_fmac_f32_e32 v39, v12, v6
	ds_read2_b32 v[11:12], v10 offset0:32 offset1:48
	s_waitcnt lgkmcnt(0)
	v_fmac_f32_e32 v57, v11, v3
	v_fmac_f32_e32 v55, v12, v3
	ds_read2_b32 v[2:3], v10 offset0:64 offset1:80
	v_fmac_f32_e32 v54, v11, v7
	v_fmac_f32_e32 v39, v12, v7
	s_waitcnt lgkmcnt(0)
	v_fmac_f32_e32 v57, v2, v4
	v_fmac_f32_e32 v55, v3, v4
	;; [unrolled: 1-line block ×4, first 2 shown]
	ds_read2_b32 v[2:3], v10 offset0:96 offset1:112
	s_waitcnt lgkmcnt(0)
	v_fmac_f32_e32 v57, v2, v5
	v_fmac_f32_e32 v55, v3, v5
	;; [unrolled: 1-line block ×4, first 2 shown]
	ds_read_b128 v[2:5], v47 offset:80
	ds_read2_b32 v[11:12], v10 offset0:128 offset1:144
	ds_read_b128 v[6:9], v47 offset:2128
	s_waitcnt lgkmcnt(1)
	v_fmac_f32_e32 v57, v11, v2
	v_fmac_f32_e32 v55, v12, v2
	s_waitcnt lgkmcnt(0)
	v_fmac_f32_e32 v54, v11, v6
	v_fmac_f32_e32 v39, v12, v6
	ds_read2_b32 v[11:12], v10 offset0:160 offset1:176
	s_waitcnt lgkmcnt(0)
	v_fmac_f32_e32 v57, v11, v3
	v_fmac_f32_e32 v55, v12, v3
	ds_read2_b32 v[2:3], v10 offset0:192 offset1:208
	v_fmac_f32_e32 v54, v11, v7
	v_fmac_f32_e32 v39, v12, v7
	s_waitcnt lgkmcnt(0)
	v_fmac_f32_e32 v57, v2, v4
	v_fmac_f32_e32 v55, v3, v4
	;; [unrolled: 1-line block ×4, first 2 shown]
	ds_read2_b32 v[2:3], v10 offset0:224 offset1:240
	v_add_u32_e32 v10, 0xc00, v0
	ds_read2_b32 v[11:12], v10 offset1:16
	s_waitcnt lgkmcnt(1)
	v_fmac_f32_e32 v57, v2, v5
	v_fmac_f32_e32 v55, v3, v5
	;; [unrolled: 1-line block ×4, first 2 shown]
	ds_read_b128 v[2:5], v47 offset:96
	ds_read_b128 v[6:9], v47 offset:2144
	s_waitcnt lgkmcnt(1)
	v_fmac_f32_e32 v57, v11, v2
	v_fmac_f32_e32 v55, v12, v2
	s_waitcnt lgkmcnt(0)
	v_fmac_f32_e32 v54, v11, v6
	v_fmac_f32_e32 v39, v12, v6
	ds_read2_b32 v[11:12], v10 offset0:32 offset1:48
	s_waitcnt lgkmcnt(0)
	v_fmac_f32_e32 v57, v11, v3
	v_fmac_f32_e32 v55, v12, v3
	ds_read2_b32 v[2:3], v10 offset0:64 offset1:80
	v_fmac_f32_e32 v54, v11, v7
	v_fmac_f32_e32 v39, v12, v7
	s_waitcnt lgkmcnt(0)
	v_fmac_f32_e32 v57, v2, v4
	v_fmac_f32_e32 v55, v3, v4
	;; [unrolled: 1-line block ×4, first 2 shown]
	ds_read2_b32 v[2:3], v10 offset0:96 offset1:112
	s_waitcnt lgkmcnt(0)
	v_fmac_f32_e32 v57, v2, v5
	v_fmac_f32_e32 v55, v3, v5
	v_fmac_f32_e32 v54, v2, v9
	v_fmac_f32_e32 v39, v3, v9
	ds_read_b128 v[2:5], v47 offset:112
	ds_read2_b32 v[11:12], v10 offset0:128 offset1:144
	ds_read_b128 v[6:9], v47 offset:2160
	s_waitcnt lgkmcnt(1)
	v_fmac_f32_e32 v57, v11, v2
	v_fmac_f32_e32 v55, v12, v2
	s_waitcnt lgkmcnt(0)
	v_fmac_f32_e32 v54, v11, v6
	v_fmac_f32_e32 v39, v12, v6
	ds_read2_b32 v[11:12], v10 offset0:160 offset1:176
	s_waitcnt lgkmcnt(0)
	v_fmac_f32_e32 v57, v11, v3
	v_fmac_f32_e32 v55, v12, v3
	ds_read2_b32 v[2:3], v10 offset0:192 offset1:208
	v_fmac_f32_e32 v54, v11, v7
	v_fmac_f32_e32 v39, v12, v7
	s_waitcnt lgkmcnt(0)
	v_fmac_f32_e32 v57, v2, v4
	v_fmac_f32_e32 v55, v3, v4
	;; [unrolled: 1-line block ×4, first 2 shown]
	ds_read2_b32 v[2:3], v10 offset0:224 offset1:240
	s_waitcnt lgkmcnt(0)
	s_barrier
	v_fmac_f32_e32 v57, v2, v5
	v_fmac_f32_e32 v55, v3, v5
	;; [unrolled: 1-line block ×4, first 2 shown]
	s_cbranch_scc1 .LBB5_43
.LBB5_7:                                ;   Parent Loop BB5_4 Depth=1
                                        ; =>  This Inner Loop Header: Depth=2
	v_mov_b32_e32 v2, s27
	v_add_co_u32_e64 v4, s[10:11], s26, v20
	v_addc_co_u32_e64 v5, s[10:11], v21, v2, s[10:11]
	v_mov_b32_e32 v3, s23
	v_add_co_u32_e64 v2, s[10:11], s22, v44
	v_addc_co_u32_e64 v3, s[10:11], v45, v3, s[10:11]
	v_cmp_le_i64_e64 s[12:13], s[38:39], v[4:5]
	v_cmp_eq_u64_e64 s[16:17], s[26:27], v[26:27]
	v_cmp_lt_i64_e64 s[10:11], v[4:5], v[18:19]
	s_and_b64 s[28:29], s[36:37], s[16:17]
	s_or_b64 s[16:17], s[12:13], s[10:11]
	s_or_b64 s[16:17], s[16:17], s[28:29]
	s_nor_b64 s[16:17], s[0:1], s[16:17]
                                        ; implicit-def: $vgpr6
	s_and_saveexec_b64 s[18:19], s[16:17]
	s_xor_b64 s[16:17], exec, s[18:19]
	s_cbranch_execz .LBB5_9
; %bb.8:                                ;   in Loop: Header=BB5_7 Depth=2
	global_load_dword v6, v[2:3], off
.LBB5_9:                                ;   in Loop: Header=BB5_7 Depth=2
	s_andn2_saveexec_b64 s[16:17], s[16:17]
	s_cbranch_execz .LBB5_11
; %bb.10:                               ;   in Loop: Header=BB5_7 Depth=2
	s_waitcnt vmcnt(0)
	v_cndmask_b32_e64 v6, 0, 1.0, s[28:29]
.LBB5_11:                               ;   in Loop: Header=BB5_7 Depth=2
	s_or_b64 exec, exec, s[16:17]
	v_cmp_eq_u64_e64 s[16:17], s[26:27], v[32:33]
	v_cmp_gt_i64_e64 s[18:19], v[22:23], v[4:5]
	s_and_b64 s[16:17], s[36:37], s[16:17]
	s_or_b64 s[12:13], s[12:13], s[18:19]
	s_or_b64 s[12:13], s[12:13], s[16:17]
	s_nor_b64 s[12:13], s[2:3], s[12:13]
	s_waitcnt vmcnt(0)
	ds_write_b32 v46, v6
	s_and_saveexec_b64 s[18:19], s[12:13]
	s_xor_b64 s[18:19], exec, s[18:19]
	s_cbranch_execz .LBB5_13
; %bb.12:                               ;   in Loop: Header=BB5_7 Depth=2
	v_mov_b32_e32 v7, s23
	v_add_co_u32_e64 v6, s[12:13], s22, v48
	v_addc_co_u32_e64 v7, s[12:13], v49, v7, s[12:13]
	global_load_dword v6, v[6:7], off
	s_waitcnt vmcnt(0)
	ds_write_b32 v46, v6 offset:64
.LBB5_13:                               ;   in Loop: Header=BB5_7 Depth=2
	s_andn2_saveexec_b64 s[12:13], s[18:19]
	s_cbranch_execz .LBB5_19
; %bb.14:                               ;   in Loop: Header=BB5_7 Depth=2
	s_xor_b64 s[16:17], s[16:17], -1
	s_and_saveexec_b64 s[18:19], s[16:17]
	s_xor_b64 s[16:17], exec, s[18:19]
; %bb.15:                               ;   in Loop: Header=BB5_7 Depth=2
	ds_write_b32 v46, v51 offset:64
; %bb.16:                               ;   in Loop: Header=BB5_7 Depth=2
	s_andn2_saveexec_b64 s[16:17], s[16:17]
; %bb.17:                               ;   in Loop: Header=BB5_7 Depth=2
	ds_write_b32 v46, v52 offset:64
; %bb.18:                               ;   in Loop: Header=BB5_7 Depth=2
	s_or_b64 exec, exec, s[16:17]
.LBB5_19:                               ;   in Loop: Header=BB5_7 Depth=2
	s_or_b64 exec, exec, s[12:13]
	v_add_co_u32_e64 v4, s[12:13], 16, v4
	v_addc_co_u32_e64 v5, s[12:13], 0, v5, s[12:13]
	v_cmp_le_i64_e64 s[12:13], s[38:39], v[4:5]
	v_cmp_eq_u64_e64 s[16:17], s[26:27], v[34:35]
	v_cmp_lt_i64_e64 s[18:19], v[4:5], v[18:19]
	s_and_b64 s[16:17], s[36:37], s[16:17]
	s_or_b64 s[18:19], s[12:13], s[18:19]
	s_or_b64 s[18:19], s[18:19], s[16:17]
	s_nor_b64 s[18:19], s[0:1], s[18:19]
                                        ; implicit-def: $vgpr4
	s_and_saveexec_b64 s[50:51], s[18:19]
	s_xor_b64 s[18:19], exec, s[50:51]
	s_cbranch_execz .LBB5_21
; %bb.20:                               ;   in Loop: Header=BB5_7 Depth=2
	global_load_dword v4, v[2:3], off offset:64
.LBB5_21:                               ;   in Loop: Header=BB5_7 Depth=2
	s_andn2_saveexec_b64 s[18:19], s[18:19]
	s_cbranch_execz .LBB5_23
; %bb.22:                               ;   in Loop: Header=BB5_7 Depth=2
	s_waitcnt vmcnt(0)
	v_cndmask_b32_e64 v4, 0, 1.0, s[16:17]
.LBB5_23:                               ;   in Loop: Header=BB5_7 Depth=2
	s_or_b64 exec, exec, s[18:19]
	s_or_b64 s[10:11], s[12:13], s[10:11]
	s_or_b64 s[10:11], s[10:11], s[28:29]
	s_nor_b64 s[10:11], s[2:3], s[10:11]
	s_waitcnt vmcnt(0)
	ds_write_b32 v46, v4 offset:2048
	s_and_saveexec_b64 s[12:13], s[10:11]
	s_xor_b64 s[12:13], exec, s[12:13]
	s_cbranch_execz .LBB5_25
; %bb.24:                               ;   in Loop: Header=BB5_7 Depth=2
	v_mov_b32_e32 v3, s23
	v_add_co_u32_e64 v2, s[10:11], s22, v48
	v_addc_co_u32_e64 v3, s[10:11], v49, v3, s[10:11]
	global_load_dword v2, v[2:3], off offset:64
	s_waitcnt vmcnt(0)
	ds_write_b32 v46, v2 offset:2112
.LBB5_25:                               ;   in Loop: Header=BB5_7 Depth=2
	s_andn2_saveexec_b64 s[10:11], s[12:13]
	s_cbranch_execz .LBB5_31
; %bb.26:                               ;   in Loop: Header=BB5_7 Depth=2
	s_xor_b64 s[12:13], s[28:29], -1
	s_and_saveexec_b64 s[16:17], s[12:13]
	s_xor_b64 s[12:13], exec, s[16:17]
; %bb.27:                               ;   in Loop: Header=BB5_7 Depth=2
	ds_write_b32 v46, v51 offset:2112
; %bb.28:                               ;   in Loop: Header=BB5_7 Depth=2
	s_andn2_saveexec_b64 s[12:13], s[12:13]
; %bb.29:                               ;   in Loop: Header=BB5_7 Depth=2
	ds_write_b32 v46, v52 offset:2112
; %bb.30:                               ;   in Loop: Header=BB5_7 Depth=2
	s_or_b64 exec, exec, s[12:13]
.LBB5_31:                               ;   in Loop: Header=BB5_7 Depth=2
	s_or_b64 exec, exec, s[10:11]
	v_mov_b32_e32 v2, s27
	v_add_co_u32_e64 v4, s[10:11], s26, v18
	v_addc_co_u32_e64 v5, s[10:11], v19, v2, s[10:11]
	v_cmp_gt_i64_e64 s[10:11], s[38:39], v[4:5]
	v_mov_b32_e32 v3, s23
	v_add_co_u32_e64 v2, s[12:13], s22, v40
	v_addc_co_u32_e64 v3, s[12:13], v41, v3, s[12:13]
	s_and_b64 s[16:17], vcc, s[10:11]
	v_mov_b32_e32 v6, 0
	s_and_saveexec_b64 s[12:13], s[16:17]
	s_cbranch_execz .LBB5_33
; %bb.32:                               ;   in Loop: Header=BB5_7 Depth=2
	global_load_dword v6, v[2:3], off offset:-64
.LBB5_33:                               ;   in Loop: Header=BB5_7 Depth=2
	s_or_b64 exec, exec, s[12:13]
	v_cmp_gt_i64_e64 s[12:13], s[42:43], v[4:5]
	s_waitcnt vmcnt(0)
	ds_write_b32 v50, v6
	s_and_b64 s[16:17], vcc, s[12:13]
	s_xor_b64 s[16:17], s[16:17], -1
	s_and_saveexec_b64 s[18:19], s[16:17]
	s_xor_b64 s[16:17], exec, s[18:19]
; %bb.34:                               ;   in Loop: Header=BB5_7 Depth=2
	ds_write_b32 v50, v51 offset:64
                                        ; implicit-def: $vgpr2_vgpr3
; %bb.35:                               ;   in Loop: Header=BB5_7 Depth=2
	s_andn2_saveexec_b64 s[16:17], s[16:17]
	s_cbranch_execz .LBB5_37
; %bb.36:                               ;   in Loop: Header=BB5_7 Depth=2
	global_load_dword v2, v[2:3], off
	s_waitcnt vmcnt(0)
	ds_write_b32 v50, v2 offset:64
.LBB5_37:                               ;   in Loop: Header=BB5_7 Depth=2
	s_or_b64 exec, exec, s[16:17]
	v_mov_b32_e32 v3, s23
	v_add_co_u32_e64 v2, s[16:17], s22, v42
	v_addc_co_u32_e64 v3, s[16:17], v43, v3, s[16:17]
	s_and_b64 s[16:17], s[8:9], s[10:11]
	v_mov_b32_e32 v4, 0
	s_and_saveexec_b64 s[10:11], s[16:17]
	s_cbranch_execz .LBB5_39
; %bb.38:                               ;   in Loop: Header=BB5_7 Depth=2
	global_load_dword v4, v[2:3], off
.LBB5_39:                               ;   in Loop: Header=BB5_7 Depth=2
	s_or_b64 exec, exec, s[10:11]
	s_and_b64 s[10:11], s[8:9], s[12:13]
	s_xor_b64 s[10:11], s[10:11], -1
	s_waitcnt vmcnt(0)
	ds_write_b32 v50, v4 offset:2048
	s_and_saveexec_b64 s[12:13], s[10:11]
	s_xor_b64 s[10:11], exec, s[12:13]
; %bb.40:                               ;   in Loop: Header=BB5_7 Depth=2
	ds_write_b32 v50, v51 offset:2112
                                        ; implicit-def: $vgpr2_vgpr3
; %bb.41:                               ;   in Loop: Header=BB5_7 Depth=2
	s_andn2_saveexec_b64 s[10:11], s[10:11]
	s_cbranch_execz .LBB5_6
; %bb.42:                               ;   in Loop: Header=BB5_7 Depth=2
	global_load_dword v2, v[2:3], off offset:64
	s_waitcnt vmcnt(0)
	ds_write_b32 v50, v2 offset:2112
	s_branch .LBB5_6
.LBB5_43:                               ;   in Loop: Header=BB5_4 Depth=1
	v_mul_lo_u32 v4, s41, v53
	v_mul_lo_u32 v5, s40, v56
	v_mad_u64_u32 v[2:3], s[8:9], s40, v53, 0
	v_cmp_gt_i32_e32 vcc, s30, v53
	v_add3_u32 v3, v3, v5, v4
	v_lshlrev_b64 v[2:3], 2, v[2:3]
	v_mov_b32_e32 v4, s45
	v_add_co_u32_e64 v2, s[8:9], s44, v2
	v_addc_co_u32_e64 v3, s[8:9], v4, v3, s[8:9]
	s_and_b64 s[8:9], s[4:5], vcc
	s_and_saveexec_b64 s[10:11], s[8:9]
	s_cbranch_execz .LBB5_45
; %bb.44:                               ;   in Loop: Header=BB5_4 Depth=1
	v_add_co_u32_e64 v4, s[8:9], v2, v28
	v_addc_co_u32_e64 v5, s[8:9], v3, v29, s[8:9]
	global_load_dword v6, v[4:5], off
	s_waitcnt vmcnt(0)
	v_fmac_f32_e32 v6, s31, v57
	global_store_dword v[4:5], v6, off
.LBB5_45:                               ;   in Loop: Header=BB5_4 Depth=1
	s_or_b64 exec, exec, s[10:11]
	s_and_b64 s[10:11], s[14:15], vcc
	s_and_saveexec_b64 s[8:9], s[10:11]
	s_cbranch_execz .LBB5_47
; %bb.46:                               ;   in Loop: Header=BB5_4 Depth=1
	v_lshlrev_b64 v[4:5], 2, v[24:25]
	v_add_co_u32_e32 v2, vcc, v2, v4
	v_addc_co_u32_e32 v3, vcc, v3, v5, vcc
	global_load_dword v4, v[2:3], off
	s_waitcnt vmcnt(0)
	v_fmac_f32_e32 v4, s31, v55
	global_store_dword v[2:3], v4, off
.LBB5_47:                               ;   in Loop: Header=BB5_4 Depth=1
	s_or_b64 exec, exec, s[8:9]
	v_add_u32_e32 v4, 16, v53
	v_ashrrev_i32_e32 v2, 31, v4
	v_mul_lo_u32 v5, s40, v2
	v_mul_lo_u32 v6, s41, v4
	v_mad_u64_u32 v[2:3], s[8:9], s40, v4, 0
	v_cmp_gt_i32_e32 vcc, s30, v4
	v_mov_b32_e32 v4, s45
	v_add3_u32 v3, v3, v5, v6
	v_lshlrev_b64 v[2:3], 2, v[2:3]
	v_add_co_u32_e64 v2, s[8:9], s44, v2
	v_addc_co_u32_e64 v3, s[8:9], v4, v3, s[8:9]
	s_and_b64 s[8:9], s[4:5], vcc
	s_and_saveexec_b64 s[10:11], s[8:9]
	s_cbranch_execz .LBB5_49
; %bb.48:                               ;   in Loop: Header=BB5_4 Depth=1
	v_add_co_u32_e64 v4, s[8:9], v2, v28
	v_addc_co_u32_e64 v5, s[8:9], v3, v29, s[8:9]
	global_load_dword v6, v[4:5], off
	s_waitcnt vmcnt(0)
	v_fmac_f32_e32 v6, s31, v54
	global_store_dword v[4:5], v6, off
.LBB5_49:                               ;   in Loop: Header=BB5_4 Depth=1
	s_or_b64 exec, exec, s[10:11]
	s_and_b64 s[10:11], s[14:15], vcc
	s_and_saveexec_b64 s[8:9], s[10:11]
	s_cbranch_execz .LBB5_3
; %bb.50:                               ;   in Loop: Header=BB5_4 Depth=1
	v_lshlrev_b64 v[4:5], 2, v[24:25]
	v_add_co_u32_e32 v2, vcc, v2, v4
	v_addc_co_u32_e32 v3, vcc, v3, v5, vcc
	global_load_dword v4, v[2:3], off
	s_waitcnt vmcnt(0)
	v_fmac_f32_e32 v4, s31, v39
	global_store_dword v[2:3], v4, off
	s_branch .LBB5_3
.LBB5_51:
	s_endpgm
	.section	.rodata,"a",@progbits
	.p2align	6, 0x0
	.amdhsa_kernel _ZL30rocblas_trmm_outofplace_kernelIfLi32ELi2ELb1ELb0ELb1ELb0EfKffEv17rocblas_diagonal_iiT6_lPT7_lllS4_lllPT8_llli
		.amdhsa_group_segment_fixed_size 8192
		.amdhsa_private_segment_fixed_size 0
		.amdhsa_kernarg_size 384
		.amdhsa_user_sgpr_count 6
		.amdhsa_user_sgpr_private_segment_buffer 1
		.amdhsa_user_sgpr_dispatch_ptr 0
		.amdhsa_user_sgpr_queue_ptr 0
		.amdhsa_user_sgpr_kernarg_segment_ptr 1
		.amdhsa_user_sgpr_dispatch_id 0
		.amdhsa_user_sgpr_flat_scratch_init 0
		.amdhsa_user_sgpr_private_segment_size 0
		.amdhsa_uses_dynamic_stack 0
		.amdhsa_system_sgpr_private_segment_wavefront_offset 0
		.amdhsa_system_sgpr_workgroup_id_x 1
		.amdhsa_system_sgpr_workgroup_id_y 1
		.amdhsa_system_sgpr_workgroup_id_z 1
		.amdhsa_system_sgpr_workgroup_info 0
		.amdhsa_system_vgpr_workitem_id 1
		.amdhsa_next_free_vgpr 64
		.amdhsa_next_free_sgpr 61
		.amdhsa_reserve_vcc 1
		.amdhsa_reserve_flat_scratch 0
		.amdhsa_float_round_mode_32 0
		.amdhsa_float_round_mode_16_64 0
		.amdhsa_float_denorm_mode_32 3
		.amdhsa_float_denorm_mode_16_64 3
		.amdhsa_dx10_clamp 1
		.amdhsa_ieee_mode 1
		.amdhsa_fp16_overflow 0
		.amdhsa_exception_fp_ieee_invalid_op 0
		.amdhsa_exception_fp_denorm_src 0
		.amdhsa_exception_fp_ieee_div_zero 0
		.amdhsa_exception_fp_ieee_overflow 0
		.amdhsa_exception_fp_ieee_underflow 0
		.amdhsa_exception_fp_ieee_inexact 0
		.amdhsa_exception_int_div_zero 0
	.end_amdhsa_kernel
	.section	.text._ZL30rocblas_trmm_outofplace_kernelIfLi32ELi2ELb1ELb0ELb1ELb0EfKffEv17rocblas_diagonal_iiT6_lPT7_lllS4_lllPT8_llli,"axG",@progbits,_ZL30rocblas_trmm_outofplace_kernelIfLi32ELi2ELb1ELb0ELb1ELb0EfKffEv17rocblas_diagonal_iiT6_lPT7_lllS4_lllPT8_llli,comdat
.Lfunc_end5:
	.size	_ZL30rocblas_trmm_outofplace_kernelIfLi32ELi2ELb1ELb0ELb1ELb0EfKffEv17rocblas_diagonal_iiT6_lPT7_lllS4_lllPT8_llli, .Lfunc_end5-_ZL30rocblas_trmm_outofplace_kernelIfLi32ELi2ELb1ELb0ELb1ELb0EfKffEv17rocblas_diagonal_iiT6_lPT7_lllS4_lllPT8_llli
                                        ; -- End function
	.set _ZL30rocblas_trmm_outofplace_kernelIfLi32ELi2ELb1ELb0ELb1ELb0EfKffEv17rocblas_diagonal_iiT6_lPT7_lllS4_lllPT8_llli.num_vgpr, 64
	.set _ZL30rocblas_trmm_outofplace_kernelIfLi32ELi2ELb1ELb0ELb1ELb0EfKffEv17rocblas_diagonal_iiT6_lPT7_lllS4_lllPT8_llli.num_agpr, 0
	.set _ZL30rocblas_trmm_outofplace_kernelIfLi32ELi2ELb1ELb0ELb1ELb0EfKffEv17rocblas_diagonal_iiT6_lPT7_lllS4_lllPT8_llli.numbered_sgpr, 52
	.set _ZL30rocblas_trmm_outofplace_kernelIfLi32ELi2ELb1ELb0ELb1ELb0EfKffEv17rocblas_diagonal_iiT6_lPT7_lllS4_lllPT8_llli.num_named_barrier, 0
	.set _ZL30rocblas_trmm_outofplace_kernelIfLi32ELi2ELb1ELb0ELb1ELb0EfKffEv17rocblas_diagonal_iiT6_lPT7_lllS4_lllPT8_llli.private_seg_size, 0
	.set _ZL30rocblas_trmm_outofplace_kernelIfLi32ELi2ELb1ELb0ELb1ELb0EfKffEv17rocblas_diagonal_iiT6_lPT7_lllS4_lllPT8_llli.uses_vcc, 1
	.set _ZL30rocblas_trmm_outofplace_kernelIfLi32ELi2ELb1ELb0ELb1ELb0EfKffEv17rocblas_diagonal_iiT6_lPT7_lllS4_lllPT8_llli.uses_flat_scratch, 0
	.set _ZL30rocblas_trmm_outofplace_kernelIfLi32ELi2ELb1ELb0ELb1ELb0EfKffEv17rocblas_diagonal_iiT6_lPT7_lllS4_lllPT8_llli.has_dyn_sized_stack, 0
	.set _ZL30rocblas_trmm_outofplace_kernelIfLi32ELi2ELb1ELb0ELb1ELb0EfKffEv17rocblas_diagonal_iiT6_lPT7_lllS4_lllPT8_llli.has_recursion, 0
	.set _ZL30rocblas_trmm_outofplace_kernelIfLi32ELi2ELb1ELb0ELb1ELb0EfKffEv17rocblas_diagonal_iiT6_lPT7_lllS4_lllPT8_llli.has_indirect_call, 0
	.section	.AMDGPU.csdata,"",@progbits
; Kernel info:
; codeLenInByte = 2996
; TotalNumSgprs: 56
; NumVgprs: 64
; ScratchSize: 0
; MemoryBound: 0
; FloatMode: 240
; IeeeMode: 1
; LDSByteSize: 8192 bytes/workgroup (compile time only)
; SGPRBlocks: 8
; VGPRBlocks: 15
; NumSGPRsForWavesPerEU: 65
; NumVGPRsForWavesPerEU: 64
; Occupancy: 4
; WaveLimiterHint : 0
; COMPUTE_PGM_RSRC2:SCRATCH_EN: 0
; COMPUTE_PGM_RSRC2:USER_SGPR: 6
; COMPUTE_PGM_RSRC2:TRAP_HANDLER: 0
; COMPUTE_PGM_RSRC2:TGID_X_EN: 1
; COMPUTE_PGM_RSRC2:TGID_Y_EN: 1
; COMPUTE_PGM_RSRC2:TGID_Z_EN: 1
; COMPUTE_PGM_RSRC2:TIDIG_COMP_CNT: 1
	.section	.text._ZL30rocblas_trmm_outofplace_kernelIfLi32ELi2ELb1ELb1ELb1ELb0EPKfS0_fEv17rocblas_diagonal_iiT6_lPT7_lllS5_lllPT8_llli,"axG",@progbits,_ZL30rocblas_trmm_outofplace_kernelIfLi32ELi2ELb1ELb1ELb1ELb0EPKfS0_fEv17rocblas_diagonal_iiT6_lPT7_lllS5_lllPT8_llli,comdat
	.globl	_ZL30rocblas_trmm_outofplace_kernelIfLi32ELi2ELb1ELb1ELb1ELb0EPKfS0_fEv17rocblas_diagonal_iiT6_lPT7_lllS5_lllPT8_llli ; -- Begin function _ZL30rocblas_trmm_outofplace_kernelIfLi32ELi2ELb1ELb1ELb1ELb0EPKfS0_fEv17rocblas_diagonal_iiT6_lPT7_lllS5_lllPT8_llli
	.p2align	8
	.type	_ZL30rocblas_trmm_outofplace_kernelIfLi32ELi2ELb1ELb1ELb1ELb0EPKfS0_fEv17rocblas_diagonal_iiT6_lPT7_lllS5_lllPT8_llli,@function
_ZL30rocblas_trmm_outofplace_kernelIfLi32ELi2ELb1ELb1ELb1ELb0EPKfS0_fEv17rocblas_diagonal_iiT6_lPT7_lllS5_lllPT8_llli: ; @_ZL30rocblas_trmm_outofplace_kernelIfLi32ELi2ELb1ELb1ELb1ELb0EPKfS0_fEv17rocblas_diagonal_iiT6_lPT7_lllS5_lllPT8_llli
; %bb.0:
	s_load_dwordx16 s[12:27], s[4:5], 0x10
	s_waitcnt lgkmcnt(0)
	s_mul_i32 s0, s15, s8
	s_mul_hi_u32 s1, s14, s8
	s_add_i32 s1, s1, s0
	s_mul_i32 s0, s14, s8
	s_lshl_b64 s[0:1], s[0:1], 2
	s_add_u32 s0, s12, s0
	s_addc_u32 s1, s13, s1
	s_load_dword s33, s[0:1], 0x0
	s_waitcnt lgkmcnt(0)
	v_cmp_eq_f32_e64 s[0:1], s33, 0
	s_and_b64 vcc, exec, s[0:1]
	s_cbranch_vccnz .LBB6_51
; %bb.1:
	s_load_dwordx4 s[28:31], s[4:5], 0x0
	s_waitcnt lgkmcnt(0)
	s_add_i32 s0, s30, -1
	s_ashr_i32 s1, s0, 31
	s_lshr_b32 s1, s1, 27
	s_add_i32 s0, s0, s1
	s_ashr_i32 s31, s0, 5
	s_cmp_gt_i32 s7, s31
	s_cbranch_scc1 .LBB6_51
; %bb.2:
	s_mul_i32 s0, s23, s8
	s_mul_hi_u32 s1, s22, s8
	s_load_dwordx8 s[36:43], s[4:5], 0x50
	s_load_dwordx4 s[44:47], s[4:5], 0x70
	s_add_i32 s1, s1, s0
	s_mul_i32 s0, s22, s8
	s_lshl_b64 s[10:11], s[0:1], 2
	s_add_u32 s0, s16, s10
	s_addc_u32 s1, s17, s11
	s_lshl_b64 s[12:13], s[18:19], 2
	s_add_u32 s2, s0, s12
	s_addc_u32 s3, s1, s13
	s_waitcnt lgkmcnt(0)
	s_mul_i32 s0, s47, s8
	s_mul_hi_u32 s1, s46, s8
	s_add_i32 s1, s1, s0
	s_mul_i32 s0, s46, s8
	s_lshl_b64 s[0:1], s[0:1], 2
	s_load_dword s48, s[4:5], 0x8c
	s_add_u32 s4, s40, s0
	s_addc_u32 s5, s41, s1
	s_lshl_b64 s[0:1], s[42:43], 2
	s_add_u32 s46, s4, s0
	s_addc_u32 s47, s5, s1
	s_lshl_b32 s49, s6, 5
	v_add_u32_e32 v18, s49, v0
	v_ashrrev_i32_e32 v19, 31, v18
	v_mul_lo_u32 v4, s20, v19
	v_mul_lo_u32 v5, s21, v18
	v_mad_u64_u32 v[2:3], s[0:1], s20, v18, 0
	s_cmp_gt_i32 s6, -1
	s_cselect_b64 s[22:23], -1, 0
	v_add3_u32 v3, v3, v4, v5
	v_lshlrev_b64 v[2:3], 2, v[2:3]
	v_mov_b32_e32 v4, s3
	v_add_co_u32_e32 v2, vcc, s2, v2
	s_cmpk_eq_i32 s28, 0x84
	v_addc_co_u32_e32 v3, vcc, v4, v3, vcc
	v_lshlrev_b32_e32 v6, 2, v1
	s_cselect_b64 s[34:35], -1, 0
	s_ashr_i32 s41, s29, 31
	s_ashr_i32 s6, s30, 31
	v_add_co_u32_e32 v43, vcc, v2, v6
	s_add_u32 s42, s29, -16
	s_mul_i32 s9, s39, s8
	s_mul_hi_u32 s18, s38, s8
	v_addc_co_u32_e32 v44, vcc, 0, v3, vcc
	s_addc_u32 s43, s41, -1
	s_add_i32 s9, s18, s9
	s_mul_i32 s8, s38, s8
	v_add_co_u32_e32 v20, vcc, 16, v18
	s_lshl_b64 s[8:9], s[8:9], 2
	s_lshl_b64 s[18:19], s[26:27], 2
	v_addc_co_u32_e32 v21, vcc, 0, v19, vcc
	s_add_u32 s8, s8, s18
	v_sub_co_u32_e32 v22, vcc, v18, v1
	s_addc_u32 s9, s9, s19
	v_subbrev_co_u32_e32 v23, vcc, 0, v19, vcc
	s_add_u32 s18, s24, s8
	v_add_co_u32_e32 v24, vcc, 16, v22
	s_addc_u32 s8, s25, s9
	s_lshl_b64 s[24:25], s[36:37], 2
	s_waitcnt lgkmcnt(0)
	s_lshl_b32 s38, s48, 5
	v_lshlrev_b64 v[26:27], 2, v[18:19]
	v_addc_co_u32_e32 v25, vcc, 0, v23, vcc
	v_mov_b32_e32 v7, s8
	s_add_u32 s8, s12, s10
	v_add_co_u32_e32 v8, vcc, 64, v26
	s_addc_u32 s9, s13, s11
	v_mov_b32_e32 v4, s8
	v_lshlrev_b32_e32 v45, 2, v0
	v_addc_co_u32_e32 v9, vcc, 0, v27, vcc
	v_mov_b32_e32 v5, s9
	v_mad_u64_u32 v[4:5], s[8:9], s20, v8, v[4:5]
	v_mul_lo_u32 v9, s20, v9
	v_mul_lo_u32 v8, s21, v8
	v_add_co_u32_e32 v28, vcc, s18, v45
	v_addc_co_u32_e32 v29, vcc, 0, v7, vcc
	v_add_co_u32_e32 v30, vcc, -16, v22
	v_addc_co_u32_e32 v31, vcc, -1, v23, vcc
	v_add3_u32 v5, v8, v5, v9
	v_add_co_u32_e32 v4, vcc, v4, v6
	v_lshlrev_b32_e32 v2, 7, v1
	v_addc_co_u32_e32 v5, vcc, 0, v5, vcc
	v_add_u32_e32 v46, v45, v2
	v_add_u32_e32 v47, 0x1000, v2
	;; [unrolled: 1-line block ×3, first 2 shown]
	v_mov_b32_e32 v6, s17
	v_add_co_u32_e32 v48, vcc, s16, v4
	s_mov_b32 s40, s29
	v_ashrrev_i32_e32 v3, 31, v2
	v_addc_co_u32_e32 v49, vcc, v6, v5, vcc
	v_cmp_le_i64_e64 s[2:3], s[40:41], v[20:21]
	v_add_co_u32_e32 v32, vcc, 64, v28
	v_lshlrev_b64 v[34:35], 2, v[2:3]
	v_mov_b32_e32 v42, 0
	v_cmp_le_i32_e64 s[0:1], s29, v18
	v_cmp_gt_i32_e64 s[4:5], s29, v18
	v_cmp_gt_i32_e64 s[14:15], s29, v2
	v_addc_co_u32_e32 v33, vcc, 0, v29, vcc
	v_add_u32_e32 v50, v47, v45
	v_mov_b32_e32 v51, 1.0
	v_lshl_add_u32 v36, s7, 5, v1
	s_branch .LBB6_4
.LBB6_3:                                ;   in Loop: Header=BB6_4 Depth=1
	s_or_b64 exec, exec, s[8:9]
	s_add_i32 s7, s48, s7
	s_cmp_le_i32 s7, s31
	v_add_u32_e32 v36, s38, v36
	s_cbranch_scc0 .LBB6_51
.LBB6_4:                                ; =>This Loop Header: Depth=1
                                        ;     Child Loop BB6_7 Depth 2
	v_lshl_add_u32 v52, s7, 5, v1
	v_ashrrev_i32_e32 v55, 31, v52
	s_andn2_b64 vcc, exec, s[22:23]
	v_mov_b32_e32 v56, 0
	v_mov_b32_e32 v54, 0
	;; [unrolled: 1-line block ×4, first 2 shown]
	s_cbranch_vccnz .LBB6_43
; %bb.5:                                ;   in Loop: Header=BB6_4 Depth=1
	v_ashrrev_i32_e32 v37, 31, v36
	v_lshlrev_b64 v[2:3], 2, v[36:37]
	v_mad_u64_u32 v[38:39], s[8:9], s24, v36, v[32:33]
	v_add_co_u32_e32 v2, vcc, 64, v2
	v_addc_co_u32_e32 v3, vcc, 0, v3, vcc
	v_mul_lo_u32 v3, s36, v3
	v_mul_lo_u32 v6, s37, v2
	v_mad_u64_u32 v[40:41], s[8:9], s36, v2, v[28:29]
	v_mul_lo_u32 v4, s25, v36
	v_mul_lo_u32 v5, s24, v37
	v_add3_u32 v41, v6, v41, v3
	v_mov_b32_e32 v3, s6
	v_sub_co_u32_e32 v2, vcc, s30, v52
	v_subb_co_u32_e32 v3, vcc, v3, v55, vcc
	v_cmp_lt_i64_e32 vcc, 0, v[2:3]
	v_cmp_lt_i64_e64 s[8:9], 16, v[2:3]
	v_add3_u32 v39, v4, v39, v5
	s_mov_b64 s[20:21], 0
	v_mov_b32_e32 v37, 0
	s_mov_b64 s[26:27], 0
	v_mov_b32_e32 v53, 0
	v_mov_b32_e32 v54, 0
	;; [unrolled: 1-line block ×3, first 2 shown]
	s_branch .LBB6_7
.LBB6_6:                                ;   in Loop: Header=BB6_7 Depth=2
	s_or_b64 exec, exec, s[10:11]
	s_waitcnt lgkmcnt(0)
	s_barrier
	ds_read_b128 v[14:17], v47
	ds_read_b128 v[10:13], v47 offset:16
	ds_read_b128 v[6:9], v47 offset:32
	;; [unrolled: 1-line block ×3, first 2 shown]
	ds_read2_b32 v[61:62], v45 offset1:16
	ds_read_b128 v[57:60], v47 offset:2048
	s_add_u32 s26, s26, 32
	s_addc_u32 s27, s27, 0
	s_sub_i32 s10, s26, 32
	s_waitcnt lgkmcnt(1)
	v_fmac_f32_e32 v56, v61, v14
	v_fmac_f32_e32 v54, v62, v14
	s_waitcnt lgkmcnt(0)
	v_fmac_f32_e32 v53, v61, v57
	v_fmac_f32_e32 v37, v62, v57
	ds_read2_b32 v[61:62], v45 offset0:32 offset1:48
	s_add_u32 s20, s20, 0x80
	s_addc_u32 s21, s21, 0
	s_cmp_ge_i32 s10, s49
	s_waitcnt lgkmcnt(0)
	v_fmac_f32_e32 v56, v61, v15
	v_fmac_f32_e32 v54, v62, v15
	ds_read2_b32 v[14:15], v45 offset0:64 offset1:80
	v_fmac_f32_e32 v53, v61, v58
	v_fmac_f32_e32 v37, v62, v58
	ds_read2_b32 v[57:58], v45 offset0:128 offset1:144
	s_waitcnt lgkmcnt(1)
	v_fmac_f32_e32 v56, v14, v16
	v_fmac_f32_e32 v54, v15, v16
	;; [unrolled: 1-line block ×4, first 2 shown]
	ds_read2_b32 v[14:15], v45 offset0:96 offset1:112
	s_waitcnt lgkmcnt(0)
	v_fmac_f32_e32 v56, v14, v17
	v_fmac_f32_e32 v54, v15, v17
	;; [unrolled: 1-line block ×4, first 2 shown]
	ds_read_b128 v[14:17], v47 offset:2064
	v_fmac_f32_e32 v56, v57, v10
	v_fmac_f32_e32 v54, v58, v10
	s_waitcnt lgkmcnt(0)
	v_fmac_f32_e32 v53, v57, v14
	v_fmac_f32_e32 v37, v58, v14
	ds_read2_b32 v[57:58], v45 offset0:160 offset1:176
	s_waitcnt lgkmcnt(0)
	v_fmac_f32_e32 v56, v57, v11
	v_fmac_f32_e32 v54, v58, v11
	ds_read2_b32 v[10:11], v45 offset0:192 offset1:208
	v_fmac_f32_e32 v53, v57, v15
	v_fmac_f32_e32 v37, v58, v15
	s_waitcnt lgkmcnt(0)
	v_fmac_f32_e32 v56, v10, v12
	v_fmac_f32_e32 v54, v11, v12
	;; [unrolled: 1-line block ×4, first 2 shown]
	ds_read2_b32 v[10:11], v45 offset0:224 offset1:240
	s_waitcnt lgkmcnt(0)
	v_fmac_f32_e32 v56, v10, v13
	v_fmac_f32_e32 v53, v10, v17
	v_add_u32_e32 v10, 0x400, v45
	v_fmac_f32_e32 v54, v11, v13
	v_fmac_f32_e32 v37, v11, v17
	ds_read2_b32 v[15:16], v10 offset1:16
	ds_read_b128 v[11:14], v47 offset:2080
	s_waitcnt lgkmcnt(1)
	v_fmac_f32_e32 v56, v15, v6
	v_fmac_f32_e32 v54, v16, v6
	s_waitcnt lgkmcnt(0)
	v_fmac_f32_e32 v53, v15, v11
	v_fmac_f32_e32 v37, v16, v11
	ds_read2_b32 v[15:16], v10 offset0:32 offset1:48
	s_waitcnt lgkmcnt(0)
	v_fmac_f32_e32 v56, v15, v7
	v_fmac_f32_e32 v54, v16, v7
	ds_read2_b32 v[6:7], v10 offset0:64 offset1:80
	v_fmac_f32_e32 v53, v15, v12
	v_fmac_f32_e32 v37, v16, v12
	ds_read2_b32 v[11:12], v10 offset0:128 offset1:144
	s_waitcnt lgkmcnt(1)
	v_fmac_f32_e32 v56, v6, v8
	v_fmac_f32_e32 v54, v7, v8
	;; [unrolled: 1-line block ×4, first 2 shown]
	ds_read2_b32 v[6:7], v10 offset0:96 offset1:112
	s_waitcnt lgkmcnt(0)
	v_fmac_f32_e32 v56, v6, v9
	v_fmac_f32_e32 v54, v7, v9
	;; [unrolled: 1-line block ×4, first 2 shown]
	ds_read_b128 v[6:9], v47 offset:2096
	v_fmac_f32_e32 v56, v11, v2
	v_fmac_f32_e32 v54, v12, v2
	s_waitcnt lgkmcnt(0)
	v_fmac_f32_e32 v53, v11, v6
	v_fmac_f32_e32 v37, v12, v6
	ds_read2_b32 v[11:12], v10 offset0:160 offset1:176
	s_waitcnt lgkmcnt(0)
	v_fmac_f32_e32 v56, v11, v3
	v_fmac_f32_e32 v54, v12, v3
	ds_read2_b32 v[2:3], v10 offset0:192 offset1:208
	v_fmac_f32_e32 v53, v11, v7
	v_fmac_f32_e32 v37, v12, v7
	s_waitcnt lgkmcnt(0)
	v_fmac_f32_e32 v56, v2, v4
	v_fmac_f32_e32 v54, v3, v4
	;; [unrolled: 1-line block ×4, first 2 shown]
	ds_read2_b32 v[2:3], v10 offset0:224 offset1:240
	v_add_u32_e32 v10, 0x800, v45
	ds_read2_b32 v[11:12], v10 offset1:16
	s_waitcnt lgkmcnt(1)
	v_fmac_f32_e32 v56, v2, v5
	v_fmac_f32_e32 v54, v3, v5
	;; [unrolled: 1-line block ×4, first 2 shown]
	ds_read_b128 v[2:5], v47 offset:64
	ds_read_b128 v[6:9], v47 offset:2112
	s_waitcnt lgkmcnt(1)
	v_fmac_f32_e32 v56, v11, v2
	v_fmac_f32_e32 v54, v12, v2
	s_waitcnt lgkmcnt(0)
	v_fmac_f32_e32 v53, v11, v6
	v_fmac_f32_e32 v37, v12, v6
	ds_read2_b32 v[11:12], v10 offset0:32 offset1:48
	s_waitcnt lgkmcnt(0)
	v_fmac_f32_e32 v56, v11, v3
	v_fmac_f32_e32 v54, v12, v3
	ds_read2_b32 v[2:3], v10 offset0:64 offset1:80
	v_fmac_f32_e32 v53, v11, v7
	v_fmac_f32_e32 v37, v12, v7
	s_waitcnt lgkmcnt(0)
	v_fmac_f32_e32 v56, v2, v4
	v_fmac_f32_e32 v54, v3, v4
	;; [unrolled: 1-line block ×4, first 2 shown]
	ds_read2_b32 v[2:3], v10 offset0:96 offset1:112
	s_waitcnt lgkmcnt(0)
	v_fmac_f32_e32 v56, v2, v5
	v_fmac_f32_e32 v54, v3, v5
	;; [unrolled: 1-line block ×4, first 2 shown]
	ds_read_b128 v[2:5], v47 offset:80
	ds_read2_b32 v[11:12], v10 offset0:128 offset1:144
	ds_read_b128 v[6:9], v47 offset:2128
	s_waitcnt lgkmcnt(1)
	v_fmac_f32_e32 v56, v11, v2
	v_fmac_f32_e32 v54, v12, v2
	s_waitcnt lgkmcnt(0)
	v_fmac_f32_e32 v53, v11, v6
	v_fmac_f32_e32 v37, v12, v6
	ds_read2_b32 v[11:12], v10 offset0:160 offset1:176
	s_waitcnt lgkmcnt(0)
	v_fmac_f32_e32 v56, v11, v3
	v_fmac_f32_e32 v54, v12, v3
	ds_read2_b32 v[2:3], v10 offset0:192 offset1:208
	v_fmac_f32_e32 v53, v11, v7
	v_fmac_f32_e32 v37, v12, v7
	s_waitcnt lgkmcnt(0)
	v_fmac_f32_e32 v56, v2, v4
	v_fmac_f32_e32 v54, v3, v4
	;; [unrolled: 1-line block ×4, first 2 shown]
	ds_read2_b32 v[2:3], v10 offset0:224 offset1:240
	v_add_u32_e32 v10, 0xc00, v45
	ds_read2_b32 v[11:12], v10 offset1:16
	s_waitcnt lgkmcnt(1)
	v_fmac_f32_e32 v56, v2, v5
	v_fmac_f32_e32 v54, v3, v5
	;; [unrolled: 1-line block ×4, first 2 shown]
	ds_read_b128 v[2:5], v47 offset:96
	ds_read_b128 v[6:9], v47 offset:2144
	s_waitcnt lgkmcnt(1)
	v_fmac_f32_e32 v56, v11, v2
	v_fmac_f32_e32 v54, v12, v2
	s_waitcnt lgkmcnt(0)
	v_fmac_f32_e32 v53, v11, v6
	v_fmac_f32_e32 v37, v12, v6
	ds_read2_b32 v[11:12], v10 offset0:32 offset1:48
	s_waitcnt lgkmcnt(0)
	v_fmac_f32_e32 v56, v11, v3
	v_fmac_f32_e32 v54, v12, v3
	ds_read2_b32 v[2:3], v10 offset0:64 offset1:80
	v_fmac_f32_e32 v53, v11, v7
	v_fmac_f32_e32 v37, v12, v7
	s_waitcnt lgkmcnt(0)
	v_fmac_f32_e32 v56, v2, v4
	v_fmac_f32_e32 v54, v3, v4
	;; [unrolled: 1-line block ×4, first 2 shown]
	ds_read2_b32 v[2:3], v10 offset0:96 offset1:112
	s_waitcnt lgkmcnt(0)
	v_fmac_f32_e32 v56, v2, v5
	v_fmac_f32_e32 v54, v3, v5
	;; [unrolled: 1-line block ×4, first 2 shown]
	ds_read_b128 v[2:5], v47 offset:112
	ds_read2_b32 v[11:12], v10 offset0:128 offset1:144
	ds_read_b128 v[6:9], v47 offset:2160
	s_waitcnt lgkmcnt(1)
	v_fmac_f32_e32 v56, v11, v2
	v_fmac_f32_e32 v54, v12, v2
	s_waitcnt lgkmcnt(0)
	v_fmac_f32_e32 v53, v11, v6
	v_fmac_f32_e32 v37, v12, v6
	ds_read2_b32 v[11:12], v10 offset0:160 offset1:176
	s_waitcnt lgkmcnt(0)
	v_fmac_f32_e32 v56, v11, v3
	v_fmac_f32_e32 v54, v12, v3
	ds_read2_b32 v[2:3], v10 offset0:192 offset1:208
	v_fmac_f32_e32 v53, v11, v7
	v_fmac_f32_e32 v37, v12, v7
	s_waitcnt lgkmcnt(0)
	v_fmac_f32_e32 v56, v2, v4
	v_fmac_f32_e32 v54, v3, v4
	;; [unrolled: 1-line block ×4, first 2 shown]
	ds_read2_b32 v[2:3], v10 offset0:224 offset1:240
	s_waitcnt lgkmcnt(0)
	s_barrier
	v_fmac_f32_e32 v56, v2, v5
	v_fmac_f32_e32 v54, v3, v5
	;; [unrolled: 1-line block ×4, first 2 shown]
	s_cbranch_scc1 .LBB6_43
.LBB6_7:                                ;   Parent Loop BB6_4 Depth=1
                                        ; =>  This Inner Loop Header: Depth=2
	v_mov_b32_e32 v2, s27
	v_add_co_u32_e64 v4, s[10:11], s26, v1
	v_addc_co_u32_e64 v5, s[10:11], 0, v2, s[10:11]
	v_mov_b32_e32 v3, s21
	v_add_co_u32_e64 v2, s[10:11], s20, v43
	v_addc_co_u32_e64 v3, s[10:11], v44, v3, s[10:11]
	v_cmp_le_i64_e64 s[12:13], s[40:41], v[4:5]
	v_cmp_eq_u64_e64 s[16:17], s[26:27], v[22:23]
	v_cmp_gt_i64_e64 s[10:11], v[4:5], v[18:19]
	s_and_b64 s[28:29], s[34:35], s[16:17]
	s_or_b64 s[16:17], s[12:13], s[10:11]
	s_or_b64 s[16:17], s[16:17], s[28:29]
	s_nor_b64 s[16:17], s[0:1], s[16:17]
                                        ; implicit-def: $vgpr6
	s_and_saveexec_b64 s[18:19], s[16:17]
	s_xor_b64 s[16:17], exec, s[18:19]
	s_cbranch_execz .LBB6_9
; %bb.8:                                ;   in Loop: Header=BB6_7 Depth=2
	global_load_dword v6, v[2:3], off
.LBB6_9:                                ;   in Loop: Header=BB6_7 Depth=2
	s_andn2_saveexec_b64 s[16:17], s[16:17]
	s_cbranch_execz .LBB6_11
; %bb.10:                               ;   in Loop: Header=BB6_7 Depth=2
	s_waitcnt vmcnt(0)
	v_cndmask_b32_e64 v6, 0, 1.0, s[28:29]
.LBB6_11:                               ;   in Loop: Header=BB6_7 Depth=2
	s_or_b64 exec, exec, s[16:17]
	v_cmp_eq_u64_e64 s[16:17], s[26:27], v[24:25]
	v_cmp_lt_i64_e64 s[18:19], v[20:21], v[4:5]
	s_and_b64 s[16:17], s[34:35], s[16:17]
	s_or_b64 s[12:13], s[12:13], s[18:19]
	s_or_b64 s[12:13], s[12:13], s[16:17]
	s_nor_b64 s[12:13], s[2:3], s[12:13]
	s_waitcnt vmcnt(0)
	ds_write_b32 v46, v6
	s_and_saveexec_b64 s[18:19], s[12:13]
	s_xor_b64 s[18:19], exec, s[18:19]
	s_cbranch_execz .LBB6_13
; %bb.12:                               ;   in Loop: Header=BB6_7 Depth=2
	v_mov_b32_e32 v7, s21
	v_add_co_u32_e64 v6, s[12:13], s20, v48
	v_addc_co_u32_e64 v7, s[12:13], v49, v7, s[12:13]
	global_load_dword v6, v[6:7], off
	s_waitcnt vmcnt(0)
	ds_write_b32 v46, v6 offset:64
.LBB6_13:                               ;   in Loop: Header=BB6_7 Depth=2
	s_andn2_saveexec_b64 s[12:13], s[18:19]
	s_cbranch_execz .LBB6_19
; %bb.14:                               ;   in Loop: Header=BB6_7 Depth=2
	s_xor_b64 s[16:17], s[16:17], -1
	s_and_saveexec_b64 s[18:19], s[16:17]
	s_xor_b64 s[16:17], exec, s[18:19]
; %bb.15:                               ;   in Loop: Header=BB6_7 Depth=2
	ds_write_b32 v46, v42 offset:64
; %bb.16:                               ;   in Loop: Header=BB6_7 Depth=2
	s_andn2_saveexec_b64 s[16:17], s[16:17]
; %bb.17:                               ;   in Loop: Header=BB6_7 Depth=2
	ds_write_b32 v46, v51 offset:64
; %bb.18:                               ;   in Loop: Header=BB6_7 Depth=2
	s_or_b64 exec, exec, s[16:17]
.LBB6_19:                               ;   in Loop: Header=BB6_7 Depth=2
	s_or_b64 exec, exec, s[12:13]
	v_add_co_u32_e64 v4, s[12:13], 16, v4
	v_addc_co_u32_e64 v5, s[12:13], 0, v5, s[12:13]
	v_cmp_le_i64_e64 s[12:13], s[40:41], v[4:5]
	v_cmp_eq_u64_e64 s[16:17], s[26:27], v[30:31]
	v_cmp_gt_i64_e64 s[18:19], v[4:5], v[18:19]
	s_and_b64 s[16:17], s[34:35], s[16:17]
	s_or_b64 s[18:19], s[12:13], s[18:19]
	s_or_b64 s[18:19], s[18:19], s[16:17]
	s_nor_b64 s[18:19], s[0:1], s[18:19]
                                        ; implicit-def: $vgpr4
	s_and_saveexec_b64 s[50:51], s[18:19]
	s_xor_b64 s[18:19], exec, s[50:51]
	s_cbranch_execz .LBB6_21
; %bb.20:                               ;   in Loop: Header=BB6_7 Depth=2
	global_load_dword v4, v[2:3], off offset:64
.LBB6_21:                               ;   in Loop: Header=BB6_7 Depth=2
	s_andn2_saveexec_b64 s[18:19], s[18:19]
	s_cbranch_execz .LBB6_23
; %bb.22:                               ;   in Loop: Header=BB6_7 Depth=2
	s_waitcnt vmcnt(0)
	v_cndmask_b32_e64 v4, 0, 1.0, s[16:17]
.LBB6_23:                               ;   in Loop: Header=BB6_7 Depth=2
	s_or_b64 exec, exec, s[18:19]
	s_or_b64 s[10:11], s[12:13], s[10:11]
	s_or_b64 s[10:11], s[10:11], s[28:29]
	s_nor_b64 s[10:11], s[2:3], s[10:11]
	s_waitcnt vmcnt(0)
	ds_write_b32 v46, v4 offset:2048
	s_and_saveexec_b64 s[12:13], s[10:11]
	s_xor_b64 s[12:13], exec, s[12:13]
	s_cbranch_execz .LBB6_25
; %bb.24:                               ;   in Loop: Header=BB6_7 Depth=2
	v_mov_b32_e32 v3, s21
	v_add_co_u32_e64 v2, s[10:11], s20, v48
	v_addc_co_u32_e64 v3, s[10:11], v49, v3, s[10:11]
	global_load_dword v2, v[2:3], off offset:64
	s_waitcnt vmcnt(0)
	ds_write_b32 v46, v2 offset:2112
.LBB6_25:                               ;   in Loop: Header=BB6_7 Depth=2
	s_andn2_saveexec_b64 s[10:11], s[12:13]
	s_cbranch_execz .LBB6_31
; %bb.26:                               ;   in Loop: Header=BB6_7 Depth=2
	s_xor_b64 s[12:13], s[28:29], -1
	s_and_saveexec_b64 s[16:17], s[12:13]
	s_xor_b64 s[12:13], exec, s[16:17]
; %bb.27:                               ;   in Loop: Header=BB6_7 Depth=2
	ds_write_b32 v46, v42 offset:2112
; %bb.28:                               ;   in Loop: Header=BB6_7 Depth=2
	s_andn2_saveexec_b64 s[12:13], s[12:13]
; %bb.29:                               ;   in Loop: Header=BB6_7 Depth=2
	ds_write_b32 v46, v51 offset:2112
; %bb.30:                               ;   in Loop: Header=BB6_7 Depth=2
	s_or_b64 exec, exec, s[12:13]
.LBB6_31:                               ;   in Loop: Header=BB6_7 Depth=2
	s_or_b64 exec, exec, s[10:11]
	v_mov_b32_e32 v2, s27
	v_add_co_u32_e64 v4, s[10:11], s26, v0
	v_addc_co_u32_e64 v5, s[10:11], 0, v2, s[10:11]
	v_cmp_gt_i64_e64 s[10:11], s[40:41], v[4:5]
	v_mov_b32_e32 v3, s21
	v_add_co_u32_e64 v2, s[12:13], s20, v38
	v_addc_co_u32_e64 v3, s[12:13], v39, v3, s[12:13]
	s_and_b64 s[16:17], vcc, s[10:11]
	v_mov_b32_e32 v6, 0
	s_and_saveexec_b64 s[12:13], s[16:17]
	s_cbranch_execz .LBB6_33
; %bb.32:                               ;   in Loop: Header=BB6_7 Depth=2
	global_load_dword v6, v[2:3], off offset:-64
.LBB6_33:                               ;   in Loop: Header=BB6_7 Depth=2
	s_or_b64 exec, exec, s[12:13]
	v_cmp_gt_i64_e64 s[12:13], s[42:43], v[4:5]
	s_waitcnt vmcnt(0)
	ds_write_b32 v50, v6
	s_and_b64 s[16:17], vcc, s[12:13]
	s_xor_b64 s[16:17], s[16:17], -1
	s_and_saveexec_b64 s[18:19], s[16:17]
	s_xor_b64 s[16:17], exec, s[18:19]
; %bb.34:                               ;   in Loop: Header=BB6_7 Depth=2
	ds_write_b32 v50, v42 offset:64
                                        ; implicit-def: $vgpr2_vgpr3
; %bb.35:                               ;   in Loop: Header=BB6_7 Depth=2
	s_andn2_saveexec_b64 s[16:17], s[16:17]
	s_cbranch_execz .LBB6_37
; %bb.36:                               ;   in Loop: Header=BB6_7 Depth=2
	global_load_dword v2, v[2:3], off
	s_waitcnt vmcnt(0)
	ds_write_b32 v50, v2 offset:64
.LBB6_37:                               ;   in Loop: Header=BB6_7 Depth=2
	s_or_b64 exec, exec, s[16:17]
	v_mov_b32_e32 v3, s21
	v_add_co_u32_e64 v2, s[16:17], s20, v40
	v_addc_co_u32_e64 v3, s[16:17], v41, v3, s[16:17]
	s_and_b64 s[16:17], s[8:9], s[10:11]
	v_mov_b32_e32 v4, 0
	s_and_saveexec_b64 s[10:11], s[16:17]
	s_cbranch_execz .LBB6_39
; %bb.38:                               ;   in Loop: Header=BB6_7 Depth=2
	global_load_dword v4, v[2:3], off
.LBB6_39:                               ;   in Loop: Header=BB6_7 Depth=2
	s_or_b64 exec, exec, s[10:11]
	s_and_b64 s[10:11], s[8:9], s[12:13]
	s_xor_b64 s[10:11], s[10:11], -1
	s_waitcnt vmcnt(0)
	ds_write_b32 v50, v4 offset:2048
	s_and_saveexec_b64 s[12:13], s[10:11]
	s_xor_b64 s[10:11], exec, s[12:13]
; %bb.40:                               ;   in Loop: Header=BB6_7 Depth=2
	ds_write_b32 v50, v42 offset:2112
                                        ; implicit-def: $vgpr2_vgpr3
; %bb.41:                               ;   in Loop: Header=BB6_7 Depth=2
	s_andn2_saveexec_b64 s[10:11], s[10:11]
	s_cbranch_execz .LBB6_6
; %bb.42:                               ;   in Loop: Header=BB6_7 Depth=2
	global_load_dword v2, v[2:3], off offset:64
	s_waitcnt vmcnt(0)
	ds_write_b32 v50, v2 offset:2112
	s_branch .LBB6_6
.LBB6_43:                               ;   in Loop: Header=BB6_4 Depth=1
	v_mul_lo_u32 v4, s45, v52
	v_mul_lo_u32 v5, s44, v55
	v_mad_u64_u32 v[2:3], s[8:9], s44, v52, 0
	v_cmp_gt_i32_e32 vcc, s30, v52
	v_add3_u32 v3, v3, v5, v4
	v_lshlrev_b64 v[2:3], 2, v[2:3]
	v_mov_b32_e32 v4, s47
	v_add_co_u32_e64 v2, s[8:9], s46, v2
	v_addc_co_u32_e64 v3, s[8:9], v4, v3, s[8:9]
	s_and_b64 s[8:9], s[4:5], vcc
	s_and_saveexec_b64 s[10:11], s[8:9]
	s_cbranch_execz .LBB6_45
; %bb.44:                               ;   in Loop: Header=BB6_4 Depth=1
	v_add_co_u32_e64 v4, s[8:9], v2, v26
	v_addc_co_u32_e64 v5, s[8:9], v3, v27, s[8:9]
	global_load_dword v6, v[4:5], off
	s_waitcnt vmcnt(0)
	v_fmac_f32_e32 v6, s33, v56
	global_store_dword v[4:5], v6, off
.LBB6_45:                               ;   in Loop: Header=BB6_4 Depth=1
	s_or_b64 exec, exec, s[10:11]
	s_and_b64 s[10:11], s[14:15], vcc
	s_and_saveexec_b64 s[8:9], s[10:11]
	s_cbranch_execz .LBB6_47
; %bb.46:                               ;   in Loop: Header=BB6_4 Depth=1
	v_add_co_u32_e32 v2, vcc, v2, v34
	v_addc_co_u32_e32 v3, vcc, v3, v35, vcc
	global_load_dword v4, v[2:3], off
	s_waitcnt vmcnt(0)
	v_fmac_f32_e32 v4, s33, v54
	global_store_dword v[2:3], v4, off
.LBB6_47:                               ;   in Loop: Header=BB6_4 Depth=1
	s_or_b64 exec, exec, s[8:9]
	v_add_u32_e32 v4, 16, v52
	v_ashrrev_i32_e32 v2, 31, v4
	v_mul_lo_u32 v5, s44, v2
	v_mul_lo_u32 v6, s45, v4
	v_mad_u64_u32 v[2:3], s[8:9], s44, v4, 0
	v_cmp_gt_i32_e32 vcc, s30, v4
	v_mov_b32_e32 v4, s47
	v_add3_u32 v3, v3, v5, v6
	v_lshlrev_b64 v[2:3], 2, v[2:3]
	v_add_co_u32_e64 v2, s[8:9], s46, v2
	v_addc_co_u32_e64 v3, s[8:9], v4, v3, s[8:9]
	s_and_b64 s[8:9], s[4:5], vcc
	s_and_saveexec_b64 s[10:11], s[8:9]
	s_cbranch_execz .LBB6_49
; %bb.48:                               ;   in Loop: Header=BB6_4 Depth=1
	v_add_co_u32_e64 v4, s[8:9], v2, v26
	v_addc_co_u32_e64 v5, s[8:9], v3, v27, s[8:9]
	global_load_dword v6, v[4:5], off
	s_waitcnt vmcnt(0)
	v_fmac_f32_e32 v6, s33, v53
	global_store_dword v[4:5], v6, off
.LBB6_49:                               ;   in Loop: Header=BB6_4 Depth=1
	s_or_b64 exec, exec, s[10:11]
	s_and_b64 s[10:11], s[14:15], vcc
	s_and_saveexec_b64 s[8:9], s[10:11]
	s_cbranch_execz .LBB6_3
; %bb.50:                               ;   in Loop: Header=BB6_4 Depth=1
	v_add_co_u32_e32 v2, vcc, v2, v34
	v_addc_co_u32_e32 v3, vcc, v3, v35, vcc
	global_load_dword v4, v[2:3], off
	s_waitcnt vmcnt(0)
	v_fmac_f32_e32 v4, s33, v37
	global_store_dword v[2:3], v4, off
	s_branch .LBB6_3
.LBB6_51:
	s_endpgm
	.section	.rodata,"a",@progbits
	.p2align	6, 0x0
	.amdhsa_kernel _ZL30rocblas_trmm_outofplace_kernelIfLi32ELi2ELb1ELb1ELb1ELb0EPKfS0_fEv17rocblas_diagonal_iiT6_lPT7_lllS5_lllPT8_llli
		.amdhsa_group_segment_fixed_size 8192
		.amdhsa_private_segment_fixed_size 0
		.amdhsa_kernarg_size 392
		.amdhsa_user_sgpr_count 6
		.amdhsa_user_sgpr_private_segment_buffer 1
		.amdhsa_user_sgpr_dispatch_ptr 0
		.amdhsa_user_sgpr_queue_ptr 0
		.amdhsa_user_sgpr_kernarg_segment_ptr 1
		.amdhsa_user_sgpr_dispatch_id 0
		.amdhsa_user_sgpr_flat_scratch_init 0
		.amdhsa_user_sgpr_private_segment_size 0
		.amdhsa_uses_dynamic_stack 0
		.amdhsa_system_sgpr_private_segment_wavefront_offset 0
		.amdhsa_system_sgpr_workgroup_id_x 1
		.amdhsa_system_sgpr_workgroup_id_y 1
		.amdhsa_system_sgpr_workgroup_id_z 1
		.amdhsa_system_sgpr_workgroup_info 0
		.amdhsa_system_vgpr_workitem_id 1
		.amdhsa_next_free_vgpr 63
		.amdhsa_next_free_sgpr 61
		.amdhsa_reserve_vcc 1
		.amdhsa_reserve_flat_scratch 0
		.amdhsa_float_round_mode_32 0
		.amdhsa_float_round_mode_16_64 0
		.amdhsa_float_denorm_mode_32 3
		.amdhsa_float_denorm_mode_16_64 3
		.amdhsa_dx10_clamp 1
		.amdhsa_ieee_mode 1
		.amdhsa_fp16_overflow 0
		.amdhsa_exception_fp_ieee_invalid_op 0
		.amdhsa_exception_fp_denorm_src 0
		.amdhsa_exception_fp_ieee_div_zero 0
		.amdhsa_exception_fp_ieee_overflow 0
		.amdhsa_exception_fp_ieee_underflow 0
		.amdhsa_exception_fp_ieee_inexact 0
		.amdhsa_exception_int_div_zero 0
	.end_amdhsa_kernel
	.section	.text._ZL30rocblas_trmm_outofplace_kernelIfLi32ELi2ELb1ELb1ELb1ELb0EPKfS0_fEv17rocblas_diagonal_iiT6_lPT7_lllS5_lllPT8_llli,"axG",@progbits,_ZL30rocblas_trmm_outofplace_kernelIfLi32ELi2ELb1ELb1ELb1ELb0EPKfS0_fEv17rocblas_diagonal_iiT6_lPT7_lllS5_lllPT8_llli,comdat
.Lfunc_end6:
	.size	_ZL30rocblas_trmm_outofplace_kernelIfLi32ELi2ELb1ELb1ELb1ELb0EPKfS0_fEv17rocblas_diagonal_iiT6_lPT7_lllS5_lllPT8_llli, .Lfunc_end6-_ZL30rocblas_trmm_outofplace_kernelIfLi32ELi2ELb1ELb1ELb1ELb0EPKfS0_fEv17rocblas_diagonal_iiT6_lPT7_lllS5_lllPT8_llli
                                        ; -- End function
	.set _ZL30rocblas_trmm_outofplace_kernelIfLi32ELi2ELb1ELb1ELb1ELb0EPKfS0_fEv17rocblas_diagonal_iiT6_lPT7_lllS5_lllPT8_llli.num_vgpr, 63
	.set _ZL30rocblas_trmm_outofplace_kernelIfLi32ELi2ELb1ELb1ELb1ELb0EPKfS0_fEv17rocblas_diagonal_iiT6_lPT7_lllS5_lllPT8_llli.num_agpr, 0
	.set _ZL30rocblas_trmm_outofplace_kernelIfLi32ELi2ELb1ELb1ELb1ELb0EPKfS0_fEv17rocblas_diagonal_iiT6_lPT7_lllS5_lllPT8_llli.numbered_sgpr, 52
	.set _ZL30rocblas_trmm_outofplace_kernelIfLi32ELi2ELb1ELb1ELb1ELb0EPKfS0_fEv17rocblas_diagonal_iiT6_lPT7_lllS5_lllPT8_llli.num_named_barrier, 0
	.set _ZL30rocblas_trmm_outofplace_kernelIfLi32ELi2ELb1ELb1ELb1ELb0EPKfS0_fEv17rocblas_diagonal_iiT6_lPT7_lllS5_lllPT8_llli.private_seg_size, 0
	.set _ZL30rocblas_trmm_outofplace_kernelIfLi32ELi2ELb1ELb1ELb1ELb0EPKfS0_fEv17rocblas_diagonal_iiT6_lPT7_lllS5_lllPT8_llli.uses_vcc, 1
	.set _ZL30rocblas_trmm_outofplace_kernelIfLi32ELi2ELb1ELb1ELb1ELb0EPKfS0_fEv17rocblas_diagonal_iiT6_lPT7_lllS5_lllPT8_llli.uses_flat_scratch, 0
	.set _ZL30rocblas_trmm_outofplace_kernelIfLi32ELi2ELb1ELb1ELb1ELb0EPKfS0_fEv17rocblas_diagonal_iiT6_lPT7_lllS5_lllPT8_llli.has_dyn_sized_stack, 0
	.set _ZL30rocblas_trmm_outofplace_kernelIfLi32ELi2ELb1ELb1ELb1ELb0EPKfS0_fEv17rocblas_diagonal_iiT6_lPT7_lllS5_lllPT8_llli.has_recursion, 0
	.set _ZL30rocblas_trmm_outofplace_kernelIfLi32ELi2ELb1ELb1ELb1ELb0EPKfS0_fEv17rocblas_diagonal_iiT6_lPT7_lllS5_lllPT8_llli.has_indirect_call, 0
	.section	.AMDGPU.csdata,"",@progbits
; Kernel info:
; codeLenInByte = 3028
; TotalNumSgprs: 56
; NumVgprs: 63
; ScratchSize: 0
; MemoryBound: 0
; FloatMode: 240
; IeeeMode: 1
; LDSByteSize: 8192 bytes/workgroup (compile time only)
; SGPRBlocks: 8
; VGPRBlocks: 15
; NumSGPRsForWavesPerEU: 65
; NumVGPRsForWavesPerEU: 63
; Occupancy: 4
; WaveLimiterHint : 0
; COMPUTE_PGM_RSRC2:SCRATCH_EN: 0
; COMPUTE_PGM_RSRC2:USER_SGPR: 6
; COMPUTE_PGM_RSRC2:TRAP_HANDLER: 0
; COMPUTE_PGM_RSRC2:TGID_X_EN: 1
; COMPUTE_PGM_RSRC2:TGID_Y_EN: 1
; COMPUTE_PGM_RSRC2:TGID_Z_EN: 1
; COMPUTE_PGM_RSRC2:TIDIG_COMP_CNT: 1
	.section	.text._ZL30rocblas_trmm_outofplace_kernelIfLi32ELi2ELb1ELb1ELb1ELb0EfKffEv17rocblas_diagonal_iiT6_lPT7_lllS4_lllPT8_llli,"axG",@progbits,_ZL30rocblas_trmm_outofplace_kernelIfLi32ELi2ELb1ELb1ELb1ELb0EfKffEv17rocblas_diagonal_iiT6_lPT7_lllS4_lllPT8_llli,comdat
	.globl	_ZL30rocblas_trmm_outofplace_kernelIfLi32ELi2ELb1ELb1ELb1ELb0EfKffEv17rocblas_diagonal_iiT6_lPT7_lllS4_lllPT8_llli ; -- Begin function _ZL30rocblas_trmm_outofplace_kernelIfLi32ELi2ELb1ELb1ELb1ELb0EfKffEv17rocblas_diagonal_iiT6_lPT7_lllS4_lllPT8_llli
	.p2align	8
	.type	_ZL30rocblas_trmm_outofplace_kernelIfLi32ELi2ELb1ELb1ELb1ELb0EfKffEv17rocblas_diagonal_iiT6_lPT7_lllS4_lllPT8_llli,@function
_ZL30rocblas_trmm_outofplace_kernelIfLi32ELi2ELb1ELb1ELb1ELb0EfKffEv17rocblas_diagonal_iiT6_lPT7_lllS4_lllPT8_llli: ; @_ZL30rocblas_trmm_outofplace_kernelIfLi32ELi2ELb1ELb1ELb1ELb0EfKffEv17rocblas_diagonal_iiT6_lPT7_lllS4_lllPT8_llli
; %bb.0:
	s_load_dwordx4 s[28:31], s[4:5], 0x0
	s_waitcnt lgkmcnt(0)
	v_cmp_eq_f32_e64 s[0:1], s31, 0
	s_and_b64 vcc, exec, s[0:1]
	s_cbranch_vccnz .LBB7_51
; %bb.1:
	s_add_i32 s0, s30, -1
	s_ashr_i32 s1, s0, 31
	s_lshr_b32 s1, s1, 27
	s_add_i32 s0, s0, s1
	s_ashr_i32 s33, s0, 5
	s_cmp_gt_i32 s7, s33
	s_cbranch_scc1 .LBB7_51
; %bb.2:
	s_load_dwordx16 s[12:27], s[4:5], 0x18
	s_load_dwordx8 s[36:43], s[4:5], 0x58
	v_lshlrev_b32_e32 v6, 2, v1
	s_load_dword s48, s[4:5], 0x84
	v_lshlrev_b32_e32 v45, 2, v0
	s_waitcnt lgkmcnt(0)
	s_mul_i32 s1, s19, s8
	s_mul_hi_u32 s2, s18, s8
	s_mul_i32 s0, s18, s8
	s_add_i32 s1, s2, s1
	s_lshl_b64 s[10:11], s[0:1], 2
	s_add_u32 s0, s12, s10
	s_addc_u32 s1, s13, s11
	s_lshl_b64 s[18:19], s[14:15], 2
	s_add_u32 s2, s0, s18
	s_addc_u32 s3, s1, s19
	s_mul_i32 s0, s43, s8
	s_mul_hi_u32 s1, s42, s8
	s_add_i32 s1, s1, s0
	s_mul_i32 s0, s42, s8
	s_lshl_b64 s[0:1], s[0:1], 2
	s_add_u32 s9, s36, s0
	s_addc_u32 s14, s37, s1
	s_lshl_b64 s[0:1], s[38:39], 2
	s_add_u32 s44, s9, s0
	s_addc_u32 s45, s14, s1
	s_lshl_b32 s46, s6, 5
	v_add_u32_e32 v18, s46, v0
	v_ashrrev_i32_e32 v19, 31, v18
	v_mul_lo_u32 v4, s16, v19
	v_mul_lo_u32 v5, s17, v18
	v_mad_u64_u32 v[2:3], s[0:1], s16, v18, 0
	s_cmp_gt_i32 s6, -1
	s_cselect_b64 s[34:35], -1, 0
	v_add3_u32 v3, v3, v4, v5
	v_lshlrev_b64 v[2:3], 2, v[2:3]
	v_mov_b32_e32 v4, s3
	v_add_co_u32_e32 v2, vcc, s2, v2
	s_cmpk_eq_i32 s28, 0x84
	v_addc_co_u32_e32 v3, vcc, v4, v3, vcc
	s_cselect_b64 s[36:37], -1, 0
	s_ashr_i32 s39, s29, 31
	s_ashr_i32 s6, s30, 31
	v_add_co_u32_e32 v43, vcc, v2, v6
	s_add_u32 s42, s29, -16
	s_mul_i32 s9, s27, s8
	s_mul_hi_u32 s27, s26, s8
	v_addc_co_u32_e32 v44, vcc, 0, v3, vcc
	s_addc_u32 s43, s39, -1
	s_add_i32 s9, s27, s9
	s_mul_i32 s8, s26, s8
	v_add_co_u32_e32 v20, vcc, 16, v18
	s_lshl_b64 s[8:9], s[8:9], 2
	s_lshl_b64 s[22:23], s[22:23], 2
	v_addc_co_u32_e32 v21, vcc, 0, v19, vcc
	s_add_u32 s8, s8, s22
	v_sub_co_u32_e32 v22, vcc, v18, v1
	s_addc_u32 s9, s9, s23
	v_subbrev_co_u32_e32 v23, vcc, 0, v19, vcc
	s_add_u32 s22, s20, s8
	v_add_co_u32_e32 v24, vcc, 16, v22
	s_addc_u32 s8, s21, s9
	s_lshl_b64 s[20:21], s[24:25], 2
	s_lshl_b32 s49, s48, 5
	v_lshlrev_b64 v[26:27], 2, v[18:19]
	v_addc_co_u32_e32 v25, vcc, 0, v23, vcc
	v_mov_b32_e32 v7, s8
	s_add_u32 s8, s18, s10
	v_add_co_u32_e32 v8, vcc, 64, v26
	s_addc_u32 s9, s19, s11
	v_mov_b32_e32 v4, s8
	v_addc_co_u32_e32 v9, vcc, 0, v27, vcc
	v_mov_b32_e32 v5, s9
	v_mad_u64_u32 v[4:5], s[8:9], s16, v8, v[4:5]
	v_mul_lo_u32 v9, s16, v9
	v_mul_lo_u32 v8, s17, v8
	v_add_co_u32_e32 v28, vcc, s22, v45
	v_addc_co_u32_e32 v29, vcc, 0, v7, vcc
	v_add_co_u32_e32 v30, vcc, -16, v22
	v_addc_co_u32_e32 v31, vcc, -1, v23, vcc
	v_add3_u32 v5, v8, v5, v9
	v_add_co_u32_e32 v4, vcc, v4, v6
	v_lshlrev_b32_e32 v2, 7, v1
	v_addc_co_u32_e32 v5, vcc, 0, v5, vcc
	v_add_u32_e32 v46, v45, v2
	v_add_u32_e32 v47, 0x1000, v2
	v_add_u32_e32 v2, 16, v18
	v_mov_b32_e32 v6, s13
	v_add_co_u32_e32 v48, vcc, s12, v4
	s_mov_b32 s38, s29
	v_ashrrev_i32_e32 v3, 31, v2
	v_addc_co_u32_e32 v49, vcc, v6, v5, vcc
	v_cmp_le_i64_e64 s[2:3], s[38:39], v[20:21]
	v_add_co_u32_e32 v32, vcc, 64, v28
	v_lshlrev_b64 v[34:35], 2, v[2:3]
	v_mov_b32_e32 v42, 0
	s_mov_b32 s47, s30
	v_cmp_le_i32_e64 s[0:1], s29, v18
	v_cmp_gt_i32_e64 s[4:5], s29, v18
	v_cmp_gt_i32_e64 s[14:15], s29, v2
	v_addc_co_u32_e32 v33, vcc, 0, v29, vcc
	v_add_u32_e32 v50, v47, v45
	v_mov_b32_e32 v51, 1.0
	v_lshl_add_u32 v36, s7, 5, v1
	s_branch .LBB7_4
.LBB7_3:                                ;   in Loop: Header=BB7_4 Depth=1
	s_or_b64 exec, exec, s[8:9]
	s_add_i32 s7, s48, s7
	s_cmp_le_i32 s7, s33
	v_add_u32_e32 v36, s49, v36
	s_cbranch_scc0 .LBB7_51
.LBB7_4:                                ; =>This Loop Header: Depth=1
                                        ;     Child Loop BB7_7 Depth 2
	v_lshl_add_u32 v52, s7, 5, v1
	v_ashrrev_i32_e32 v55, 31, v52
	s_andn2_b64 vcc, exec, s[34:35]
	v_mov_b32_e32 v56, 0
	v_mov_b32_e32 v54, 0
	v_mov_b32_e32 v53, 0
	v_mov_b32_e32 v37, 0
	s_cbranch_vccnz .LBB7_43
; %bb.5:                                ;   in Loop: Header=BB7_4 Depth=1
	v_ashrrev_i32_e32 v37, 31, v36
	v_lshlrev_b64 v[2:3], 2, v[36:37]
	v_mad_u64_u32 v[38:39], s[8:9], s20, v36, v[32:33]
	v_add_co_u32_e32 v2, vcc, 64, v2
	v_addc_co_u32_e32 v3, vcc, 0, v3, vcc
	v_mul_lo_u32 v3, s24, v3
	v_mul_lo_u32 v6, s25, v2
	v_mad_u64_u32 v[40:41], s[8:9], s24, v2, v[28:29]
	v_mul_lo_u32 v4, s21, v36
	v_mul_lo_u32 v5, s20, v37
	v_add3_u32 v41, v6, v41, v3
	v_mov_b32_e32 v3, s6
	v_sub_co_u32_e32 v2, vcc, s47, v52
	v_subb_co_u32_e32 v3, vcc, v3, v55, vcc
	v_cmp_lt_i64_e32 vcc, 0, v[2:3]
	v_cmp_lt_i64_e64 s[8:9], 16, v[2:3]
	v_add3_u32 v39, v4, v39, v5
	s_mov_b64 s[22:23], 0
	v_mov_b32_e32 v37, 0
	s_mov_b64 s[26:27], 0
	v_mov_b32_e32 v53, 0
	v_mov_b32_e32 v54, 0
	;; [unrolled: 1-line block ×3, first 2 shown]
	s_branch .LBB7_7
.LBB7_6:                                ;   in Loop: Header=BB7_7 Depth=2
	s_or_b64 exec, exec, s[10:11]
	s_waitcnt lgkmcnt(0)
	s_barrier
	ds_read_b128 v[14:17], v47
	ds_read_b128 v[10:13], v47 offset:16
	ds_read_b128 v[6:9], v47 offset:32
	;; [unrolled: 1-line block ×3, first 2 shown]
	ds_read2_b32 v[61:62], v45 offset1:16
	ds_read_b128 v[57:60], v47 offset:2048
	s_add_u32 s26, s26, 32
	s_addc_u32 s27, s27, 0
	s_sub_i32 s10, s26, 32
	s_waitcnt lgkmcnt(1)
	v_fmac_f32_e32 v56, v61, v14
	v_fmac_f32_e32 v54, v62, v14
	s_waitcnt lgkmcnt(0)
	v_fmac_f32_e32 v53, v61, v57
	v_fmac_f32_e32 v37, v62, v57
	ds_read2_b32 v[61:62], v45 offset0:32 offset1:48
	s_add_u32 s22, s22, 0x80
	s_addc_u32 s23, s23, 0
	s_cmp_ge_i32 s10, s46
	s_waitcnt lgkmcnt(0)
	v_fmac_f32_e32 v56, v61, v15
	v_fmac_f32_e32 v54, v62, v15
	ds_read2_b32 v[14:15], v45 offset0:64 offset1:80
	v_fmac_f32_e32 v53, v61, v58
	v_fmac_f32_e32 v37, v62, v58
	ds_read2_b32 v[57:58], v45 offset0:128 offset1:144
	s_waitcnt lgkmcnt(1)
	v_fmac_f32_e32 v56, v14, v16
	v_fmac_f32_e32 v54, v15, v16
	;; [unrolled: 1-line block ×4, first 2 shown]
	ds_read2_b32 v[14:15], v45 offset0:96 offset1:112
	s_waitcnt lgkmcnt(0)
	v_fmac_f32_e32 v56, v14, v17
	v_fmac_f32_e32 v54, v15, v17
	;; [unrolled: 1-line block ×4, first 2 shown]
	ds_read_b128 v[14:17], v47 offset:2064
	v_fmac_f32_e32 v56, v57, v10
	v_fmac_f32_e32 v54, v58, v10
	s_waitcnt lgkmcnt(0)
	v_fmac_f32_e32 v53, v57, v14
	v_fmac_f32_e32 v37, v58, v14
	ds_read2_b32 v[57:58], v45 offset0:160 offset1:176
	s_waitcnt lgkmcnt(0)
	v_fmac_f32_e32 v56, v57, v11
	v_fmac_f32_e32 v54, v58, v11
	ds_read2_b32 v[10:11], v45 offset0:192 offset1:208
	v_fmac_f32_e32 v53, v57, v15
	v_fmac_f32_e32 v37, v58, v15
	s_waitcnt lgkmcnt(0)
	v_fmac_f32_e32 v56, v10, v12
	v_fmac_f32_e32 v54, v11, v12
	;; [unrolled: 1-line block ×4, first 2 shown]
	ds_read2_b32 v[10:11], v45 offset0:224 offset1:240
	s_waitcnt lgkmcnt(0)
	v_fmac_f32_e32 v56, v10, v13
	v_fmac_f32_e32 v53, v10, v17
	v_add_u32_e32 v10, 0x400, v45
	v_fmac_f32_e32 v54, v11, v13
	v_fmac_f32_e32 v37, v11, v17
	ds_read2_b32 v[15:16], v10 offset1:16
	ds_read_b128 v[11:14], v47 offset:2080
	s_waitcnt lgkmcnt(1)
	v_fmac_f32_e32 v56, v15, v6
	v_fmac_f32_e32 v54, v16, v6
	s_waitcnt lgkmcnt(0)
	v_fmac_f32_e32 v53, v15, v11
	v_fmac_f32_e32 v37, v16, v11
	ds_read2_b32 v[15:16], v10 offset0:32 offset1:48
	s_waitcnt lgkmcnt(0)
	v_fmac_f32_e32 v56, v15, v7
	v_fmac_f32_e32 v54, v16, v7
	ds_read2_b32 v[6:7], v10 offset0:64 offset1:80
	v_fmac_f32_e32 v53, v15, v12
	v_fmac_f32_e32 v37, v16, v12
	ds_read2_b32 v[11:12], v10 offset0:128 offset1:144
	s_waitcnt lgkmcnt(1)
	v_fmac_f32_e32 v56, v6, v8
	v_fmac_f32_e32 v54, v7, v8
	;; [unrolled: 1-line block ×4, first 2 shown]
	ds_read2_b32 v[6:7], v10 offset0:96 offset1:112
	s_waitcnt lgkmcnt(0)
	v_fmac_f32_e32 v56, v6, v9
	v_fmac_f32_e32 v54, v7, v9
	;; [unrolled: 1-line block ×4, first 2 shown]
	ds_read_b128 v[6:9], v47 offset:2096
	v_fmac_f32_e32 v56, v11, v2
	v_fmac_f32_e32 v54, v12, v2
	s_waitcnt lgkmcnt(0)
	v_fmac_f32_e32 v53, v11, v6
	v_fmac_f32_e32 v37, v12, v6
	ds_read2_b32 v[11:12], v10 offset0:160 offset1:176
	s_waitcnt lgkmcnt(0)
	v_fmac_f32_e32 v56, v11, v3
	v_fmac_f32_e32 v54, v12, v3
	ds_read2_b32 v[2:3], v10 offset0:192 offset1:208
	v_fmac_f32_e32 v53, v11, v7
	v_fmac_f32_e32 v37, v12, v7
	s_waitcnt lgkmcnt(0)
	v_fmac_f32_e32 v56, v2, v4
	v_fmac_f32_e32 v54, v3, v4
	;; [unrolled: 1-line block ×4, first 2 shown]
	ds_read2_b32 v[2:3], v10 offset0:224 offset1:240
	v_add_u32_e32 v10, 0x800, v45
	ds_read2_b32 v[11:12], v10 offset1:16
	s_waitcnt lgkmcnt(1)
	v_fmac_f32_e32 v56, v2, v5
	v_fmac_f32_e32 v54, v3, v5
	;; [unrolled: 1-line block ×4, first 2 shown]
	ds_read_b128 v[2:5], v47 offset:64
	ds_read_b128 v[6:9], v47 offset:2112
	s_waitcnt lgkmcnt(1)
	v_fmac_f32_e32 v56, v11, v2
	v_fmac_f32_e32 v54, v12, v2
	s_waitcnt lgkmcnt(0)
	v_fmac_f32_e32 v53, v11, v6
	v_fmac_f32_e32 v37, v12, v6
	ds_read2_b32 v[11:12], v10 offset0:32 offset1:48
	s_waitcnt lgkmcnt(0)
	v_fmac_f32_e32 v56, v11, v3
	v_fmac_f32_e32 v54, v12, v3
	ds_read2_b32 v[2:3], v10 offset0:64 offset1:80
	v_fmac_f32_e32 v53, v11, v7
	v_fmac_f32_e32 v37, v12, v7
	s_waitcnt lgkmcnt(0)
	v_fmac_f32_e32 v56, v2, v4
	v_fmac_f32_e32 v54, v3, v4
	;; [unrolled: 1-line block ×4, first 2 shown]
	ds_read2_b32 v[2:3], v10 offset0:96 offset1:112
	s_waitcnt lgkmcnt(0)
	v_fmac_f32_e32 v56, v2, v5
	v_fmac_f32_e32 v54, v3, v5
	;; [unrolled: 1-line block ×4, first 2 shown]
	ds_read_b128 v[2:5], v47 offset:80
	ds_read2_b32 v[11:12], v10 offset0:128 offset1:144
	ds_read_b128 v[6:9], v47 offset:2128
	s_waitcnt lgkmcnt(1)
	v_fmac_f32_e32 v56, v11, v2
	v_fmac_f32_e32 v54, v12, v2
	s_waitcnt lgkmcnt(0)
	v_fmac_f32_e32 v53, v11, v6
	v_fmac_f32_e32 v37, v12, v6
	ds_read2_b32 v[11:12], v10 offset0:160 offset1:176
	s_waitcnt lgkmcnt(0)
	v_fmac_f32_e32 v56, v11, v3
	v_fmac_f32_e32 v54, v12, v3
	ds_read2_b32 v[2:3], v10 offset0:192 offset1:208
	v_fmac_f32_e32 v53, v11, v7
	v_fmac_f32_e32 v37, v12, v7
	s_waitcnt lgkmcnt(0)
	v_fmac_f32_e32 v56, v2, v4
	v_fmac_f32_e32 v54, v3, v4
	;; [unrolled: 1-line block ×4, first 2 shown]
	ds_read2_b32 v[2:3], v10 offset0:224 offset1:240
	v_add_u32_e32 v10, 0xc00, v45
	ds_read2_b32 v[11:12], v10 offset1:16
	s_waitcnt lgkmcnt(1)
	v_fmac_f32_e32 v56, v2, v5
	v_fmac_f32_e32 v54, v3, v5
	;; [unrolled: 1-line block ×4, first 2 shown]
	ds_read_b128 v[2:5], v47 offset:96
	ds_read_b128 v[6:9], v47 offset:2144
	s_waitcnt lgkmcnt(1)
	v_fmac_f32_e32 v56, v11, v2
	v_fmac_f32_e32 v54, v12, v2
	s_waitcnt lgkmcnt(0)
	v_fmac_f32_e32 v53, v11, v6
	v_fmac_f32_e32 v37, v12, v6
	ds_read2_b32 v[11:12], v10 offset0:32 offset1:48
	s_waitcnt lgkmcnt(0)
	v_fmac_f32_e32 v56, v11, v3
	v_fmac_f32_e32 v54, v12, v3
	ds_read2_b32 v[2:3], v10 offset0:64 offset1:80
	v_fmac_f32_e32 v53, v11, v7
	v_fmac_f32_e32 v37, v12, v7
	s_waitcnt lgkmcnt(0)
	v_fmac_f32_e32 v56, v2, v4
	v_fmac_f32_e32 v54, v3, v4
	;; [unrolled: 1-line block ×4, first 2 shown]
	ds_read2_b32 v[2:3], v10 offset0:96 offset1:112
	s_waitcnt lgkmcnt(0)
	v_fmac_f32_e32 v56, v2, v5
	v_fmac_f32_e32 v54, v3, v5
	;; [unrolled: 1-line block ×4, first 2 shown]
	ds_read_b128 v[2:5], v47 offset:112
	ds_read2_b32 v[11:12], v10 offset0:128 offset1:144
	ds_read_b128 v[6:9], v47 offset:2160
	s_waitcnt lgkmcnt(1)
	v_fmac_f32_e32 v56, v11, v2
	v_fmac_f32_e32 v54, v12, v2
	s_waitcnt lgkmcnt(0)
	v_fmac_f32_e32 v53, v11, v6
	v_fmac_f32_e32 v37, v12, v6
	ds_read2_b32 v[11:12], v10 offset0:160 offset1:176
	s_waitcnt lgkmcnt(0)
	v_fmac_f32_e32 v56, v11, v3
	v_fmac_f32_e32 v54, v12, v3
	ds_read2_b32 v[2:3], v10 offset0:192 offset1:208
	v_fmac_f32_e32 v53, v11, v7
	v_fmac_f32_e32 v37, v12, v7
	s_waitcnt lgkmcnt(0)
	v_fmac_f32_e32 v56, v2, v4
	v_fmac_f32_e32 v54, v3, v4
	;; [unrolled: 1-line block ×4, first 2 shown]
	ds_read2_b32 v[2:3], v10 offset0:224 offset1:240
	s_waitcnt lgkmcnt(0)
	s_barrier
	v_fmac_f32_e32 v56, v2, v5
	v_fmac_f32_e32 v54, v3, v5
	;; [unrolled: 1-line block ×4, first 2 shown]
	s_cbranch_scc1 .LBB7_43
.LBB7_7:                                ;   Parent Loop BB7_4 Depth=1
                                        ; =>  This Inner Loop Header: Depth=2
	v_mov_b32_e32 v2, s27
	v_add_co_u32_e64 v4, s[10:11], s26, v1
	v_addc_co_u32_e64 v5, s[10:11], 0, v2, s[10:11]
	v_mov_b32_e32 v3, s23
	v_add_co_u32_e64 v2, s[10:11], s22, v43
	v_addc_co_u32_e64 v3, s[10:11], v44, v3, s[10:11]
	v_cmp_le_i64_e64 s[12:13], s[38:39], v[4:5]
	v_cmp_eq_u64_e64 s[16:17], s[26:27], v[22:23]
	v_cmp_gt_i64_e64 s[10:11], v[4:5], v[18:19]
	s_and_b64 s[28:29], s[36:37], s[16:17]
	s_or_b64 s[16:17], s[12:13], s[10:11]
	s_or_b64 s[16:17], s[16:17], s[28:29]
	s_nor_b64 s[16:17], s[0:1], s[16:17]
                                        ; implicit-def: $vgpr6
	s_and_saveexec_b64 s[18:19], s[16:17]
	s_xor_b64 s[16:17], exec, s[18:19]
	s_cbranch_execz .LBB7_9
; %bb.8:                                ;   in Loop: Header=BB7_7 Depth=2
	global_load_dword v6, v[2:3], off
.LBB7_9:                                ;   in Loop: Header=BB7_7 Depth=2
	s_andn2_saveexec_b64 s[16:17], s[16:17]
	s_cbranch_execz .LBB7_11
; %bb.10:                               ;   in Loop: Header=BB7_7 Depth=2
	s_waitcnt vmcnt(0)
	v_cndmask_b32_e64 v6, 0, 1.0, s[28:29]
.LBB7_11:                               ;   in Loop: Header=BB7_7 Depth=2
	s_or_b64 exec, exec, s[16:17]
	v_cmp_eq_u64_e64 s[16:17], s[26:27], v[24:25]
	v_cmp_lt_i64_e64 s[18:19], v[20:21], v[4:5]
	s_and_b64 s[16:17], s[36:37], s[16:17]
	s_or_b64 s[12:13], s[12:13], s[18:19]
	s_or_b64 s[12:13], s[12:13], s[16:17]
	s_nor_b64 s[12:13], s[2:3], s[12:13]
	s_waitcnt vmcnt(0)
	ds_write_b32 v46, v6
	s_and_saveexec_b64 s[18:19], s[12:13]
	s_xor_b64 s[18:19], exec, s[18:19]
	s_cbranch_execz .LBB7_13
; %bb.12:                               ;   in Loop: Header=BB7_7 Depth=2
	v_mov_b32_e32 v7, s23
	v_add_co_u32_e64 v6, s[12:13], s22, v48
	v_addc_co_u32_e64 v7, s[12:13], v49, v7, s[12:13]
	global_load_dword v6, v[6:7], off
	s_waitcnt vmcnt(0)
	ds_write_b32 v46, v6 offset:64
.LBB7_13:                               ;   in Loop: Header=BB7_7 Depth=2
	s_andn2_saveexec_b64 s[12:13], s[18:19]
	s_cbranch_execz .LBB7_19
; %bb.14:                               ;   in Loop: Header=BB7_7 Depth=2
	s_xor_b64 s[16:17], s[16:17], -1
	s_and_saveexec_b64 s[18:19], s[16:17]
	s_xor_b64 s[16:17], exec, s[18:19]
; %bb.15:                               ;   in Loop: Header=BB7_7 Depth=2
	ds_write_b32 v46, v42 offset:64
; %bb.16:                               ;   in Loop: Header=BB7_7 Depth=2
	s_andn2_saveexec_b64 s[16:17], s[16:17]
; %bb.17:                               ;   in Loop: Header=BB7_7 Depth=2
	ds_write_b32 v46, v51 offset:64
; %bb.18:                               ;   in Loop: Header=BB7_7 Depth=2
	s_or_b64 exec, exec, s[16:17]
.LBB7_19:                               ;   in Loop: Header=BB7_7 Depth=2
	s_or_b64 exec, exec, s[12:13]
	v_add_co_u32_e64 v4, s[12:13], 16, v4
	v_addc_co_u32_e64 v5, s[12:13], 0, v5, s[12:13]
	v_cmp_le_i64_e64 s[12:13], s[38:39], v[4:5]
	v_cmp_eq_u64_e64 s[16:17], s[26:27], v[30:31]
	v_cmp_gt_i64_e64 s[18:19], v[4:5], v[18:19]
	s_and_b64 s[16:17], s[36:37], s[16:17]
	s_or_b64 s[18:19], s[12:13], s[18:19]
	s_or_b64 s[18:19], s[18:19], s[16:17]
	s_nor_b64 s[18:19], s[0:1], s[18:19]
                                        ; implicit-def: $vgpr4
	s_and_saveexec_b64 s[50:51], s[18:19]
	s_xor_b64 s[18:19], exec, s[50:51]
	s_cbranch_execz .LBB7_21
; %bb.20:                               ;   in Loop: Header=BB7_7 Depth=2
	global_load_dword v4, v[2:3], off offset:64
.LBB7_21:                               ;   in Loop: Header=BB7_7 Depth=2
	s_andn2_saveexec_b64 s[18:19], s[18:19]
	s_cbranch_execz .LBB7_23
; %bb.22:                               ;   in Loop: Header=BB7_7 Depth=2
	s_waitcnt vmcnt(0)
	v_cndmask_b32_e64 v4, 0, 1.0, s[16:17]
.LBB7_23:                               ;   in Loop: Header=BB7_7 Depth=2
	s_or_b64 exec, exec, s[18:19]
	s_or_b64 s[10:11], s[12:13], s[10:11]
	s_or_b64 s[10:11], s[10:11], s[28:29]
	s_nor_b64 s[10:11], s[2:3], s[10:11]
	s_waitcnt vmcnt(0)
	ds_write_b32 v46, v4 offset:2048
	s_and_saveexec_b64 s[12:13], s[10:11]
	s_xor_b64 s[12:13], exec, s[12:13]
	s_cbranch_execz .LBB7_25
; %bb.24:                               ;   in Loop: Header=BB7_7 Depth=2
	v_mov_b32_e32 v3, s23
	v_add_co_u32_e64 v2, s[10:11], s22, v48
	v_addc_co_u32_e64 v3, s[10:11], v49, v3, s[10:11]
	global_load_dword v2, v[2:3], off offset:64
	s_waitcnt vmcnt(0)
	ds_write_b32 v46, v2 offset:2112
.LBB7_25:                               ;   in Loop: Header=BB7_7 Depth=2
	s_andn2_saveexec_b64 s[10:11], s[12:13]
	s_cbranch_execz .LBB7_31
; %bb.26:                               ;   in Loop: Header=BB7_7 Depth=2
	s_xor_b64 s[12:13], s[28:29], -1
	s_and_saveexec_b64 s[16:17], s[12:13]
	s_xor_b64 s[12:13], exec, s[16:17]
; %bb.27:                               ;   in Loop: Header=BB7_7 Depth=2
	ds_write_b32 v46, v42 offset:2112
; %bb.28:                               ;   in Loop: Header=BB7_7 Depth=2
	s_andn2_saveexec_b64 s[12:13], s[12:13]
; %bb.29:                               ;   in Loop: Header=BB7_7 Depth=2
	ds_write_b32 v46, v51 offset:2112
; %bb.30:                               ;   in Loop: Header=BB7_7 Depth=2
	s_or_b64 exec, exec, s[12:13]
.LBB7_31:                               ;   in Loop: Header=BB7_7 Depth=2
	s_or_b64 exec, exec, s[10:11]
	v_mov_b32_e32 v2, s27
	v_add_co_u32_e64 v4, s[10:11], s26, v0
	v_addc_co_u32_e64 v5, s[10:11], 0, v2, s[10:11]
	v_cmp_gt_i64_e64 s[10:11], s[38:39], v[4:5]
	v_mov_b32_e32 v3, s23
	v_add_co_u32_e64 v2, s[12:13], s22, v38
	v_addc_co_u32_e64 v3, s[12:13], v39, v3, s[12:13]
	s_and_b64 s[16:17], vcc, s[10:11]
	v_mov_b32_e32 v6, 0
	s_and_saveexec_b64 s[12:13], s[16:17]
	s_cbranch_execz .LBB7_33
; %bb.32:                               ;   in Loop: Header=BB7_7 Depth=2
	global_load_dword v6, v[2:3], off offset:-64
.LBB7_33:                               ;   in Loop: Header=BB7_7 Depth=2
	s_or_b64 exec, exec, s[12:13]
	v_cmp_gt_i64_e64 s[12:13], s[42:43], v[4:5]
	s_waitcnt vmcnt(0)
	ds_write_b32 v50, v6
	s_and_b64 s[16:17], vcc, s[12:13]
	s_xor_b64 s[16:17], s[16:17], -1
	s_and_saveexec_b64 s[18:19], s[16:17]
	s_xor_b64 s[16:17], exec, s[18:19]
; %bb.34:                               ;   in Loop: Header=BB7_7 Depth=2
	ds_write_b32 v50, v42 offset:64
                                        ; implicit-def: $vgpr2_vgpr3
; %bb.35:                               ;   in Loop: Header=BB7_7 Depth=2
	s_andn2_saveexec_b64 s[16:17], s[16:17]
	s_cbranch_execz .LBB7_37
; %bb.36:                               ;   in Loop: Header=BB7_7 Depth=2
	global_load_dword v2, v[2:3], off
	s_waitcnt vmcnt(0)
	ds_write_b32 v50, v2 offset:64
.LBB7_37:                               ;   in Loop: Header=BB7_7 Depth=2
	s_or_b64 exec, exec, s[16:17]
	v_mov_b32_e32 v3, s23
	v_add_co_u32_e64 v2, s[16:17], s22, v40
	v_addc_co_u32_e64 v3, s[16:17], v41, v3, s[16:17]
	s_and_b64 s[16:17], s[8:9], s[10:11]
	v_mov_b32_e32 v4, 0
	s_and_saveexec_b64 s[10:11], s[16:17]
	s_cbranch_execz .LBB7_39
; %bb.38:                               ;   in Loop: Header=BB7_7 Depth=2
	global_load_dword v4, v[2:3], off
.LBB7_39:                               ;   in Loop: Header=BB7_7 Depth=2
	s_or_b64 exec, exec, s[10:11]
	s_and_b64 s[10:11], s[8:9], s[12:13]
	s_xor_b64 s[10:11], s[10:11], -1
	s_waitcnt vmcnt(0)
	ds_write_b32 v50, v4 offset:2048
	s_and_saveexec_b64 s[12:13], s[10:11]
	s_xor_b64 s[10:11], exec, s[12:13]
; %bb.40:                               ;   in Loop: Header=BB7_7 Depth=2
	ds_write_b32 v50, v42 offset:2112
                                        ; implicit-def: $vgpr2_vgpr3
; %bb.41:                               ;   in Loop: Header=BB7_7 Depth=2
	s_andn2_saveexec_b64 s[10:11], s[10:11]
	s_cbranch_execz .LBB7_6
; %bb.42:                               ;   in Loop: Header=BB7_7 Depth=2
	global_load_dword v2, v[2:3], off offset:64
	s_waitcnt vmcnt(0)
	ds_write_b32 v50, v2 offset:2112
	s_branch .LBB7_6
.LBB7_43:                               ;   in Loop: Header=BB7_4 Depth=1
	v_mul_lo_u32 v4, s41, v52
	v_mul_lo_u32 v5, s40, v55
	v_mad_u64_u32 v[2:3], s[8:9], s40, v52, 0
	v_cmp_gt_i32_e32 vcc, s30, v52
	v_add3_u32 v3, v3, v5, v4
	v_lshlrev_b64 v[2:3], 2, v[2:3]
	v_mov_b32_e32 v4, s45
	v_add_co_u32_e64 v2, s[8:9], s44, v2
	v_addc_co_u32_e64 v3, s[8:9], v4, v3, s[8:9]
	s_and_b64 s[8:9], s[4:5], vcc
	s_and_saveexec_b64 s[10:11], s[8:9]
	s_cbranch_execz .LBB7_45
; %bb.44:                               ;   in Loop: Header=BB7_4 Depth=1
	v_add_co_u32_e64 v4, s[8:9], v2, v26
	v_addc_co_u32_e64 v5, s[8:9], v3, v27, s[8:9]
	global_load_dword v6, v[4:5], off
	s_waitcnt vmcnt(0)
	v_fmac_f32_e32 v6, s31, v56
	global_store_dword v[4:5], v6, off
.LBB7_45:                               ;   in Loop: Header=BB7_4 Depth=1
	s_or_b64 exec, exec, s[10:11]
	s_and_b64 s[10:11], s[14:15], vcc
	s_and_saveexec_b64 s[8:9], s[10:11]
	s_cbranch_execz .LBB7_47
; %bb.46:                               ;   in Loop: Header=BB7_4 Depth=1
	v_add_co_u32_e32 v2, vcc, v2, v34
	v_addc_co_u32_e32 v3, vcc, v3, v35, vcc
	global_load_dword v4, v[2:3], off
	s_waitcnt vmcnt(0)
	v_fmac_f32_e32 v4, s31, v54
	global_store_dword v[2:3], v4, off
.LBB7_47:                               ;   in Loop: Header=BB7_4 Depth=1
	s_or_b64 exec, exec, s[8:9]
	v_add_u32_e32 v4, 16, v52
	v_ashrrev_i32_e32 v2, 31, v4
	v_mul_lo_u32 v5, s40, v2
	v_mul_lo_u32 v6, s41, v4
	v_mad_u64_u32 v[2:3], s[8:9], s40, v4, 0
	v_cmp_gt_i32_e32 vcc, s30, v4
	v_mov_b32_e32 v4, s45
	v_add3_u32 v3, v3, v5, v6
	v_lshlrev_b64 v[2:3], 2, v[2:3]
	v_add_co_u32_e64 v2, s[8:9], s44, v2
	v_addc_co_u32_e64 v3, s[8:9], v4, v3, s[8:9]
	s_and_b64 s[8:9], s[4:5], vcc
	s_and_saveexec_b64 s[10:11], s[8:9]
	s_cbranch_execz .LBB7_49
; %bb.48:                               ;   in Loop: Header=BB7_4 Depth=1
	v_add_co_u32_e64 v4, s[8:9], v2, v26
	v_addc_co_u32_e64 v5, s[8:9], v3, v27, s[8:9]
	global_load_dword v6, v[4:5], off
	s_waitcnt vmcnt(0)
	v_fmac_f32_e32 v6, s31, v53
	global_store_dword v[4:5], v6, off
.LBB7_49:                               ;   in Loop: Header=BB7_4 Depth=1
	s_or_b64 exec, exec, s[10:11]
	s_and_b64 s[10:11], s[14:15], vcc
	s_and_saveexec_b64 s[8:9], s[10:11]
	s_cbranch_execz .LBB7_3
; %bb.50:                               ;   in Loop: Header=BB7_4 Depth=1
	v_add_co_u32_e32 v2, vcc, v2, v34
	v_addc_co_u32_e32 v3, vcc, v3, v35, vcc
	global_load_dword v4, v[2:3], off
	s_waitcnt vmcnt(0)
	v_fmac_f32_e32 v4, s31, v37
	global_store_dword v[2:3], v4, off
	s_branch .LBB7_3
.LBB7_51:
	s_endpgm
	.section	.rodata,"a",@progbits
	.p2align	6, 0x0
	.amdhsa_kernel _ZL30rocblas_trmm_outofplace_kernelIfLi32ELi2ELb1ELb1ELb1ELb0EfKffEv17rocblas_diagonal_iiT6_lPT7_lllS4_lllPT8_llli
		.amdhsa_group_segment_fixed_size 8192
		.amdhsa_private_segment_fixed_size 0
		.amdhsa_kernarg_size 384
		.amdhsa_user_sgpr_count 6
		.amdhsa_user_sgpr_private_segment_buffer 1
		.amdhsa_user_sgpr_dispatch_ptr 0
		.amdhsa_user_sgpr_queue_ptr 0
		.amdhsa_user_sgpr_kernarg_segment_ptr 1
		.amdhsa_user_sgpr_dispatch_id 0
		.amdhsa_user_sgpr_flat_scratch_init 0
		.amdhsa_user_sgpr_private_segment_size 0
		.amdhsa_uses_dynamic_stack 0
		.amdhsa_system_sgpr_private_segment_wavefront_offset 0
		.amdhsa_system_sgpr_workgroup_id_x 1
		.amdhsa_system_sgpr_workgroup_id_y 1
		.amdhsa_system_sgpr_workgroup_id_z 1
		.amdhsa_system_sgpr_workgroup_info 0
		.amdhsa_system_vgpr_workitem_id 1
		.amdhsa_next_free_vgpr 63
		.amdhsa_next_free_sgpr 61
		.amdhsa_reserve_vcc 1
		.amdhsa_reserve_flat_scratch 0
		.amdhsa_float_round_mode_32 0
		.amdhsa_float_round_mode_16_64 0
		.amdhsa_float_denorm_mode_32 3
		.amdhsa_float_denorm_mode_16_64 3
		.amdhsa_dx10_clamp 1
		.amdhsa_ieee_mode 1
		.amdhsa_fp16_overflow 0
		.amdhsa_exception_fp_ieee_invalid_op 0
		.amdhsa_exception_fp_denorm_src 0
		.amdhsa_exception_fp_ieee_div_zero 0
		.amdhsa_exception_fp_ieee_overflow 0
		.amdhsa_exception_fp_ieee_underflow 0
		.amdhsa_exception_fp_ieee_inexact 0
		.amdhsa_exception_int_div_zero 0
	.end_amdhsa_kernel
	.section	.text._ZL30rocblas_trmm_outofplace_kernelIfLi32ELi2ELb1ELb1ELb1ELb0EfKffEv17rocblas_diagonal_iiT6_lPT7_lllS4_lllPT8_llli,"axG",@progbits,_ZL30rocblas_trmm_outofplace_kernelIfLi32ELi2ELb1ELb1ELb1ELb0EfKffEv17rocblas_diagonal_iiT6_lPT7_lllS4_lllPT8_llli,comdat
.Lfunc_end7:
	.size	_ZL30rocblas_trmm_outofplace_kernelIfLi32ELi2ELb1ELb1ELb1ELb0EfKffEv17rocblas_diagonal_iiT6_lPT7_lllS4_lllPT8_llli, .Lfunc_end7-_ZL30rocblas_trmm_outofplace_kernelIfLi32ELi2ELb1ELb1ELb1ELb0EfKffEv17rocblas_diagonal_iiT6_lPT7_lllS4_lllPT8_llli
                                        ; -- End function
	.set _ZL30rocblas_trmm_outofplace_kernelIfLi32ELi2ELb1ELb1ELb1ELb0EfKffEv17rocblas_diagonal_iiT6_lPT7_lllS4_lllPT8_llli.num_vgpr, 63
	.set _ZL30rocblas_trmm_outofplace_kernelIfLi32ELi2ELb1ELb1ELb1ELb0EfKffEv17rocblas_diagonal_iiT6_lPT7_lllS4_lllPT8_llli.num_agpr, 0
	.set _ZL30rocblas_trmm_outofplace_kernelIfLi32ELi2ELb1ELb1ELb1ELb0EfKffEv17rocblas_diagonal_iiT6_lPT7_lllS4_lllPT8_llli.numbered_sgpr, 52
	.set _ZL30rocblas_trmm_outofplace_kernelIfLi32ELi2ELb1ELb1ELb1ELb0EfKffEv17rocblas_diagonal_iiT6_lPT7_lllS4_lllPT8_llli.num_named_barrier, 0
	.set _ZL30rocblas_trmm_outofplace_kernelIfLi32ELi2ELb1ELb1ELb1ELb0EfKffEv17rocblas_diagonal_iiT6_lPT7_lllS4_lllPT8_llli.private_seg_size, 0
	.set _ZL30rocblas_trmm_outofplace_kernelIfLi32ELi2ELb1ELb1ELb1ELb0EfKffEv17rocblas_diagonal_iiT6_lPT7_lllS4_lllPT8_llli.uses_vcc, 1
	.set _ZL30rocblas_trmm_outofplace_kernelIfLi32ELi2ELb1ELb1ELb1ELb0EfKffEv17rocblas_diagonal_iiT6_lPT7_lllS4_lllPT8_llli.uses_flat_scratch, 0
	.set _ZL30rocblas_trmm_outofplace_kernelIfLi32ELi2ELb1ELb1ELb1ELb0EfKffEv17rocblas_diagonal_iiT6_lPT7_lllS4_lllPT8_llli.has_dyn_sized_stack, 0
	.set _ZL30rocblas_trmm_outofplace_kernelIfLi32ELi2ELb1ELb1ELb1ELb0EfKffEv17rocblas_diagonal_iiT6_lPT7_lllS4_lllPT8_llli.has_recursion, 0
	.set _ZL30rocblas_trmm_outofplace_kernelIfLi32ELi2ELb1ELb1ELb1ELb0EfKffEv17rocblas_diagonal_iiT6_lPT7_lllS4_lllPT8_llli.has_indirect_call, 0
	.section	.AMDGPU.csdata,"",@progbits
; Kernel info:
; codeLenInByte = 2976
; TotalNumSgprs: 56
; NumVgprs: 63
; ScratchSize: 0
; MemoryBound: 0
; FloatMode: 240
; IeeeMode: 1
; LDSByteSize: 8192 bytes/workgroup (compile time only)
; SGPRBlocks: 8
; VGPRBlocks: 15
; NumSGPRsForWavesPerEU: 65
; NumVGPRsForWavesPerEU: 63
; Occupancy: 4
; WaveLimiterHint : 0
; COMPUTE_PGM_RSRC2:SCRATCH_EN: 0
; COMPUTE_PGM_RSRC2:USER_SGPR: 6
; COMPUTE_PGM_RSRC2:TRAP_HANDLER: 0
; COMPUTE_PGM_RSRC2:TGID_X_EN: 1
; COMPUTE_PGM_RSRC2:TGID_Y_EN: 1
; COMPUTE_PGM_RSRC2:TGID_Z_EN: 1
; COMPUTE_PGM_RSRC2:TIDIG_COMP_CNT: 1
	.section	.text._ZL30rocblas_trmm_outofplace_kernelIfLi32ELi2ELb1ELb0ELb1ELb1EPKfS0_fEv17rocblas_diagonal_iiT6_lPT7_lllS5_lllPT8_llli,"axG",@progbits,_ZL30rocblas_trmm_outofplace_kernelIfLi32ELi2ELb1ELb0ELb1ELb1EPKfS0_fEv17rocblas_diagonal_iiT6_lPT7_lllS5_lllPT8_llli,comdat
	.globl	_ZL30rocblas_trmm_outofplace_kernelIfLi32ELi2ELb1ELb0ELb1ELb1EPKfS0_fEv17rocblas_diagonal_iiT6_lPT7_lllS5_lllPT8_llli ; -- Begin function _ZL30rocblas_trmm_outofplace_kernelIfLi32ELi2ELb1ELb0ELb1ELb1EPKfS0_fEv17rocblas_diagonal_iiT6_lPT7_lllS5_lllPT8_llli
	.p2align	8
	.type	_ZL30rocblas_trmm_outofplace_kernelIfLi32ELi2ELb1ELb0ELb1ELb1EPKfS0_fEv17rocblas_diagonal_iiT6_lPT7_lllS5_lllPT8_llli,@function
_ZL30rocblas_trmm_outofplace_kernelIfLi32ELi2ELb1ELb0ELb1ELb1EPKfS0_fEv17rocblas_diagonal_iiT6_lPT7_lllS5_lllPT8_llli: ; @_ZL30rocblas_trmm_outofplace_kernelIfLi32ELi2ELb1ELb0ELb1ELb1EPKfS0_fEv17rocblas_diagonal_iiT6_lPT7_lllS5_lllPT8_llli
; %bb.0:
	s_load_dwordx16 s[12:27], s[4:5], 0x10
	s_waitcnt lgkmcnt(0)
	s_mul_i32 s0, s15, s8
	s_mul_hi_u32 s1, s14, s8
	s_add_i32 s1, s1, s0
	s_mul_i32 s0, s14, s8
	s_lshl_b64 s[0:1], s[0:1], 2
	s_add_u32 s0, s12, s0
	s_addc_u32 s1, s13, s1
	s_load_dword s33, s[0:1], 0x0
	s_waitcnt lgkmcnt(0)
	v_cmp_eq_f32_e64 s[0:1], s33, 0
	s_and_b64 vcc, exec, s[0:1]
	s_cbranch_vccnz .LBB8_51
; %bb.1:
	s_load_dwordx4 s[28:31], s[4:5], 0x0
	s_waitcnt lgkmcnt(0)
	s_add_i32 s0, s30, -1
	s_ashr_i32 s1, s0, 31
	s_lshr_b32 s1, s1, 27
	s_add_i32 s0, s0, s1
	s_ashr_i32 s31, s0, 5
	s_cmp_gt_i32 s7, s31
	s_cbranch_scc1 .LBB8_51
; %bb.2:
	s_mul_i32 s0, s23, s8
	s_mul_hi_u32 s1, s22, s8
	s_load_dwordx8 s[36:43], s[4:5], 0x50
	s_load_dwordx4 s[44:47], s[4:5], 0x70
	s_add_i32 s1, s1, s0
	s_mul_i32 s0, s22, s8
	s_lshl_b64 s[10:11], s[0:1], 2
	s_add_u32 s0, s16, s10
	s_addc_u32 s1, s17, s11
	s_lshl_b64 s[12:13], s[18:19], 2
	s_add_u32 s2, s0, s12
	s_addc_u32 s3, s1, s13
	s_waitcnt lgkmcnt(0)
	s_mul_i32 s0, s47, s8
	s_mul_hi_u32 s1, s46, s8
	s_add_i32 s1, s1, s0
	s_mul_i32 s0, s46, s8
	s_lshl_b64 s[0:1], s[0:1], 2
	s_load_dword s48, s[4:5], 0x8c
	s_add_u32 s4, s40, s0
	s_addc_u32 s5, s41, s1
	s_lshl_b64 s[0:1], s[42:43], 2
	s_add_u32 s46, s4, s0
	s_addc_u32 s47, s5, s1
	s_lshl_b32 s4, s6, 5
	v_add_u32_e32 v18, s4, v0
	v_ashrrev_i32_e32 v19, 31, v18
	v_mul_lo_u32 v4, s20, v19
	v_mul_lo_u32 v5, s21, v18
	v_mad_u64_u32 v[2:3], s[0:1], s20, v18, 0
	s_sub_i32 s6, s29, s4
	v_add_u32_e32 v20, s4, v1
	v_add3_u32 v3, v3, v4, v5
	v_lshlrev_b64 v[2:3], 2, v[2:3]
	s_cmp_gt_i32 s6, 0
	v_ashrrev_i32_e32 v21, 31, v20
	v_mov_b32_e32 v4, s3
	v_add_co_u32_e32 v5, vcc, s2, v2
	s_cselect_b64 s[22:23], -1, 0
	s_cmpk_eq_i32 s28, 0x84
	v_addc_co_u32_e32 v4, vcc, v4, v3, vcc
	v_lshlrev_b64 v[2:3], 2, v[20:21]
	s_cselect_b64 s[34:35], -1, 0
	s_ashr_i32 s41, s29, 31
	s_ashr_i32 s49, s30, 31
	s_add_u32 s42, s29, -16
	s_mul_i32 s9, s39, s8
	s_mul_hi_u32 s18, s38, s8
	v_add_co_u32_e32 v44, vcc, v5, v2
	s_addc_u32 s43, s41, -1
	s_add_i32 s9, s18, s9
	s_mul_i32 s8, s38, s8
	v_addc_co_u32_e32 v45, vcc, v4, v3, vcc
	s_lshl_b64 s[8:9], s[8:9], 2
	s_lshl_b64 s[18:19], s[26:27], 2
	v_add_co_u32_e32 v22, vcc, 16, v18
	s_add_u32 s8, s8, s18
	v_addc_co_u32_e32 v23, vcc, 0, v19, vcc
	s_addc_u32 s9, s9, s19
	v_sub_co_u32_e32 v26, vcc, v18, v20
	v_lshlrev_b64 v[28:29], 2, v[18:19]
	s_add_u32 s8, s24, s8
	v_lshlrev_b32_e32 v4, 7, v1
	v_lshlrev_b32_e32 v0, 2, v0
	v_subb_co_u32_e32 v27, vcc, v19, v21, vcc
	s_addc_u32 s9, s25, s9
	v_add_u32_e32 v46, v0, v4
	v_add_u32_e32 v47, 0x1000, v4
	v_mov_b32_e32 v4, s9
	v_add_co_u32_e32 v30, vcc, s8, v28
	s_lshl_b64 s[24:25], s[36:37], 2
	s_waitcnt lgkmcnt(0)
	s_lshl_b32 s38, s48, 5
	v_addc_co_u32_e32 v31, vcc, v4, v29, vcc
	s_add_u32 s8, s12, s10
	v_add_co_u32_e32 v6, vcc, 64, v28
	s_addc_u32 s9, s13, s11
	v_mov_b32_e32 v4, s8
	v_addc_co_u32_e32 v7, vcc, 0, v29, vcc
	v_mov_b32_e32 v5, s9
	v_mad_u64_u32 v[4:5], s[8:9], s20, v6, v[4:5]
	v_mul_lo_u32 v7, s20, v7
	v_mul_lo_u32 v6, s21, v6
	v_add_co_u32_e32 v32, vcc, 16, v26
	v_addc_co_u32_e32 v33, vcc, 0, v27, vcc
	v_add_co_u32_e32 v34, vcc, -16, v26
	v_addc_co_u32_e32 v35, vcc, -1, v27, vcc
	v_add3_u32 v5, v6, v5, v7
	v_add_co_u32_e32 v2, vcc, v4, v2
	v_addc_co_u32_e32 v3, vcc, v5, v3, vcc
	v_mov_b32_e32 v4, s17
	v_add_co_u32_e32 v48, vcc, s16, v2
	s_mov_b32 s40, s29
	v_addc_co_u32_e32 v49, vcc, v4, v3, vcc
	v_cmp_le_i64_e64 s[2:3], s[40:41], v[22:23]
	v_add_u32_e32 v24, 16, v18
	v_add_co_u32_e32 v36, vcc, 64, v30
	v_cmp_le_i32_e64 s[0:1], s29, v18
	v_cmp_gt_i32_e64 s[4:5], s29, v18
	v_cmp_gt_i32_e64 s[14:15], s29, v24
	v_ashrrev_i32_e32 v25, 31, v24
	v_addc_co_u32_e32 v37, vcc, 0, v31, vcc
	v_add_u32_e32 v50, v47, v0
	v_mov_b32_e32 v51, 0
	v_mov_b32_e32 v52, 1.0
	v_lshl_add_u32 v38, s7, 5, v1
	s_branch .LBB8_4
.LBB8_3:                                ;   in Loop: Header=BB8_4 Depth=1
	s_or_b64 exec, exec, s[8:9]
	s_add_i32 s7, s48, s7
	s_cmp_le_i32 s7, s31
	v_add_u32_e32 v38, s38, v38
	s_cbranch_scc0 .LBB8_51
.LBB8_4:                                ; =>This Loop Header: Depth=1
                                        ;     Child Loop BB8_7 Depth 2
	v_lshl_add_u32 v53, s7, 5, v1
	v_ashrrev_i32_e32 v56, 31, v53
	s_andn2_b64 vcc, exec, s[22:23]
	v_mov_b32_e32 v57, 0
	v_mov_b32_e32 v55, 0
	;; [unrolled: 1-line block ×4, first 2 shown]
	s_cbranch_vccnz .LBB8_43
; %bb.5:                                ;   in Loop: Header=BB8_4 Depth=1
	v_ashrrev_i32_e32 v39, 31, v38
	v_lshlrev_b64 v[2:3], 2, v[38:39]
	v_mad_u64_u32 v[40:41], s[8:9], s24, v38, v[36:37]
	v_add_co_u32_e32 v2, vcc, 64, v2
	v_addc_co_u32_e32 v3, vcc, 0, v3, vcc
	v_mul_lo_u32 v3, s36, v3
	v_mul_lo_u32 v6, s37, v2
	v_mad_u64_u32 v[42:43], s[8:9], s36, v2, v[30:31]
	v_mul_lo_u32 v4, s25, v38
	v_mul_lo_u32 v5, s24, v39
	v_add3_u32 v43, v6, v43, v3
	v_mov_b32_e32 v3, s49
	v_sub_co_u32_e32 v2, vcc, s30, v53
	v_subb_co_u32_e32 v3, vcc, v3, v56, vcc
	v_cmp_lt_i64_e32 vcc, 0, v[2:3]
	v_cmp_lt_i64_e64 s[8:9], 16, v[2:3]
	v_add3_u32 v41, v4, v41, v5
	s_mov_b64 s[20:21], 0
	v_mov_b32_e32 v39, 0
	s_mov_b64 s[26:27], 0
	v_mov_b32_e32 v54, 0
	v_mov_b32_e32 v55, 0
	;; [unrolled: 1-line block ×3, first 2 shown]
	s_branch .LBB8_7
.LBB8_6:                                ;   in Loop: Header=BB8_7 Depth=2
	s_or_b64 exec, exec, s[10:11]
	s_waitcnt lgkmcnt(0)
	s_barrier
	ds_read_b128 v[14:17], v47
	ds_read_b128 v[10:13], v47 offset:16
	ds_read_b128 v[6:9], v47 offset:32
	;; [unrolled: 1-line block ×3, first 2 shown]
	ds_read2_b32 v[62:63], v0 offset1:16
	ds_read_b128 v[58:61], v47 offset:2048
	s_add_u32 s26, s26, 32
	s_addc_u32 s27, s27, 0
	s_add_u32 s20, s20, 0x80
	s_waitcnt lgkmcnt(1)
	v_fmac_f32_e32 v57, v62, v14
	v_fmac_f32_e32 v55, v63, v14
	s_waitcnt lgkmcnt(0)
	v_fmac_f32_e32 v54, v62, v58
	v_fmac_f32_e32 v39, v63, v58
	ds_read2_b32 v[62:63], v0 offset0:32 offset1:48
	s_addc_u32 s21, s21, 0
	s_cmp_ge_i32 s26, s6
	s_waitcnt lgkmcnt(0)
	v_fmac_f32_e32 v57, v62, v15
	v_fmac_f32_e32 v55, v63, v15
	ds_read2_b32 v[14:15], v0 offset0:64 offset1:80
	v_fmac_f32_e32 v54, v62, v59
	v_fmac_f32_e32 v39, v63, v59
	ds_read2_b32 v[58:59], v0 offset0:128 offset1:144
	s_waitcnt lgkmcnt(1)
	v_fmac_f32_e32 v57, v14, v16
	v_fmac_f32_e32 v55, v15, v16
	;; [unrolled: 1-line block ×4, first 2 shown]
	ds_read2_b32 v[14:15], v0 offset0:96 offset1:112
	s_waitcnt lgkmcnt(0)
	v_fmac_f32_e32 v57, v14, v17
	v_fmac_f32_e32 v55, v15, v17
	;; [unrolled: 1-line block ×4, first 2 shown]
	ds_read_b128 v[14:17], v47 offset:2064
	v_fmac_f32_e32 v57, v58, v10
	v_fmac_f32_e32 v55, v59, v10
	s_waitcnt lgkmcnt(0)
	v_fmac_f32_e32 v54, v58, v14
	v_fmac_f32_e32 v39, v59, v14
	ds_read2_b32 v[58:59], v0 offset0:160 offset1:176
	s_waitcnt lgkmcnt(0)
	v_fmac_f32_e32 v57, v58, v11
	v_fmac_f32_e32 v55, v59, v11
	ds_read2_b32 v[10:11], v0 offset0:192 offset1:208
	v_fmac_f32_e32 v54, v58, v15
	v_fmac_f32_e32 v39, v59, v15
	s_waitcnt lgkmcnt(0)
	v_fmac_f32_e32 v57, v10, v12
	v_fmac_f32_e32 v55, v11, v12
	;; [unrolled: 1-line block ×4, first 2 shown]
	ds_read2_b32 v[10:11], v0 offset0:224 offset1:240
	s_waitcnt lgkmcnt(0)
	v_fmac_f32_e32 v57, v10, v13
	v_fmac_f32_e32 v54, v10, v17
	v_add_u32_e32 v10, 0x400, v0
	v_fmac_f32_e32 v55, v11, v13
	v_fmac_f32_e32 v39, v11, v17
	ds_read2_b32 v[15:16], v10 offset1:16
	ds_read_b128 v[11:14], v47 offset:2080
	s_waitcnt lgkmcnt(1)
	v_fmac_f32_e32 v57, v15, v6
	v_fmac_f32_e32 v55, v16, v6
	s_waitcnt lgkmcnt(0)
	v_fmac_f32_e32 v54, v15, v11
	v_fmac_f32_e32 v39, v16, v11
	ds_read2_b32 v[15:16], v10 offset0:32 offset1:48
	s_waitcnt lgkmcnt(0)
	v_fmac_f32_e32 v57, v15, v7
	v_fmac_f32_e32 v55, v16, v7
	ds_read2_b32 v[6:7], v10 offset0:64 offset1:80
	v_fmac_f32_e32 v54, v15, v12
	v_fmac_f32_e32 v39, v16, v12
	ds_read2_b32 v[11:12], v10 offset0:128 offset1:144
	s_waitcnt lgkmcnt(1)
	v_fmac_f32_e32 v57, v6, v8
	v_fmac_f32_e32 v55, v7, v8
	;; [unrolled: 1-line block ×4, first 2 shown]
	ds_read2_b32 v[6:7], v10 offset0:96 offset1:112
	s_waitcnt lgkmcnt(0)
	v_fmac_f32_e32 v57, v6, v9
	v_fmac_f32_e32 v55, v7, v9
	;; [unrolled: 1-line block ×4, first 2 shown]
	ds_read_b128 v[6:9], v47 offset:2096
	v_fmac_f32_e32 v57, v11, v2
	v_fmac_f32_e32 v55, v12, v2
	s_waitcnt lgkmcnt(0)
	v_fmac_f32_e32 v54, v11, v6
	v_fmac_f32_e32 v39, v12, v6
	ds_read2_b32 v[11:12], v10 offset0:160 offset1:176
	s_waitcnt lgkmcnt(0)
	v_fmac_f32_e32 v57, v11, v3
	v_fmac_f32_e32 v55, v12, v3
	ds_read2_b32 v[2:3], v10 offset0:192 offset1:208
	v_fmac_f32_e32 v54, v11, v7
	v_fmac_f32_e32 v39, v12, v7
	s_waitcnt lgkmcnt(0)
	v_fmac_f32_e32 v57, v2, v4
	v_fmac_f32_e32 v55, v3, v4
	;; [unrolled: 1-line block ×4, first 2 shown]
	ds_read2_b32 v[2:3], v10 offset0:224 offset1:240
	v_add_u32_e32 v10, 0x800, v0
	ds_read2_b32 v[11:12], v10 offset1:16
	s_waitcnt lgkmcnt(1)
	v_fmac_f32_e32 v57, v2, v5
	v_fmac_f32_e32 v55, v3, v5
	;; [unrolled: 1-line block ×4, first 2 shown]
	ds_read_b128 v[2:5], v47 offset:64
	ds_read_b128 v[6:9], v47 offset:2112
	s_waitcnt lgkmcnt(1)
	v_fmac_f32_e32 v57, v11, v2
	v_fmac_f32_e32 v55, v12, v2
	s_waitcnt lgkmcnt(0)
	v_fmac_f32_e32 v54, v11, v6
	v_fmac_f32_e32 v39, v12, v6
	ds_read2_b32 v[11:12], v10 offset0:32 offset1:48
	s_waitcnt lgkmcnt(0)
	v_fmac_f32_e32 v57, v11, v3
	v_fmac_f32_e32 v55, v12, v3
	ds_read2_b32 v[2:3], v10 offset0:64 offset1:80
	v_fmac_f32_e32 v54, v11, v7
	v_fmac_f32_e32 v39, v12, v7
	s_waitcnt lgkmcnt(0)
	v_fmac_f32_e32 v57, v2, v4
	v_fmac_f32_e32 v55, v3, v4
	v_fmac_f32_e32 v54, v2, v8
	v_fmac_f32_e32 v39, v3, v8
	ds_read2_b32 v[2:3], v10 offset0:96 offset1:112
	s_waitcnt lgkmcnt(0)
	v_fmac_f32_e32 v57, v2, v5
	v_fmac_f32_e32 v55, v3, v5
	;; [unrolled: 1-line block ×4, first 2 shown]
	ds_read_b128 v[2:5], v47 offset:80
	ds_read2_b32 v[11:12], v10 offset0:128 offset1:144
	ds_read_b128 v[6:9], v47 offset:2128
	s_waitcnt lgkmcnt(1)
	v_fmac_f32_e32 v57, v11, v2
	v_fmac_f32_e32 v55, v12, v2
	s_waitcnt lgkmcnt(0)
	v_fmac_f32_e32 v54, v11, v6
	v_fmac_f32_e32 v39, v12, v6
	ds_read2_b32 v[11:12], v10 offset0:160 offset1:176
	s_waitcnt lgkmcnt(0)
	v_fmac_f32_e32 v57, v11, v3
	v_fmac_f32_e32 v55, v12, v3
	ds_read2_b32 v[2:3], v10 offset0:192 offset1:208
	v_fmac_f32_e32 v54, v11, v7
	v_fmac_f32_e32 v39, v12, v7
	s_waitcnt lgkmcnt(0)
	v_fmac_f32_e32 v57, v2, v4
	v_fmac_f32_e32 v55, v3, v4
	;; [unrolled: 1-line block ×4, first 2 shown]
	ds_read2_b32 v[2:3], v10 offset0:224 offset1:240
	v_add_u32_e32 v10, 0xc00, v0
	ds_read2_b32 v[11:12], v10 offset1:16
	s_waitcnt lgkmcnt(1)
	v_fmac_f32_e32 v57, v2, v5
	v_fmac_f32_e32 v55, v3, v5
	v_fmac_f32_e32 v54, v2, v9
	v_fmac_f32_e32 v39, v3, v9
	ds_read_b128 v[2:5], v47 offset:96
	ds_read_b128 v[6:9], v47 offset:2144
	s_waitcnt lgkmcnt(1)
	v_fmac_f32_e32 v57, v11, v2
	v_fmac_f32_e32 v55, v12, v2
	s_waitcnt lgkmcnt(0)
	v_fmac_f32_e32 v54, v11, v6
	v_fmac_f32_e32 v39, v12, v6
	ds_read2_b32 v[11:12], v10 offset0:32 offset1:48
	s_waitcnt lgkmcnt(0)
	v_fmac_f32_e32 v57, v11, v3
	v_fmac_f32_e32 v55, v12, v3
	ds_read2_b32 v[2:3], v10 offset0:64 offset1:80
	v_fmac_f32_e32 v54, v11, v7
	v_fmac_f32_e32 v39, v12, v7
	s_waitcnt lgkmcnt(0)
	v_fmac_f32_e32 v57, v2, v4
	v_fmac_f32_e32 v55, v3, v4
	v_fmac_f32_e32 v54, v2, v8
	v_fmac_f32_e32 v39, v3, v8
	ds_read2_b32 v[2:3], v10 offset0:96 offset1:112
	s_waitcnt lgkmcnt(0)
	v_fmac_f32_e32 v57, v2, v5
	v_fmac_f32_e32 v55, v3, v5
	;; [unrolled: 1-line block ×4, first 2 shown]
	ds_read_b128 v[2:5], v47 offset:112
	ds_read2_b32 v[11:12], v10 offset0:128 offset1:144
	ds_read_b128 v[6:9], v47 offset:2160
	s_waitcnt lgkmcnt(1)
	v_fmac_f32_e32 v57, v11, v2
	v_fmac_f32_e32 v55, v12, v2
	s_waitcnt lgkmcnt(0)
	v_fmac_f32_e32 v54, v11, v6
	v_fmac_f32_e32 v39, v12, v6
	ds_read2_b32 v[11:12], v10 offset0:160 offset1:176
	s_waitcnt lgkmcnt(0)
	v_fmac_f32_e32 v57, v11, v3
	v_fmac_f32_e32 v55, v12, v3
	ds_read2_b32 v[2:3], v10 offset0:192 offset1:208
	v_fmac_f32_e32 v54, v11, v7
	v_fmac_f32_e32 v39, v12, v7
	s_waitcnt lgkmcnt(0)
	v_fmac_f32_e32 v57, v2, v4
	v_fmac_f32_e32 v55, v3, v4
	;; [unrolled: 1-line block ×4, first 2 shown]
	ds_read2_b32 v[2:3], v10 offset0:224 offset1:240
	s_waitcnt lgkmcnt(0)
	s_barrier
	v_fmac_f32_e32 v57, v2, v5
	v_fmac_f32_e32 v55, v3, v5
	;; [unrolled: 1-line block ×4, first 2 shown]
	s_cbranch_scc1 .LBB8_43
.LBB8_7:                                ;   Parent Loop BB8_4 Depth=1
                                        ; =>  This Inner Loop Header: Depth=2
	v_mov_b32_e32 v2, s27
	v_add_co_u32_e64 v4, s[10:11], s26, v20
	v_addc_co_u32_e64 v5, s[10:11], v21, v2, s[10:11]
	v_mov_b32_e32 v3, s21
	v_add_co_u32_e64 v2, s[10:11], s20, v44
	v_addc_co_u32_e64 v3, s[10:11], v45, v3, s[10:11]
	v_cmp_le_i64_e64 s[12:13], s[40:41], v[4:5]
	v_cmp_eq_u64_e64 s[16:17], s[26:27], v[26:27]
	v_cmp_lt_i64_e64 s[10:11], v[4:5], v[18:19]
	s_and_b64 s[28:29], s[34:35], s[16:17]
	s_or_b64 s[16:17], s[12:13], s[10:11]
	s_or_b64 s[16:17], s[16:17], s[28:29]
	s_nor_b64 s[16:17], s[0:1], s[16:17]
                                        ; implicit-def: $vgpr6
	s_and_saveexec_b64 s[18:19], s[16:17]
	s_xor_b64 s[16:17], exec, s[18:19]
	s_cbranch_execz .LBB8_9
; %bb.8:                                ;   in Loop: Header=BB8_7 Depth=2
	global_load_dword v6, v[2:3], off
.LBB8_9:                                ;   in Loop: Header=BB8_7 Depth=2
	s_andn2_saveexec_b64 s[16:17], s[16:17]
	s_cbranch_execz .LBB8_11
; %bb.10:                               ;   in Loop: Header=BB8_7 Depth=2
	s_waitcnt vmcnt(0)
	v_cndmask_b32_e64 v6, 0, 1.0, s[28:29]
.LBB8_11:                               ;   in Loop: Header=BB8_7 Depth=2
	s_or_b64 exec, exec, s[16:17]
	v_cmp_eq_u64_e64 s[16:17], s[26:27], v[32:33]
	v_cmp_gt_i64_e64 s[18:19], v[22:23], v[4:5]
	s_and_b64 s[16:17], s[34:35], s[16:17]
	s_or_b64 s[12:13], s[12:13], s[18:19]
	s_or_b64 s[12:13], s[12:13], s[16:17]
	s_nor_b64 s[12:13], s[2:3], s[12:13]
	s_waitcnt vmcnt(0)
	ds_write_b32 v46, v6
	s_and_saveexec_b64 s[18:19], s[12:13]
	s_xor_b64 s[18:19], exec, s[18:19]
	s_cbranch_execz .LBB8_13
; %bb.12:                               ;   in Loop: Header=BB8_7 Depth=2
	v_mov_b32_e32 v7, s21
	v_add_co_u32_e64 v6, s[12:13], s20, v48
	v_addc_co_u32_e64 v7, s[12:13], v49, v7, s[12:13]
	global_load_dword v6, v[6:7], off
	s_waitcnt vmcnt(0)
	ds_write_b32 v46, v6 offset:64
.LBB8_13:                               ;   in Loop: Header=BB8_7 Depth=2
	s_andn2_saveexec_b64 s[12:13], s[18:19]
	s_cbranch_execz .LBB8_19
; %bb.14:                               ;   in Loop: Header=BB8_7 Depth=2
	s_xor_b64 s[16:17], s[16:17], -1
	s_and_saveexec_b64 s[18:19], s[16:17]
	s_xor_b64 s[16:17], exec, s[18:19]
; %bb.15:                               ;   in Loop: Header=BB8_7 Depth=2
	ds_write_b32 v46, v51 offset:64
; %bb.16:                               ;   in Loop: Header=BB8_7 Depth=2
	s_andn2_saveexec_b64 s[16:17], s[16:17]
; %bb.17:                               ;   in Loop: Header=BB8_7 Depth=2
	ds_write_b32 v46, v52 offset:64
; %bb.18:                               ;   in Loop: Header=BB8_7 Depth=2
	s_or_b64 exec, exec, s[16:17]
.LBB8_19:                               ;   in Loop: Header=BB8_7 Depth=2
	s_or_b64 exec, exec, s[12:13]
	v_add_co_u32_e64 v4, s[12:13], 16, v4
	v_addc_co_u32_e64 v5, s[12:13], 0, v5, s[12:13]
	v_cmp_le_i64_e64 s[12:13], s[40:41], v[4:5]
	v_cmp_eq_u64_e64 s[16:17], s[26:27], v[34:35]
	v_cmp_lt_i64_e64 s[18:19], v[4:5], v[18:19]
	s_and_b64 s[16:17], s[34:35], s[16:17]
	s_or_b64 s[18:19], s[12:13], s[18:19]
	s_or_b64 s[18:19], s[18:19], s[16:17]
	s_nor_b64 s[18:19], s[0:1], s[18:19]
                                        ; implicit-def: $vgpr4
	s_and_saveexec_b64 s[50:51], s[18:19]
	s_xor_b64 s[18:19], exec, s[50:51]
	s_cbranch_execz .LBB8_21
; %bb.20:                               ;   in Loop: Header=BB8_7 Depth=2
	global_load_dword v4, v[2:3], off offset:64
.LBB8_21:                               ;   in Loop: Header=BB8_7 Depth=2
	s_andn2_saveexec_b64 s[18:19], s[18:19]
	s_cbranch_execz .LBB8_23
; %bb.22:                               ;   in Loop: Header=BB8_7 Depth=2
	s_waitcnt vmcnt(0)
	v_cndmask_b32_e64 v4, 0, 1.0, s[16:17]
.LBB8_23:                               ;   in Loop: Header=BB8_7 Depth=2
	s_or_b64 exec, exec, s[18:19]
	s_or_b64 s[10:11], s[12:13], s[10:11]
	s_or_b64 s[10:11], s[10:11], s[28:29]
	s_nor_b64 s[10:11], s[2:3], s[10:11]
	s_waitcnt vmcnt(0)
	ds_write_b32 v46, v4 offset:2048
	s_and_saveexec_b64 s[12:13], s[10:11]
	s_xor_b64 s[12:13], exec, s[12:13]
	s_cbranch_execz .LBB8_25
; %bb.24:                               ;   in Loop: Header=BB8_7 Depth=2
	v_mov_b32_e32 v3, s21
	v_add_co_u32_e64 v2, s[10:11], s20, v48
	v_addc_co_u32_e64 v3, s[10:11], v49, v3, s[10:11]
	global_load_dword v2, v[2:3], off offset:64
	s_waitcnt vmcnt(0)
	ds_write_b32 v46, v2 offset:2112
.LBB8_25:                               ;   in Loop: Header=BB8_7 Depth=2
	s_andn2_saveexec_b64 s[10:11], s[12:13]
	s_cbranch_execz .LBB8_31
; %bb.26:                               ;   in Loop: Header=BB8_7 Depth=2
	s_xor_b64 s[12:13], s[28:29], -1
	s_and_saveexec_b64 s[16:17], s[12:13]
	s_xor_b64 s[12:13], exec, s[16:17]
; %bb.27:                               ;   in Loop: Header=BB8_7 Depth=2
	ds_write_b32 v46, v51 offset:2112
; %bb.28:                               ;   in Loop: Header=BB8_7 Depth=2
	s_andn2_saveexec_b64 s[12:13], s[12:13]
; %bb.29:                               ;   in Loop: Header=BB8_7 Depth=2
	ds_write_b32 v46, v52 offset:2112
; %bb.30:                               ;   in Loop: Header=BB8_7 Depth=2
	s_or_b64 exec, exec, s[12:13]
.LBB8_31:                               ;   in Loop: Header=BB8_7 Depth=2
	s_or_b64 exec, exec, s[10:11]
	v_mov_b32_e32 v2, s27
	v_add_co_u32_e64 v4, s[10:11], s26, v18
	v_addc_co_u32_e64 v5, s[10:11], v19, v2, s[10:11]
	v_cmp_gt_i64_e64 s[10:11], s[40:41], v[4:5]
	v_mov_b32_e32 v3, s21
	v_add_co_u32_e64 v2, s[12:13], s20, v40
	v_addc_co_u32_e64 v3, s[12:13], v41, v3, s[12:13]
	s_and_b64 s[16:17], vcc, s[10:11]
	v_mov_b32_e32 v6, 0
	s_and_saveexec_b64 s[12:13], s[16:17]
	s_cbranch_execz .LBB8_33
; %bb.32:                               ;   in Loop: Header=BB8_7 Depth=2
	global_load_dword v6, v[2:3], off offset:-64
.LBB8_33:                               ;   in Loop: Header=BB8_7 Depth=2
	s_or_b64 exec, exec, s[12:13]
	v_cmp_gt_i64_e64 s[12:13], s[42:43], v[4:5]
	s_waitcnt vmcnt(0)
	ds_write_b32 v50, v6
	s_and_b64 s[16:17], vcc, s[12:13]
	s_xor_b64 s[16:17], s[16:17], -1
	s_and_saveexec_b64 s[18:19], s[16:17]
	s_xor_b64 s[16:17], exec, s[18:19]
; %bb.34:                               ;   in Loop: Header=BB8_7 Depth=2
	ds_write_b32 v50, v51 offset:64
                                        ; implicit-def: $vgpr2_vgpr3
; %bb.35:                               ;   in Loop: Header=BB8_7 Depth=2
	s_andn2_saveexec_b64 s[16:17], s[16:17]
	s_cbranch_execz .LBB8_37
; %bb.36:                               ;   in Loop: Header=BB8_7 Depth=2
	global_load_dword v2, v[2:3], off
	s_waitcnt vmcnt(0)
	ds_write_b32 v50, v2 offset:64
.LBB8_37:                               ;   in Loop: Header=BB8_7 Depth=2
	s_or_b64 exec, exec, s[16:17]
	v_mov_b32_e32 v3, s21
	v_add_co_u32_e64 v2, s[16:17], s20, v42
	v_addc_co_u32_e64 v3, s[16:17], v43, v3, s[16:17]
	s_and_b64 s[16:17], s[8:9], s[10:11]
	v_mov_b32_e32 v4, 0
	s_and_saveexec_b64 s[10:11], s[16:17]
	s_cbranch_execz .LBB8_39
; %bb.38:                               ;   in Loop: Header=BB8_7 Depth=2
	global_load_dword v4, v[2:3], off
.LBB8_39:                               ;   in Loop: Header=BB8_7 Depth=2
	s_or_b64 exec, exec, s[10:11]
	s_and_b64 s[10:11], s[8:9], s[12:13]
	s_xor_b64 s[10:11], s[10:11], -1
	s_waitcnt vmcnt(0)
	ds_write_b32 v50, v4 offset:2048
	s_and_saveexec_b64 s[12:13], s[10:11]
	s_xor_b64 s[10:11], exec, s[12:13]
; %bb.40:                               ;   in Loop: Header=BB8_7 Depth=2
	ds_write_b32 v50, v51 offset:2112
                                        ; implicit-def: $vgpr2_vgpr3
; %bb.41:                               ;   in Loop: Header=BB8_7 Depth=2
	s_andn2_saveexec_b64 s[10:11], s[10:11]
	s_cbranch_execz .LBB8_6
; %bb.42:                               ;   in Loop: Header=BB8_7 Depth=2
	global_load_dword v2, v[2:3], off offset:64
	s_waitcnt vmcnt(0)
	ds_write_b32 v50, v2 offset:2112
	s_branch .LBB8_6
.LBB8_43:                               ;   in Loop: Header=BB8_4 Depth=1
	v_mul_lo_u32 v4, s45, v53
	v_mul_lo_u32 v5, s44, v56
	v_mad_u64_u32 v[2:3], s[8:9], s44, v53, 0
	v_cmp_gt_i32_e32 vcc, s30, v53
	v_add3_u32 v3, v3, v5, v4
	v_lshlrev_b64 v[2:3], 2, v[2:3]
	v_mov_b32_e32 v4, s47
	v_add_co_u32_e64 v2, s[8:9], s46, v2
	v_addc_co_u32_e64 v3, s[8:9], v4, v3, s[8:9]
	s_and_b64 s[8:9], s[4:5], vcc
	s_and_saveexec_b64 s[10:11], s[8:9]
	s_cbranch_execz .LBB8_45
; %bb.44:                               ;   in Loop: Header=BB8_4 Depth=1
	v_add_co_u32_e64 v4, s[8:9], v2, v28
	v_addc_co_u32_e64 v5, s[8:9], v3, v29, s[8:9]
	global_load_dword v6, v[4:5], off
	s_waitcnt vmcnt(0)
	v_fmac_f32_e32 v6, s33, v57
	global_store_dword v[4:5], v6, off
.LBB8_45:                               ;   in Loop: Header=BB8_4 Depth=1
	s_or_b64 exec, exec, s[10:11]
	s_and_b64 s[10:11], s[14:15], vcc
	s_and_saveexec_b64 s[8:9], s[10:11]
	s_cbranch_execz .LBB8_47
; %bb.46:                               ;   in Loop: Header=BB8_4 Depth=1
	v_lshlrev_b64 v[4:5], 2, v[24:25]
	v_add_co_u32_e32 v2, vcc, v2, v4
	v_addc_co_u32_e32 v3, vcc, v3, v5, vcc
	global_load_dword v4, v[2:3], off
	s_waitcnt vmcnt(0)
	v_fmac_f32_e32 v4, s33, v55
	global_store_dword v[2:3], v4, off
.LBB8_47:                               ;   in Loop: Header=BB8_4 Depth=1
	s_or_b64 exec, exec, s[8:9]
	v_add_u32_e32 v4, 16, v53
	v_ashrrev_i32_e32 v2, 31, v4
	v_mul_lo_u32 v5, s44, v2
	v_mul_lo_u32 v6, s45, v4
	v_mad_u64_u32 v[2:3], s[8:9], s44, v4, 0
	v_cmp_gt_i32_e32 vcc, s30, v4
	v_mov_b32_e32 v4, s47
	v_add3_u32 v3, v3, v5, v6
	v_lshlrev_b64 v[2:3], 2, v[2:3]
	v_add_co_u32_e64 v2, s[8:9], s46, v2
	v_addc_co_u32_e64 v3, s[8:9], v4, v3, s[8:9]
	s_and_b64 s[8:9], s[4:5], vcc
	s_and_saveexec_b64 s[10:11], s[8:9]
	s_cbranch_execz .LBB8_49
; %bb.48:                               ;   in Loop: Header=BB8_4 Depth=1
	v_add_co_u32_e64 v4, s[8:9], v2, v28
	v_addc_co_u32_e64 v5, s[8:9], v3, v29, s[8:9]
	global_load_dword v6, v[4:5], off
	s_waitcnt vmcnt(0)
	v_fmac_f32_e32 v6, s33, v54
	global_store_dword v[4:5], v6, off
.LBB8_49:                               ;   in Loop: Header=BB8_4 Depth=1
	s_or_b64 exec, exec, s[10:11]
	s_and_b64 s[10:11], s[14:15], vcc
	s_and_saveexec_b64 s[8:9], s[10:11]
	s_cbranch_execz .LBB8_3
; %bb.50:                               ;   in Loop: Header=BB8_4 Depth=1
	v_lshlrev_b64 v[4:5], 2, v[24:25]
	v_add_co_u32_e32 v2, vcc, v2, v4
	v_addc_co_u32_e32 v3, vcc, v3, v5, vcc
	global_load_dword v4, v[2:3], off
	s_waitcnt vmcnt(0)
	v_fmac_f32_e32 v4, s33, v39
	global_store_dword v[2:3], v4, off
	s_branch .LBB8_3
.LBB8_51:
	s_endpgm
	.section	.rodata,"a",@progbits
	.p2align	6, 0x0
	.amdhsa_kernel _ZL30rocblas_trmm_outofplace_kernelIfLi32ELi2ELb1ELb0ELb1ELb1EPKfS0_fEv17rocblas_diagonal_iiT6_lPT7_lllS5_lllPT8_llli
		.amdhsa_group_segment_fixed_size 8192
		.amdhsa_private_segment_fixed_size 0
		.amdhsa_kernarg_size 392
		.amdhsa_user_sgpr_count 6
		.amdhsa_user_sgpr_private_segment_buffer 1
		.amdhsa_user_sgpr_dispatch_ptr 0
		.amdhsa_user_sgpr_queue_ptr 0
		.amdhsa_user_sgpr_kernarg_segment_ptr 1
		.amdhsa_user_sgpr_dispatch_id 0
		.amdhsa_user_sgpr_flat_scratch_init 0
		.amdhsa_user_sgpr_private_segment_size 0
		.amdhsa_uses_dynamic_stack 0
		.amdhsa_system_sgpr_private_segment_wavefront_offset 0
		.amdhsa_system_sgpr_workgroup_id_x 1
		.amdhsa_system_sgpr_workgroup_id_y 1
		.amdhsa_system_sgpr_workgroup_id_z 1
		.amdhsa_system_sgpr_workgroup_info 0
		.amdhsa_system_vgpr_workitem_id 1
		.amdhsa_next_free_vgpr 64
		.amdhsa_next_free_sgpr 61
		.amdhsa_reserve_vcc 1
		.amdhsa_reserve_flat_scratch 0
		.amdhsa_float_round_mode_32 0
		.amdhsa_float_round_mode_16_64 0
		.amdhsa_float_denorm_mode_32 3
		.amdhsa_float_denorm_mode_16_64 3
		.amdhsa_dx10_clamp 1
		.amdhsa_ieee_mode 1
		.amdhsa_fp16_overflow 0
		.amdhsa_exception_fp_ieee_invalid_op 0
		.amdhsa_exception_fp_denorm_src 0
		.amdhsa_exception_fp_ieee_div_zero 0
		.amdhsa_exception_fp_ieee_overflow 0
		.amdhsa_exception_fp_ieee_underflow 0
		.amdhsa_exception_fp_ieee_inexact 0
		.amdhsa_exception_int_div_zero 0
	.end_amdhsa_kernel
	.section	.text._ZL30rocblas_trmm_outofplace_kernelIfLi32ELi2ELb1ELb0ELb1ELb1EPKfS0_fEv17rocblas_diagonal_iiT6_lPT7_lllS5_lllPT8_llli,"axG",@progbits,_ZL30rocblas_trmm_outofplace_kernelIfLi32ELi2ELb1ELb0ELb1ELb1EPKfS0_fEv17rocblas_diagonal_iiT6_lPT7_lllS5_lllPT8_llli,comdat
.Lfunc_end8:
	.size	_ZL30rocblas_trmm_outofplace_kernelIfLi32ELi2ELb1ELb0ELb1ELb1EPKfS0_fEv17rocblas_diagonal_iiT6_lPT7_lllS5_lllPT8_llli, .Lfunc_end8-_ZL30rocblas_trmm_outofplace_kernelIfLi32ELi2ELb1ELb0ELb1ELb1EPKfS0_fEv17rocblas_diagonal_iiT6_lPT7_lllS5_lllPT8_llli
                                        ; -- End function
	.set _ZL30rocblas_trmm_outofplace_kernelIfLi32ELi2ELb1ELb0ELb1ELb1EPKfS0_fEv17rocblas_diagonal_iiT6_lPT7_lllS5_lllPT8_llli.num_vgpr, 64
	.set _ZL30rocblas_trmm_outofplace_kernelIfLi32ELi2ELb1ELb0ELb1ELb1EPKfS0_fEv17rocblas_diagonal_iiT6_lPT7_lllS5_lllPT8_llli.num_agpr, 0
	.set _ZL30rocblas_trmm_outofplace_kernelIfLi32ELi2ELb1ELb0ELb1ELb1EPKfS0_fEv17rocblas_diagonal_iiT6_lPT7_lllS5_lllPT8_llli.numbered_sgpr, 52
	.set _ZL30rocblas_trmm_outofplace_kernelIfLi32ELi2ELb1ELb0ELb1ELb1EPKfS0_fEv17rocblas_diagonal_iiT6_lPT7_lllS5_lllPT8_llli.num_named_barrier, 0
	.set _ZL30rocblas_trmm_outofplace_kernelIfLi32ELi2ELb1ELb0ELb1ELb1EPKfS0_fEv17rocblas_diagonal_iiT6_lPT7_lllS5_lllPT8_llli.private_seg_size, 0
	.set _ZL30rocblas_trmm_outofplace_kernelIfLi32ELi2ELb1ELb0ELb1ELb1EPKfS0_fEv17rocblas_diagonal_iiT6_lPT7_lllS5_lllPT8_llli.uses_vcc, 1
	.set _ZL30rocblas_trmm_outofplace_kernelIfLi32ELi2ELb1ELb0ELb1ELb1EPKfS0_fEv17rocblas_diagonal_iiT6_lPT7_lllS5_lllPT8_llli.uses_flat_scratch, 0
	.set _ZL30rocblas_trmm_outofplace_kernelIfLi32ELi2ELb1ELb0ELb1ELb1EPKfS0_fEv17rocblas_diagonal_iiT6_lPT7_lllS5_lllPT8_llli.has_dyn_sized_stack, 0
	.set _ZL30rocblas_trmm_outofplace_kernelIfLi32ELi2ELb1ELb0ELb1ELb1EPKfS0_fEv17rocblas_diagonal_iiT6_lPT7_lllS5_lllPT8_llli.has_recursion, 0
	.set _ZL30rocblas_trmm_outofplace_kernelIfLi32ELi2ELb1ELb0ELb1ELb1EPKfS0_fEv17rocblas_diagonal_iiT6_lPT7_lllS5_lllPT8_llli.has_indirect_call, 0
	.section	.AMDGPU.csdata,"",@progbits
; Kernel info:
; codeLenInByte = 3048
; TotalNumSgprs: 56
; NumVgprs: 64
; ScratchSize: 0
; MemoryBound: 0
; FloatMode: 240
; IeeeMode: 1
; LDSByteSize: 8192 bytes/workgroup (compile time only)
; SGPRBlocks: 8
; VGPRBlocks: 15
; NumSGPRsForWavesPerEU: 65
; NumVGPRsForWavesPerEU: 64
; Occupancy: 4
; WaveLimiterHint : 0
; COMPUTE_PGM_RSRC2:SCRATCH_EN: 0
; COMPUTE_PGM_RSRC2:USER_SGPR: 6
; COMPUTE_PGM_RSRC2:TRAP_HANDLER: 0
; COMPUTE_PGM_RSRC2:TGID_X_EN: 1
; COMPUTE_PGM_RSRC2:TGID_Y_EN: 1
; COMPUTE_PGM_RSRC2:TGID_Z_EN: 1
; COMPUTE_PGM_RSRC2:TIDIG_COMP_CNT: 1
	.section	.text._ZL30rocblas_trmm_outofplace_kernelIfLi32ELi2ELb1ELb0ELb1ELb1EfKffEv17rocblas_diagonal_iiT6_lPT7_lllS4_lllPT8_llli,"axG",@progbits,_ZL30rocblas_trmm_outofplace_kernelIfLi32ELi2ELb1ELb0ELb1ELb1EfKffEv17rocblas_diagonal_iiT6_lPT7_lllS4_lllPT8_llli,comdat
	.globl	_ZL30rocblas_trmm_outofplace_kernelIfLi32ELi2ELb1ELb0ELb1ELb1EfKffEv17rocblas_diagonal_iiT6_lPT7_lllS4_lllPT8_llli ; -- Begin function _ZL30rocblas_trmm_outofplace_kernelIfLi32ELi2ELb1ELb0ELb1ELb1EfKffEv17rocblas_diagonal_iiT6_lPT7_lllS4_lllPT8_llli
	.p2align	8
	.type	_ZL30rocblas_trmm_outofplace_kernelIfLi32ELi2ELb1ELb0ELb1ELb1EfKffEv17rocblas_diagonal_iiT6_lPT7_lllS4_lllPT8_llli,@function
_ZL30rocblas_trmm_outofplace_kernelIfLi32ELi2ELb1ELb0ELb1ELb1EfKffEv17rocblas_diagonal_iiT6_lPT7_lllS4_lllPT8_llli: ; @_ZL30rocblas_trmm_outofplace_kernelIfLi32ELi2ELb1ELb0ELb1ELb1EfKffEv17rocblas_diagonal_iiT6_lPT7_lllS4_lllPT8_llli
; %bb.0:
	s_load_dwordx4 s[28:31], s[4:5], 0x0
	s_waitcnt lgkmcnt(0)
	v_cmp_eq_f32_e64 s[0:1], s31, 0
	s_and_b64 vcc, exec, s[0:1]
	s_cbranch_vccnz .LBB9_51
; %bb.1:
	s_add_i32 s0, s30, -1
	s_ashr_i32 s1, s0, 31
	s_lshr_b32 s1, s1, 27
	s_add_i32 s0, s0, s1
	s_ashr_i32 s33, s0, 5
	s_cmp_gt_i32 s7, s33
	s_cbranch_scc1 .LBB9_51
; %bb.2:
	s_load_dwordx16 s[12:27], s[4:5], 0x18
	s_load_dwordx8 s[36:43], s[4:5], 0x58
	s_load_dword s48, s[4:5], 0x84
	s_mov_b32 s47, s30
	v_mov_b32_e32 v51, 0
	s_waitcnt lgkmcnt(0)
	s_mul_i32 s1, s19, s8
	s_mul_hi_u32 s2, s18, s8
	s_mul_i32 s0, s18, s8
	s_add_i32 s1, s2, s1
	s_lshl_b64 s[10:11], s[0:1], 2
	s_add_u32 s0, s12, s10
	s_addc_u32 s1, s13, s11
	s_lshl_b64 s[18:19], s[14:15], 2
	s_add_u32 s2, s0, s18
	s_addc_u32 s3, s1, s19
	s_mul_i32 s0, s43, s8
	s_mul_hi_u32 s1, s42, s8
	s_add_i32 s1, s1, s0
	s_mul_i32 s0, s42, s8
	s_lshl_b64 s[0:1], s[0:1], 2
	s_add_u32 s9, s36, s0
	s_addc_u32 s14, s37, s1
	s_lshl_b64 s[0:1], s[38:39], 2
	s_add_u32 s44, s9, s0
	s_addc_u32 s45, s14, s1
	s_lshl_b32 s6, s6, 5
	v_add_u32_e32 v18, s6, v0
	v_ashrrev_i32_e32 v19, 31, v18
	v_mul_lo_u32 v4, s16, v19
	v_mul_lo_u32 v5, s17, v18
	v_mad_u64_u32 v[2:3], s[0:1], s16, v18, 0
	v_add_u32_e32 v20, s6, v1
	s_sub_i32 s6, s29, s6
	v_add3_u32 v3, v3, v4, v5
	v_lshlrev_b64 v[2:3], 2, v[2:3]
	s_cmp_gt_i32 s6, 0
	v_ashrrev_i32_e32 v21, 31, v20
	v_mov_b32_e32 v4, s3
	v_add_co_u32_e32 v5, vcc, s2, v2
	s_cselect_b64 s[34:35], -1, 0
	s_cmpk_eq_i32 s28, 0x84
	v_addc_co_u32_e32 v4, vcc, v4, v3, vcc
	v_lshlrev_b64 v[2:3], 2, v[20:21]
	s_cselect_b64 s[36:37], -1, 0
	s_ashr_i32 s39, s29, 31
	s_ashr_i32 s46, s30, 31
	s_add_u32 s42, s29, -16
	s_mul_i32 s9, s27, s8
	s_mul_hi_u32 s27, s26, s8
	v_add_co_u32_e32 v44, vcc, v5, v2
	s_addc_u32 s43, s39, -1
	s_add_i32 s9, s27, s9
	s_mul_i32 s8, s26, s8
	v_addc_co_u32_e32 v45, vcc, v4, v3, vcc
	s_lshl_b64 s[8:9], s[8:9], 2
	s_lshl_b64 s[22:23], s[22:23], 2
	v_add_co_u32_e32 v22, vcc, 16, v18
	s_add_u32 s8, s8, s22
	v_addc_co_u32_e32 v23, vcc, 0, v19, vcc
	s_addc_u32 s9, s9, s23
	v_sub_co_u32_e32 v26, vcc, v18, v20
	v_lshlrev_b64 v[28:29], 2, v[18:19]
	s_add_u32 s8, s20, s8
	v_lshlrev_b32_e32 v4, 7, v1
	v_lshlrev_b32_e32 v0, 2, v0
	v_subb_co_u32_e32 v27, vcc, v19, v21, vcc
	s_addc_u32 s9, s21, s9
	v_add_u32_e32 v46, v0, v4
	v_add_u32_e32 v47, 0x1000, v4
	v_mov_b32_e32 v4, s9
	v_add_co_u32_e32 v30, vcc, s8, v28
	s_lshl_b64 s[20:21], s[24:25], 2
	s_lshl_b32 s49, s48, 5
	v_addc_co_u32_e32 v31, vcc, v4, v29, vcc
	s_add_u32 s8, s18, s10
	v_add_co_u32_e32 v6, vcc, 64, v28
	s_addc_u32 s9, s19, s11
	v_mov_b32_e32 v4, s8
	v_addc_co_u32_e32 v7, vcc, 0, v29, vcc
	v_mov_b32_e32 v5, s9
	v_mad_u64_u32 v[4:5], s[8:9], s16, v6, v[4:5]
	v_mul_lo_u32 v7, s16, v7
	v_mul_lo_u32 v6, s17, v6
	v_add_co_u32_e32 v32, vcc, 16, v26
	v_addc_co_u32_e32 v33, vcc, 0, v27, vcc
	v_add_co_u32_e32 v34, vcc, -16, v26
	v_addc_co_u32_e32 v35, vcc, -1, v27, vcc
	v_add3_u32 v5, v6, v5, v7
	v_add_co_u32_e32 v2, vcc, v4, v2
	v_addc_co_u32_e32 v3, vcc, v5, v3, vcc
	v_mov_b32_e32 v4, s13
	v_add_co_u32_e32 v48, vcc, s12, v2
	s_mov_b32 s38, s29
	v_addc_co_u32_e32 v49, vcc, v4, v3, vcc
	v_cmp_le_i64_e64 s[2:3], s[38:39], v[22:23]
	v_add_u32_e32 v24, 16, v18
	v_add_co_u32_e32 v36, vcc, 64, v30
	v_cmp_le_i32_e64 s[0:1], s29, v18
	v_cmp_gt_i32_e64 s[4:5], s29, v18
	v_cmp_gt_i32_e64 s[14:15], s29, v24
	v_ashrrev_i32_e32 v25, 31, v24
	v_addc_co_u32_e32 v37, vcc, 0, v31, vcc
	v_add_u32_e32 v50, v47, v0
	v_mov_b32_e32 v52, 1.0
	v_lshl_add_u32 v38, s7, 5, v1
	s_branch .LBB9_4
.LBB9_3:                                ;   in Loop: Header=BB9_4 Depth=1
	s_or_b64 exec, exec, s[8:9]
	s_add_i32 s7, s48, s7
	s_cmp_le_i32 s7, s33
	v_add_u32_e32 v38, s49, v38
	s_cbranch_scc0 .LBB9_51
.LBB9_4:                                ; =>This Loop Header: Depth=1
                                        ;     Child Loop BB9_7 Depth 2
	v_lshl_add_u32 v53, s7, 5, v1
	v_ashrrev_i32_e32 v56, 31, v53
	s_andn2_b64 vcc, exec, s[34:35]
	v_mov_b32_e32 v57, 0
	v_mov_b32_e32 v55, 0
	;; [unrolled: 1-line block ×4, first 2 shown]
	s_cbranch_vccnz .LBB9_43
; %bb.5:                                ;   in Loop: Header=BB9_4 Depth=1
	v_ashrrev_i32_e32 v39, 31, v38
	v_lshlrev_b64 v[2:3], 2, v[38:39]
	v_mad_u64_u32 v[40:41], s[8:9], s20, v38, v[36:37]
	v_add_co_u32_e32 v2, vcc, 64, v2
	v_addc_co_u32_e32 v3, vcc, 0, v3, vcc
	v_mul_lo_u32 v3, s24, v3
	v_mul_lo_u32 v6, s25, v2
	v_mad_u64_u32 v[42:43], s[8:9], s24, v2, v[30:31]
	v_mul_lo_u32 v4, s21, v38
	v_mul_lo_u32 v5, s20, v39
	v_add3_u32 v43, v6, v43, v3
	v_mov_b32_e32 v3, s46
	v_sub_co_u32_e32 v2, vcc, s47, v53
	v_subb_co_u32_e32 v3, vcc, v3, v56, vcc
	v_cmp_lt_i64_e32 vcc, 0, v[2:3]
	v_cmp_lt_i64_e64 s[8:9], 16, v[2:3]
	v_add3_u32 v41, v4, v41, v5
	s_mov_b64 s[22:23], 0
	v_mov_b32_e32 v39, 0
	s_mov_b64 s[26:27], 0
	v_mov_b32_e32 v54, 0
	v_mov_b32_e32 v55, 0
	;; [unrolled: 1-line block ×3, first 2 shown]
	s_branch .LBB9_7
.LBB9_6:                                ;   in Loop: Header=BB9_7 Depth=2
	s_or_b64 exec, exec, s[10:11]
	s_waitcnt lgkmcnt(0)
	s_barrier
	ds_read_b128 v[14:17], v47
	ds_read_b128 v[10:13], v47 offset:16
	ds_read_b128 v[6:9], v47 offset:32
	;; [unrolled: 1-line block ×3, first 2 shown]
	ds_read2_b32 v[62:63], v0 offset1:16
	ds_read_b128 v[58:61], v47 offset:2048
	s_add_u32 s26, s26, 32
	s_addc_u32 s27, s27, 0
	s_add_u32 s22, s22, 0x80
	s_waitcnt lgkmcnt(1)
	v_fmac_f32_e32 v57, v62, v14
	v_fmac_f32_e32 v55, v63, v14
	s_waitcnt lgkmcnt(0)
	v_fmac_f32_e32 v54, v62, v58
	v_fmac_f32_e32 v39, v63, v58
	ds_read2_b32 v[62:63], v0 offset0:32 offset1:48
	s_addc_u32 s23, s23, 0
	s_cmp_ge_i32 s26, s6
	s_waitcnt lgkmcnt(0)
	v_fmac_f32_e32 v57, v62, v15
	v_fmac_f32_e32 v55, v63, v15
	ds_read2_b32 v[14:15], v0 offset0:64 offset1:80
	v_fmac_f32_e32 v54, v62, v59
	v_fmac_f32_e32 v39, v63, v59
	ds_read2_b32 v[58:59], v0 offset0:128 offset1:144
	s_waitcnt lgkmcnt(1)
	v_fmac_f32_e32 v57, v14, v16
	v_fmac_f32_e32 v55, v15, v16
	;; [unrolled: 1-line block ×4, first 2 shown]
	ds_read2_b32 v[14:15], v0 offset0:96 offset1:112
	s_waitcnt lgkmcnt(0)
	v_fmac_f32_e32 v57, v14, v17
	v_fmac_f32_e32 v55, v15, v17
	;; [unrolled: 1-line block ×4, first 2 shown]
	ds_read_b128 v[14:17], v47 offset:2064
	v_fmac_f32_e32 v57, v58, v10
	v_fmac_f32_e32 v55, v59, v10
	s_waitcnt lgkmcnt(0)
	v_fmac_f32_e32 v54, v58, v14
	v_fmac_f32_e32 v39, v59, v14
	ds_read2_b32 v[58:59], v0 offset0:160 offset1:176
	s_waitcnt lgkmcnt(0)
	v_fmac_f32_e32 v57, v58, v11
	v_fmac_f32_e32 v55, v59, v11
	ds_read2_b32 v[10:11], v0 offset0:192 offset1:208
	v_fmac_f32_e32 v54, v58, v15
	v_fmac_f32_e32 v39, v59, v15
	s_waitcnt lgkmcnt(0)
	v_fmac_f32_e32 v57, v10, v12
	v_fmac_f32_e32 v55, v11, v12
	;; [unrolled: 1-line block ×4, first 2 shown]
	ds_read2_b32 v[10:11], v0 offset0:224 offset1:240
	s_waitcnt lgkmcnt(0)
	v_fmac_f32_e32 v57, v10, v13
	v_fmac_f32_e32 v54, v10, v17
	v_add_u32_e32 v10, 0x400, v0
	v_fmac_f32_e32 v55, v11, v13
	v_fmac_f32_e32 v39, v11, v17
	ds_read2_b32 v[15:16], v10 offset1:16
	ds_read_b128 v[11:14], v47 offset:2080
	s_waitcnt lgkmcnt(1)
	v_fmac_f32_e32 v57, v15, v6
	v_fmac_f32_e32 v55, v16, v6
	s_waitcnt lgkmcnt(0)
	v_fmac_f32_e32 v54, v15, v11
	v_fmac_f32_e32 v39, v16, v11
	ds_read2_b32 v[15:16], v10 offset0:32 offset1:48
	s_waitcnt lgkmcnt(0)
	v_fmac_f32_e32 v57, v15, v7
	v_fmac_f32_e32 v55, v16, v7
	ds_read2_b32 v[6:7], v10 offset0:64 offset1:80
	v_fmac_f32_e32 v54, v15, v12
	v_fmac_f32_e32 v39, v16, v12
	ds_read2_b32 v[11:12], v10 offset0:128 offset1:144
	s_waitcnt lgkmcnt(1)
	v_fmac_f32_e32 v57, v6, v8
	v_fmac_f32_e32 v55, v7, v8
	;; [unrolled: 1-line block ×4, first 2 shown]
	ds_read2_b32 v[6:7], v10 offset0:96 offset1:112
	s_waitcnt lgkmcnt(0)
	v_fmac_f32_e32 v57, v6, v9
	v_fmac_f32_e32 v55, v7, v9
	;; [unrolled: 1-line block ×4, first 2 shown]
	ds_read_b128 v[6:9], v47 offset:2096
	v_fmac_f32_e32 v57, v11, v2
	v_fmac_f32_e32 v55, v12, v2
	s_waitcnt lgkmcnt(0)
	v_fmac_f32_e32 v54, v11, v6
	v_fmac_f32_e32 v39, v12, v6
	ds_read2_b32 v[11:12], v10 offset0:160 offset1:176
	s_waitcnt lgkmcnt(0)
	v_fmac_f32_e32 v57, v11, v3
	v_fmac_f32_e32 v55, v12, v3
	ds_read2_b32 v[2:3], v10 offset0:192 offset1:208
	v_fmac_f32_e32 v54, v11, v7
	v_fmac_f32_e32 v39, v12, v7
	s_waitcnt lgkmcnt(0)
	v_fmac_f32_e32 v57, v2, v4
	v_fmac_f32_e32 v55, v3, v4
	;; [unrolled: 1-line block ×4, first 2 shown]
	ds_read2_b32 v[2:3], v10 offset0:224 offset1:240
	v_add_u32_e32 v10, 0x800, v0
	ds_read2_b32 v[11:12], v10 offset1:16
	s_waitcnt lgkmcnt(1)
	v_fmac_f32_e32 v57, v2, v5
	v_fmac_f32_e32 v55, v3, v5
	;; [unrolled: 1-line block ×4, first 2 shown]
	ds_read_b128 v[2:5], v47 offset:64
	ds_read_b128 v[6:9], v47 offset:2112
	s_waitcnt lgkmcnt(1)
	v_fmac_f32_e32 v57, v11, v2
	v_fmac_f32_e32 v55, v12, v2
	s_waitcnt lgkmcnt(0)
	v_fmac_f32_e32 v54, v11, v6
	v_fmac_f32_e32 v39, v12, v6
	ds_read2_b32 v[11:12], v10 offset0:32 offset1:48
	s_waitcnt lgkmcnt(0)
	v_fmac_f32_e32 v57, v11, v3
	v_fmac_f32_e32 v55, v12, v3
	ds_read2_b32 v[2:3], v10 offset0:64 offset1:80
	v_fmac_f32_e32 v54, v11, v7
	v_fmac_f32_e32 v39, v12, v7
	s_waitcnt lgkmcnt(0)
	v_fmac_f32_e32 v57, v2, v4
	v_fmac_f32_e32 v55, v3, v4
	;; [unrolled: 1-line block ×4, first 2 shown]
	ds_read2_b32 v[2:3], v10 offset0:96 offset1:112
	s_waitcnt lgkmcnt(0)
	v_fmac_f32_e32 v57, v2, v5
	v_fmac_f32_e32 v55, v3, v5
	;; [unrolled: 1-line block ×4, first 2 shown]
	ds_read_b128 v[2:5], v47 offset:80
	ds_read2_b32 v[11:12], v10 offset0:128 offset1:144
	ds_read_b128 v[6:9], v47 offset:2128
	s_waitcnt lgkmcnt(1)
	v_fmac_f32_e32 v57, v11, v2
	v_fmac_f32_e32 v55, v12, v2
	s_waitcnt lgkmcnt(0)
	v_fmac_f32_e32 v54, v11, v6
	v_fmac_f32_e32 v39, v12, v6
	ds_read2_b32 v[11:12], v10 offset0:160 offset1:176
	s_waitcnt lgkmcnt(0)
	v_fmac_f32_e32 v57, v11, v3
	v_fmac_f32_e32 v55, v12, v3
	ds_read2_b32 v[2:3], v10 offset0:192 offset1:208
	v_fmac_f32_e32 v54, v11, v7
	v_fmac_f32_e32 v39, v12, v7
	s_waitcnt lgkmcnt(0)
	v_fmac_f32_e32 v57, v2, v4
	v_fmac_f32_e32 v55, v3, v4
	;; [unrolled: 1-line block ×4, first 2 shown]
	ds_read2_b32 v[2:3], v10 offset0:224 offset1:240
	v_add_u32_e32 v10, 0xc00, v0
	ds_read2_b32 v[11:12], v10 offset1:16
	s_waitcnt lgkmcnt(1)
	v_fmac_f32_e32 v57, v2, v5
	v_fmac_f32_e32 v55, v3, v5
	v_fmac_f32_e32 v54, v2, v9
	v_fmac_f32_e32 v39, v3, v9
	ds_read_b128 v[2:5], v47 offset:96
	ds_read_b128 v[6:9], v47 offset:2144
	s_waitcnt lgkmcnt(1)
	v_fmac_f32_e32 v57, v11, v2
	v_fmac_f32_e32 v55, v12, v2
	s_waitcnt lgkmcnt(0)
	v_fmac_f32_e32 v54, v11, v6
	v_fmac_f32_e32 v39, v12, v6
	ds_read2_b32 v[11:12], v10 offset0:32 offset1:48
	s_waitcnt lgkmcnt(0)
	v_fmac_f32_e32 v57, v11, v3
	v_fmac_f32_e32 v55, v12, v3
	ds_read2_b32 v[2:3], v10 offset0:64 offset1:80
	v_fmac_f32_e32 v54, v11, v7
	v_fmac_f32_e32 v39, v12, v7
	s_waitcnt lgkmcnt(0)
	v_fmac_f32_e32 v57, v2, v4
	v_fmac_f32_e32 v55, v3, v4
	;; [unrolled: 1-line block ×4, first 2 shown]
	ds_read2_b32 v[2:3], v10 offset0:96 offset1:112
	s_waitcnt lgkmcnt(0)
	v_fmac_f32_e32 v57, v2, v5
	v_fmac_f32_e32 v55, v3, v5
	;; [unrolled: 1-line block ×4, first 2 shown]
	ds_read_b128 v[2:5], v47 offset:112
	ds_read2_b32 v[11:12], v10 offset0:128 offset1:144
	ds_read_b128 v[6:9], v47 offset:2160
	s_waitcnt lgkmcnt(1)
	v_fmac_f32_e32 v57, v11, v2
	v_fmac_f32_e32 v55, v12, v2
	s_waitcnt lgkmcnt(0)
	v_fmac_f32_e32 v54, v11, v6
	v_fmac_f32_e32 v39, v12, v6
	ds_read2_b32 v[11:12], v10 offset0:160 offset1:176
	s_waitcnt lgkmcnt(0)
	v_fmac_f32_e32 v57, v11, v3
	v_fmac_f32_e32 v55, v12, v3
	ds_read2_b32 v[2:3], v10 offset0:192 offset1:208
	v_fmac_f32_e32 v54, v11, v7
	v_fmac_f32_e32 v39, v12, v7
	s_waitcnt lgkmcnt(0)
	v_fmac_f32_e32 v57, v2, v4
	v_fmac_f32_e32 v55, v3, v4
	;; [unrolled: 1-line block ×4, first 2 shown]
	ds_read2_b32 v[2:3], v10 offset0:224 offset1:240
	s_waitcnt lgkmcnt(0)
	s_barrier
	v_fmac_f32_e32 v57, v2, v5
	v_fmac_f32_e32 v55, v3, v5
	;; [unrolled: 1-line block ×4, first 2 shown]
	s_cbranch_scc1 .LBB9_43
.LBB9_7:                                ;   Parent Loop BB9_4 Depth=1
                                        ; =>  This Inner Loop Header: Depth=2
	v_mov_b32_e32 v2, s27
	v_add_co_u32_e64 v4, s[10:11], s26, v20
	v_addc_co_u32_e64 v5, s[10:11], v21, v2, s[10:11]
	v_mov_b32_e32 v3, s23
	v_add_co_u32_e64 v2, s[10:11], s22, v44
	v_addc_co_u32_e64 v3, s[10:11], v45, v3, s[10:11]
	v_cmp_le_i64_e64 s[12:13], s[38:39], v[4:5]
	v_cmp_eq_u64_e64 s[16:17], s[26:27], v[26:27]
	v_cmp_lt_i64_e64 s[10:11], v[4:5], v[18:19]
	s_and_b64 s[28:29], s[36:37], s[16:17]
	s_or_b64 s[16:17], s[12:13], s[10:11]
	s_or_b64 s[16:17], s[16:17], s[28:29]
	s_nor_b64 s[16:17], s[0:1], s[16:17]
                                        ; implicit-def: $vgpr6
	s_and_saveexec_b64 s[18:19], s[16:17]
	s_xor_b64 s[16:17], exec, s[18:19]
	s_cbranch_execz .LBB9_9
; %bb.8:                                ;   in Loop: Header=BB9_7 Depth=2
	global_load_dword v6, v[2:3], off
.LBB9_9:                                ;   in Loop: Header=BB9_7 Depth=2
	s_andn2_saveexec_b64 s[16:17], s[16:17]
	s_cbranch_execz .LBB9_11
; %bb.10:                               ;   in Loop: Header=BB9_7 Depth=2
	s_waitcnt vmcnt(0)
	v_cndmask_b32_e64 v6, 0, 1.0, s[28:29]
.LBB9_11:                               ;   in Loop: Header=BB9_7 Depth=2
	s_or_b64 exec, exec, s[16:17]
	v_cmp_eq_u64_e64 s[16:17], s[26:27], v[32:33]
	v_cmp_gt_i64_e64 s[18:19], v[22:23], v[4:5]
	s_and_b64 s[16:17], s[36:37], s[16:17]
	s_or_b64 s[12:13], s[12:13], s[18:19]
	s_or_b64 s[12:13], s[12:13], s[16:17]
	s_nor_b64 s[12:13], s[2:3], s[12:13]
	s_waitcnt vmcnt(0)
	ds_write_b32 v46, v6
	s_and_saveexec_b64 s[18:19], s[12:13]
	s_xor_b64 s[18:19], exec, s[18:19]
	s_cbranch_execz .LBB9_13
; %bb.12:                               ;   in Loop: Header=BB9_7 Depth=2
	v_mov_b32_e32 v7, s23
	v_add_co_u32_e64 v6, s[12:13], s22, v48
	v_addc_co_u32_e64 v7, s[12:13], v49, v7, s[12:13]
	global_load_dword v6, v[6:7], off
	s_waitcnt vmcnt(0)
	ds_write_b32 v46, v6 offset:64
.LBB9_13:                               ;   in Loop: Header=BB9_7 Depth=2
	s_andn2_saveexec_b64 s[12:13], s[18:19]
	s_cbranch_execz .LBB9_19
; %bb.14:                               ;   in Loop: Header=BB9_7 Depth=2
	s_xor_b64 s[16:17], s[16:17], -1
	s_and_saveexec_b64 s[18:19], s[16:17]
	s_xor_b64 s[16:17], exec, s[18:19]
; %bb.15:                               ;   in Loop: Header=BB9_7 Depth=2
	ds_write_b32 v46, v51 offset:64
; %bb.16:                               ;   in Loop: Header=BB9_7 Depth=2
	s_andn2_saveexec_b64 s[16:17], s[16:17]
; %bb.17:                               ;   in Loop: Header=BB9_7 Depth=2
	ds_write_b32 v46, v52 offset:64
; %bb.18:                               ;   in Loop: Header=BB9_7 Depth=2
	s_or_b64 exec, exec, s[16:17]
.LBB9_19:                               ;   in Loop: Header=BB9_7 Depth=2
	s_or_b64 exec, exec, s[12:13]
	v_add_co_u32_e64 v4, s[12:13], 16, v4
	v_addc_co_u32_e64 v5, s[12:13], 0, v5, s[12:13]
	v_cmp_le_i64_e64 s[12:13], s[38:39], v[4:5]
	v_cmp_eq_u64_e64 s[16:17], s[26:27], v[34:35]
	v_cmp_lt_i64_e64 s[18:19], v[4:5], v[18:19]
	s_and_b64 s[16:17], s[36:37], s[16:17]
	s_or_b64 s[18:19], s[12:13], s[18:19]
	s_or_b64 s[18:19], s[18:19], s[16:17]
	s_nor_b64 s[18:19], s[0:1], s[18:19]
                                        ; implicit-def: $vgpr4
	s_and_saveexec_b64 s[50:51], s[18:19]
	s_xor_b64 s[18:19], exec, s[50:51]
	s_cbranch_execz .LBB9_21
; %bb.20:                               ;   in Loop: Header=BB9_7 Depth=2
	global_load_dword v4, v[2:3], off offset:64
.LBB9_21:                               ;   in Loop: Header=BB9_7 Depth=2
	s_andn2_saveexec_b64 s[18:19], s[18:19]
	s_cbranch_execz .LBB9_23
; %bb.22:                               ;   in Loop: Header=BB9_7 Depth=2
	s_waitcnt vmcnt(0)
	v_cndmask_b32_e64 v4, 0, 1.0, s[16:17]
.LBB9_23:                               ;   in Loop: Header=BB9_7 Depth=2
	s_or_b64 exec, exec, s[18:19]
	s_or_b64 s[10:11], s[12:13], s[10:11]
	s_or_b64 s[10:11], s[10:11], s[28:29]
	s_nor_b64 s[10:11], s[2:3], s[10:11]
	s_waitcnt vmcnt(0)
	ds_write_b32 v46, v4 offset:2048
	s_and_saveexec_b64 s[12:13], s[10:11]
	s_xor_b64 s[12:13], exec, s[12:13]
	s_cbranch_execz .LBB9_25
; %bb.24:                               ;   in Loop: Header=BB9_7 Depth=2
	v_mov_b32_e32 v3, s23
	v_add_co_u32_e64 v2, s[10:11], s22, v48
	v_addc_co_u32_e64 v3, s[10:11], v49, v3, s[10:11]
	global_load_dword v2, v[2:3], off offset:64
	s_waitcnt vmcnt(0)
	ds_write_b32 v46, v2 offset:2112
.LBB9_25:                               ;   in Loop: Header=BB9_7 Depth=2
	s_andn2_saveexec_b64 s[10:11], s[12:13]
	s_cbranch_execz .LBB9_31
; %bb.26:                               ;   in Loop: Header=BB9_7 Depth=2
	s_xor_b64 s[12:13], s[28:29], -1
	s_and_saveexec_b64 s[16:17], s[12:13]
	s_xor_b64 s[12:13], exec, s[16:17]
; %bb.27:                               ;   in Loop: Header=BB9_7 Depth=2
	ds_write_b32 v46, v51 offset:2112
; %bb.28:                               ;   in Loop: Header=BB9_7 Depth=2
	s_andn2_saveexec_b64 s[12:13], s[12:13]
; %bb.29:                               ;   in Loop: Header=BB9_7 Depth=2
	ds_write_b32 v46, v52 offset:2112
; %bb.30:                               ;   in Loop: Header=BB9_7 Depth=2
	s_or_b64 exec, exec, s[12:13]
.LBB9_31:                               ;   in Loop: Header=BB9_7 Depth=2
	s_or_b64 exec, exec, s[10:11]
	v_mov_b32_e32 v2, s27
	v_add_co_u32_e64 v4, s[10:11], s26, v18
	v_addc_co_u32_e64 v5, s[10:11], v19, v2, s[10:11]
	v_cmp_gt_i64_e64 s[10:11], s[38:39], v[4:5]
	v_mov_b32_e32 v3, s23
	v_add_co_u32_e64 v2, s[12:13], s22, v40
	v_addc_co_u32_e64 v3, s[12:13], v41, v3, s[12:13]
	s_and_b64 s[16:17], vcc, s[10:11]
	v_mov_b32_e32 v6, 0
	s_and_saveexec_b64 s[12:13], s[16:17]
	s_cbranch_execz .LBB9_33
; %bb.32:                               ;   in Loop: Header=BB9_7 Depth=2
	global_load_dword v6, v[2:3], off offset:-64
.LBB9_33:                               ;   in Loop: Header=BB9_7 Depth=2
	s_or_b64 exec, exec, s[12:13]
	v_cmp_gt_i64_e64 s[12:13], s[42:43], v[4:5]
	s_waitcnt vmcnt(0)
	ds_write_b32 v50, v6
	s_and_b64 s[16:17], vcc, s[12:13]
	s_xor_b64 s[16:17], s[16:17], -1
	s_and_saveexec_b64 s[18:19], s[16:17]
	s_xor_b64 s[16:17], exec, s[18:19]
; %bb.34:                               ;   in Loop: Header=BB9_7 Depth=2
	ds_write_b32 v50, v51 offset:64
                                        ; implicit-def: $vgpr2_vgpr3
; %bb.35:                               ;   in Loop: Header=BB9_7 Depth=2
	s_andn2_saveexec_b64 s[16:17], s[16:17]
	s_cbranch_execz .LBB9_37
; %bb.36:                               ;   in Loop: Header=BB9_7 Depth=2
	global_load_dword v2, v[2:3], off
	s_waitcnt vmcnt(0)
	ds_write_b32 v50, v2 offset:64
.LBB9_37:                               ;   in Loop: Header=BB9_7 Depth=2
	s_or_b64 exec, exec, s[16:17]
	v_mov_b32_e32 v3, s23
	v_add_co_u32_e64 v2, s[16:17], s22, v42
	v_addc_co_u32_e64 v3, s[16:17], v43, v3, s[16:17]
	s_and_b64 s[16:17], s[8:9], s[10:11]
	v_mov_b32_e32 v4, 0
	s_and_saveexec_b64 s[10:11], s[16:17]
	s_cbranch_execz .LBB9_39
; %bb.38:                               ;   in Loop: Header=BB9_7 Depth=2
	global_load_dword v4, v[2:3], off
.LBB9_39:                               ;   in Loop: Header=BB9_7 Depth=2
	s_or_b64 exec, exec, s[10:11]
	s_and_b64 s[10:11], s[8:9], s[12:13]
	s_xor_b64 s[10:11], s[10:11], -1
	s_waitcnt vmcnt(0)
	ds_write_b32 v50, v4 offset:2048
	s_and_saveexec_b64 s[12:13], s[10:11]
	s_xor_b64 s[10:11], exec, s[12:13]
; %bb.40:                               ;   in Loop: Header=BB9_7 Depth=2
	ds_write_b32 v50, v51 offset:2112
                                        ; implicit-def: $vgpr2_vgpr3
; %bb.41:                               ;   in Loop: Header=BB9_7 Depth=2
	s_andn2_saveexec_b64 s[10:11], s[10:11]
	s_cbranch_execz .LBB9_6
; %bb.42:                               ;   in Loop: Header=BB9_7 Depth=2
	global_load_dword v2, v[2:3], off offset:64
	s_waitcnt vmcnt(0)
	ds_write_b32 v50, v2 offset:2112
	s_branch .LBB9_6
.LBB9_43:                               ;   in Loop: Header=BB9_4 Depth=1
	v_mul_lo_u32 v4, s41, v53
	v_mul_lo_u32 v5, s40, v56
	v_mad_u64_u32 v[2:3], s[8:9], s40, v53, 0
	v_cmp_gt_i32_e32 vcc, s30, v53
	v_add3_u32 v3, v3, v5, v4
	v_lshlrev_b64 v[2:3], 2, v[2:3]
	v_mov_b32_e32 v4, s45
	v_add_co_u32_e64 v2, s[8:9], s44, v2
	v_addc_co_u32_e64 v3, s[8:9], v4, v3, s[8:9]
	s_and_b64 s[8:9], s[4:5], vcc
	s_and_saveexec_b64 s[10:11], s[8:9]
	s_cbranch_execz .LBB9_45
; %bb.44:                               ;   in Loop: Header=BB9_4 Depth=1
	v_add_co_u32_e64 v4, s[8:9], v2, v28
	v_addc_co_u32_e64 v5, s[8:9], v3, v29, s[8:9]
	global_load_dword v6, v[4:5], off
	s_waitcnt vmcnt(0)
	v_fmac_f32_e32 v6, s31, v57
	global_store_dword v[4:5], v6, off
.LBB9_45:                               ;   in Loop: Header=BB9_4 Depth=1
	s_or_b64 exec, exec, s[10:11]
	s_and_b64 s[10:11], s[14:15], vcc
	s_and_saveexec_b64 s[8:9], s[10:11]
	s_cbranch_execz .LBB9_47
; %bb.46:                               ;   in Loop: Header=BB9_4 Depth=1
	v_lshlrev_b64 v[4:5], 2, v[24:25]
	v_add_co_u32_e32 v2, vcc, v2, v4
	v_addc_co_u32_e32 v3, vcc, v3, v5, vcc
	global_load_dword v4, v[2:3], off
	s_waitcnt vmcnt(0)
	v_fmac_f32_e32 v4, s31, v55
	global_store_dword v[2:3], v4, off
.LBB9_47:                               ;   in Loop: Header=BB9_4 Depth=1
	s_or_b64 exec, exec, s[8:9]
	v_add_u32_e32 v4, 16, v53
	v_ashrrev_i32_e32 v2, 31, v4
	v_mul_lo_u32 v5, s40, v2
	v_mul_lo_u32 v6, s41, v4
	v_mad_u64_u32 v[2:3], s[8:9], s40, v4, 0
	v_cmp_gt_i32_e32 vcc, s30, v4
	v_mov_b32_e32 v4, s45
	v_add3_u32 v3, v3, v5, v6
	v_lshlrev_b64 v[2:3], 2, v[2:3]
	v_add_co_u32_e64 v2, s[8:9], s44, v2
	v_addc_co_u32_e64 v3, s[8:9], v4, v3, s[8:9]
	s_and_b64 s[8:9], s[4:5], vcc
	s_and_saveexec_b64 s[10:11], s[8:9]
	s_cbranch_execz .LBB9_49
; %bb.48:                               ;   in Loop: Header=BB9_4 Depth=1
	v_add_co_u32_e64 v4, s[8:9], v2, v28
	v_addc_co_u32_e64 v5, s[8:9], v3, v29, s[8:9]
	global_load_dword v6, v[4:5], off
	s_waitcnt vmcnt(0)
	v_fmac_f32_e32 v6, s31, v54
	global_store_dword v[4:5], v6, off
.LBB9_49:                               ;   in Loop: Header=BB9_4 Depth=1
	s_or_b64 exec, exec, s[10:11]
	s_and_b64 s[10:11], s[14:15], vcc
	s_and_saveexec_b64 s[8:9], s[10:11]
	s_cbranch_execz .LBB9_3
; %bb.50:                               ;   in Loop: Header=BB9_4 Depth=1
	v_lshlrev_b64 v[4:5], 2, v[24:25]
	v_add_co_u32_e32 v2, vcc, v2, v4
	v_addc_co_u32_e32 v3, vcc, v3, v5, vcc
	global_load_dword v4, v[2:3], off
	s_waitcnt vmcnt(0)
	v_fmac_f32_e32 v4, s31, v39
	global_store_dword v[2:3], v4, off
	s_branch .LBB9_3
.LBB9_51:
	s_endpgm
	.section	.rodata,"a",@progbits
	.p2align	6, 0x0
	.amdhsa_kernel _ZL30rocblas_trmm_outofplace_kernelIfLi32ELi2ELb1ELb0ELb1ELb1EfKffEv17rocblas_diagonal_iiT6_lPT7_lllS4_lllPT8_llli
		.amdhsa_group_segment_fixed_size 8192
		.amdhsa_private_segment_fixed_size 0
		.amdhsa_kernarg_size 384
		.amdhsa_user_sgpr_count 6
		.amdhsa_user_sgpr_private_segment_buffer 1
		.amdhsa_user_sgpr_dispatch_ptr 0
		.amdhsa_user_sgpr_queue_ptr 0
		.amdhsa_user_sgpr_kernarg_segment_ptr 1
		.amdhsa_user_sgpr_dispatch_id 0
		.amdhsa_user_sgpr_flat_scratch_init 0
		.amdhsa_user_sgpr_private_segment_size 0
		.amdhsa_uses_dynamic_stack 0
		.amdhsa_system_sgpr_private_segment_wavefront_offset 0
		.amdhsa_system_sgpr_workgroup_id_x 1
		.amdhsa_system_sgpr_workgroup_id_y 1
		.amdhsa_system_sgpr_workgroup_id_z 1
		.amdhsa_system_sgpr_workgroup_info 0
		.amdhsa_system_vgpr_workitem_id 1
		.amdhsa_next_free_vgpr 64
		.amdhsa_next_free_sgpr 61
		.amdhsa_reserve_vcc 1
		.amdhsa_reserve_flat_scratch 0
		.amdhsa_float_round_mode_32 0
		.amdhsa_float_round_mode_16_64 0
		.amdhsa_float_denorm_mode_32 3
		.amdhsa_float_denorm_mode_16_64 3
		.amdhsa_dx10_clamp 1
		.amdhsa_ieee_mode 1
		.amdhsa_fp16_overflow 0
		.amdhsa_exception_fp_ieee_invalid_op 0
		.amdhsa_exception_fp_denorm_src 0
		.amdhsa_exception_fp_ieee_div_zero 0
		.amdhsa_exception_fp_ieee_overflow 0
		.amdhsa_exception_fp_ieee_underflow 0
		.amdhsa_exception_fp_ieee_inexact 0
		.amdhsa_exception_int_div_zero 0
	.end_amdhsa_kernel
	.section	.text._ZL30rocblas_trmm_outofplace_kernelIfLi32ELi2ELb1ELb0ELb1ELb1EfKffEv17rocblas_diagonal_iiT6_lPT7_lllS4_lllPT8_llli,"axG",@progbits,_ZL30rocblas_trmm_outofplace_kernelIfLi32ELi2ELb1ELb0ELb1ELb1EfKffEv17rocblas_diagonal_iiT6_lPT7_lllS4_lllPT8_llli,comdat
.Lfunc_end9:
	.size	_ZL30rocblas_trmm_outofplace_kernelIfLi32ELi2ELb1ELb0ELb1ELb1EfKffEv17rocblas_diagonal_iiT6_lPT7_lllS4_lllPT8_llli, .Lfunc_end9-_ZL30rocblas_trmm_outofplace_kernelIfLi32ELi2ELb1ELb0ELb1ELb1EfKffEv17rocblas_diagonal_iiT6_lPT7_lllS4_lllPT8_llli
                                        ; -- End function
	.set _ZL30rocblas_trmm_outofplace_kernelIfLi32ELi2ELb1ELb0ELb1ELb1EfKffEv17rocblas_diagonal_iiT6_lPT7_lllS4_lllPT8_llli.num_vgpr, 64
	.set _ZL30rocblas_trmm_outofplace_kernelIfLi32ELi2ELb1ELb0ELb1ELb1EfKffEv17rocblas_diagonal_iiT6_lPT7_lllS4_lllPT8_llli.num_agpr, 0
	.set _ZL30rocblas_trmm_outofplace_kernelIfLi32ELi2ELb1ELb0ELb1ELb1EfKffEv17rocblas_diagonal_iiT6_lPT7_lllS4_lllPT8_llli.numbered_sgpr, 52
	.set _ZL30rocblas_trmm_outofplace_kernelIfLi32ELi2ELb1ELb0ELb1ELb1EfKffEv17rocblas_diagonal_iiT6_lPT7_lllS4_lllPT8_llli.num_named_barrier, 0
	.set _ZL30rocblas_trmm_outofplace_kernelIfLi32ELi2ELb1ELb0ELb1ELb1EfKffEv17rocblas_diagonal_iiT6_lPT7_lllS4_lllPT8_llli.private_seg_size, 0
	.set _ZL30rocblas_trmm_outofplace_kernelIfLi32ELi2ELb1ELb0ELb1ELb1EfKffEv17rocblas_diagonal_iiT6_lPT7_lllS4_lllPT8_llli.uses_vcc, 1
	.set _ZL30rocblas_trmm_outofplace_kernelIfLi32ELi2ELb1ELb0ELb1ELb1EfKffEv17rocblas_diagonal_iiT6_lPT7_lllS4_lllPT8_llli.uses_flat_scratch, 0
	.set _ZL30rocblas_trmm_outofplace_kernelIfLi32ELi2ELb1ELb0ELb1ELb1EfKffEv17rocblas_diagonal_iiT6_lPT7_lllS4_lllPT8_llli.has_dyn_sized_stack, 0
	.set _ZL30rocblas_trmm_outofplace_kernelIfLi32ELi2ELb1ELb0ELb1ELb1EfKffEv17rocblas_diagonal_iiT6_lPT7_lllS4_lllPT8_llli.has_recursion, 0
	.set _ZL30rocblas_trmm_outofplace_kernelIfLi32ELi2ELb1ELb0ELb1ELb1EfKffEv17rocblas_diagonal_iiT6_lPT7_lllS4_lllPT8_llli.has_indirect_call, 0
	.section	.AMDGPU.csdata,"",@progbits
; Kernel info:
; codeLenInByte = 2996
; TotalNumSgprs: 56
; NumVgprs: 64
; ScratchSize: 0
; MemoryBound: 0
; FloatMode: 240
; IeeeMode: 1
; LDSByteSize: 8192 bytes/workgroup (compile time only)
; SGPRBlocks: 8
; VGPRBlocks: 15
; NumSGPRsForWavesPerEU: 65
; NumVGPRsForWavesPerEU: 64
; Occupancy: 4
; WaveLimiterHint : 0
; COMPUTE_PGM_RSRC2:SCRATCH_EN: 0
; COMPUTE_PGM_RSRC2:USER_SGPR: 6
; COMPUTE_PGM_RSRC2:TRAP_HANDLER: 0
; COMPUTE_PGM_RSRC2:TGID_X_EN: 1
; COMPUTE_PGM_RSRC2:TGID_Y_EN: 1
; COMPUTE_PGM_RSRC2:TGID_Z_EN: 1
; COMPUTE_PGM_RSRC2:TIDIG_COMP_CNT: 1
	.section	.text._ZL30rocblas_trmm_outofplace_kernelIfLi32ELi2ELb1ELb1ELb1ELb1EPKfS0_fEv17rocblas_diagonal_iiT6_lPT7_lllS5_lllPT8_llli,"axG",@progbits,_ZL30rocblas_trmm_outofplace_kernelIfLi32ELi2ELb1ELb1ELb1ELb1EPKfS0_fEv17rocblas_diagonal_iiT6_lPT7_lllS5_lllPT8_llli,comdat
	.globl	_ZL30rocblas_trmm_outofplace_kernelIfLi32ELi2ELb1ELb1ELb1ELb1EPKfS0_fEv17rocblas_diagonal_iiT6_lPT7_lllS5_lllPT8_llli ; -- Begin function _ZL30rocblas_trmm_outofplace_kernelIfLi32ELi2ELb1ELb1ELb1ELb1EPKfS0_fEv17rocblas_diagonal_iiT6_lPT7_lllS5_lllPT8_llli
	.p2align	8
	.type	_ZL30rocblas_trmm_outofplace_kernelIfLi32ELi2ELb1ELb1ELb1ELb1EPKfS0_fEv17rocblas_diagonal_iiT6_lPT7_lllS5_lllPT8_llli,@function
_ZL30rocblas_trmm_outofplace_kernelIfLi32ELi2ELb1ELb1ELb1ELb1EPKfS0_fEv17rocblas_diagonal_iiT6_lPT7_lllS5_lllPT8_llli: ; @_ZL30rocblas_trmm_outofplace_kernelIfLi32ELi2ELb1ELb1ELb1ELb1EPKfS0_fEv17rocblas_diagonal_iiT6_lPT7_lllS5_lllPT8_llli
; %bb.0:
	s_load_dwordx16 s[12:27], s[4:5], 0x10
	s_waitcnt lgkmcnt(0)
	s_mul_i32 s0, s15, s8
	s_mul_hi_u32 s1, s14, s8
	s_add_i32 s1, s1, s0
	s_mul_i32 s0, s14, s8
	s_lshl_b64 s[0:1], s[0:1], 2
	s_add_u32 s0, s12, s0
	s_addc_u32 s1, s13, s1
	s_load_dword s33, s[0:1], 0x0
	s_waitcnt lgkmcnt(0)
	v_cmp_eq_f32_e64 s[0:1], s33, 0
	s_and_b64 vcc, exec, s[0:1]
	s_cbranch_vccnz .LBB10_51
; %bb.1:
	s_load_dwordx4 s[28:31], s[4:5], 0x0
	s_waitcnt lgkmcnt(0)
	s_add_i32 s0, s30, -1
	s_ashr_i32 s1, s0, 31
	s_lshr_b32 s1, s1, 27
	s_add_i32 s0, s0, s1
	s_ashr_i32 s31, s0, 5
	s_cmp_gt_i32 s7, s31
	s_cbranch_scc1 .LBB10_51
; %bb.2:
	s_mul_i32 s0, s23, s8
	s_mul_hi_u32 s1, s22, s8
	s_load_dwordx8 s[36:43], s[4:5], 0x50
	s_load_dwordx4 s[44:47], s[4:5], 0x70
	s_add_i32 s1, s1, s0
	s_mul_i32 s0, s22, s8
	s_lshl_b64 s[10:11], s[0:1], 2
	s_add_u32 s0, s16, s10
	s_addc_u32 s1, s17, s11
	s_lshl_b64 s[12:13], s[18:19], 2
	s_add_u32 s2, s0, s12
	s_addc_u32 s3, s1, s13
	s_waitcnt lgkmcnt(0)
	s_mul_i32 s0, s47, s8
	s_mul_hi_u32 s1, s46, s8
	s_add_i32 s1, s1, s0
	s_mul_i32 s0, s46, s8
	s_lshl_b64 s[0:1], s[0:1], 2
	s_load_dword s48, s[4:5], 0x8c
	s_add_u32 s4, s40, s0
	s_addc_u32 s5, s41, s1
	s_lshl_b64 s[0:1], s[42:43], 2
	s_add_u32 s46, s4, s0
	s_addc_u32 s47, s5, s1
	s_lshl_b32 s49, s6, 5
	v_add_u32_e32 v18, s49, v0
	v_ashrrev_i32_e32 v19, 31, v18
	v_mul_lo_u32 v4, s20, v19
	v_mul_lo_u32 v5, s21, v18
	v_mad_u64_u32 v[2:3], s[0:1], s20, v18, 0
	s_cmp_gt_i32 s6, -1
	s_cselect_b64 s[22:23], -1, 0
	v_add3_u32 v3, v3, v4, v5
	v_lshlrev_b64 v[2:3], 2, v[2:3]
	v_mov_b32_e32 v4, s3
	v_add_co_u32_e32 v2, vcc, s2, v2
	s_cmpk_eq_i32 s28, 0x84
	v_addc_co_u32_e32 v3, vcc, v4, v3, vcc
	v_lshlrev_b32_e32 v6, 2, v1
	s_cselect_b64 s[34:35], -1, 0
	s_ashr_i32 s41, s29, 31
	s_ashr_i32 s6, s30, 31
	v_add_co_u32_e32 v43, vcc, v2, v6
	s_add_u32 s42, s29, -16
	s_mul_i32 s9, s39, s8
	s_mul_hi_u32 s18, s38, s8
	v_addc_co_u32_e32 v44, vcc, 0, v3, vcc
	s_addc_u32 s43, s41, -1
	s_add_i32 s9, s18, s9
	s_mul_i32 s8, s38, s8
	v_add_co_u32_e32 v20, vcc, 16, v18
	s_lshl_b64 s[8:9], s[8:9], 2
	s_lshl_b64 s[18:19], s[26:27], 2
	v_addc_co_u32_e32 v21, vcc, 0, v19, vcc
	s_add_u32 s8, s8, s18
	v_sub_co_u32_e32 v22, vcc, v18, v1
	s_addc_u32 s9, s9, s19
	v_subbrev_co_u32_e32 v23, vcc, 0, v19, vcc
	s_add_u32 s18, s24, s8
	v_add_co_u32_e32 v24, vcc, 16, v22
	s_addc_u32 s8, s25, s9
	s_lshl_b64 s[24:25], s[36:37], 2
	s_waitcnt lgkmcnt(0)
	s_lshl_b32 s38, s48, 5
	v_lshlrev_b64 v[26:27], 2, v[18:19]
	v_addc_co_u32_e32 v25, vcc, 0, v23, vcc
	v_mov_b32_e32 v7, s8
	s_add_u32 s8, s12, s10
	v_add_co_u32_e32 v8, vcc, 64, v26
	s_addc_u32 s9, s13, s11
	v_mov_b32_e32 v4, s8
	v_lshlrev_b32_e32 v45, 2, v0
	v_addc_co_u32_e32 v9, vcc, 0, v27, vcc
	v_mov_b32_e32 v5, s9
	v_mad_u64_u32 v[4:5], s[8:9], s20, v8, v[4:5]
	v_mul_lo_u32 v9, s20, v9
	v_mul_lo_u32 v8, s21, v8
	v_add_co_u32_e32 v28, vcc, s18, v45
	v_addc_co_u32_e32 v29, vcc, 0, v7, vcc
	v_add_co_u32_e32 v30, vcc, -16, v22
	v_addc_co_u32_e32 v31, vcc, -1, v23, vcc
	v_add3_u32 v5, v8, v5, v9
	v_add_co_u32_e32 v4, vcc, v4, v6
	v_lshlrev_b32_e32 v2, 7, v1
	v_addc_co_u32_e32 v5, vcc, 0, v5, vcc
	v_add_u32_e32 v46, v45, v2
	v_add_u32_e32 v47, 0x1000, v2
	;; [unrolled: 1-line block ×3, first 2 shown]
	v_mov_b32_e32 v6, s17
	v_add_co_u32_e32 v48, vcc, s16, v4
	s_mov_b32 s40, s29
	v_ashrrev_i32_e32 v3, 31, v2
	v_addc_co_u32_e32 v49, vcc, v6, v5, vcc
	v_cmp_le_i64_e64 s[2:3], s[40:41], v[20:21]
	v_add_co_u32_e32 v32, vcc, 64, v28
	v_lshlrev_b64 v[34:35], 2, v[2:3]
	v_mov_b32_e32 v42, 0
	v_cmp_le_i32_e64 s[0:1], s29, v18
	v_cmp_gt_i32_e64 s[4:5], s29, v18
	v_cmp_gt_i32_e64 s[14:15], s29, v2
	v_addc_co_u32_e32 v33, vcc, 0, v29, vcc
	v_add_u32_e32 v50, v47, v45
	v_mov_b32_e32 v51, 1.0
	v_lshl_add_u32 v36, s7, 5, v1
	s_branch .LBB10_4
.LBB10_3:                               ;   in Loop: Header=BB10_4 Depth=1
	s_or_b64 exec, exec, s[8:9]
	s_add_i32 s7, s48, s7
	s_cmp_le_i32 s7, s31
	v_add_u32_e32 v36, s38, v36
	s_cbranch_scc0 .LBB10_51
.LBB10_4:                               ; =>This Loop Header: Depth=1
                                        ;     Child Loop BB10_7 Depth 2
	v_lshl_add_u32 v52, s7, 5, v1
	v_ashrrev_i32_e32 v55, 31, v52
	s_andn2_b64 vcc, exec, s[22:23]
	v_mov_b32_e32 v56, 0
	v_mov_b32_e32 v54, 0
	;; [unrolled: 1-line block ×4, first 2 shown]
	s_cbranch_vccnz .LBB10_43
; %bb.5:                                ;   in Loop: Header=BB10_4 Depth=1
	v_ashrrev_i32_e32 v37, 31, v36
	v_lshlrev_b64 v[2:3], 2, v[36:37]
	v_mad_u64_u32 v[38:39], s[8:9], s24, v36, v[32:33]
	v_add_co_u32_e32 v2, vcc, 64, v2
	v_addc_co_u32_e32 v3, vcc, 0, v3, vcc
	v_mul_lo_u32 v3, s36, v3
	v_mul_lo_u32 v6, s37, v2
	v_mad_u64_u32 v[40:41], s[8:9], s36, v2, v[28:29]
	v_mul_lo_u32 v4, s25, v36
	v_mul_lo_u32 v5, s24, v37
	v_add3_u32 v41, v6, v41, v3
	v_mov_b32_e32 v3, s6
	v_sub_co_u32_e32 v2, vcc, s30, v52
	v_subb_co_u32_e32 v3, vcc, v3, v55, vcc
	v_cmp_lt_i64_e32 vcc, 0, v[2:3]
	v_cmp_lt_i64_e64 s[8:9], 16, v[2:3]
	v_add3_u32 v39, v4, v39, v5
	s_mov_b64 s[20:21], 0
	v_mov_b32_e32 v37, 0
	s_mov_b64 s[26:27], 0
	v_mov_b32_e32 v53, 0
	v_mov_b32_e32 v54, 0
	;; [unrolled: 1-line block ×3, first 2 shown]
	s_branch .LBB10_7
.LBB10_6:                               ;   in Loop: Header=BB10_7 Depth=2
	s_or_b64 exec, exec, s[10:11]
	s_waitcnt lgkmcnt(0)
	s_barrier
	ds_read_b128 v[14:17], v47
	ds_read_b128 v[10:13], v47 offset:16
	ds_read_b128 v[6:9], v47 offset:32
	;; [unrolled: 1-line block ×3, first 2 shown]
	ds_read2_b32 v[61:62], v45 offset1:16
	ds_read_b128 v[57:60], v47 offset:2048
	s_add_u32 s26, s26, 32
	s_addc_u32 s27, s27, 0
	s_sub_i32 s10, s26, 32
	s_waitcnt lgkmcnt(1)
	v_fmac_f32_e32 v56, v61, v14
	v_fmac_f32_e32 v54, v62, v14
	s_waitcnt lgkmcnt(0)
	v_fmac_f32_e32 v53, v61, v57
	v_fmac_f32_e32 v37, v62, v57
	ds_read2_b32 v[61:62], v45 offset0:32 offset1:48
	s_add_u32 s20, s20, 0x80
	s_addc_u32 s21, s21, 0
	s_cmp_ge_i32 s10, s49
	s_waitcnt lgkmcnt(0)
	v_fmac_f32_e32 v56, v61, v15
	v_fmac_f32_e32 v54, v62, v15
	ds_read2_b32 v[14:15], v45 offset0:64 offset1:80
	v_fmac_f32_e32 v53, v61, v58
	v_fmac_f32_e32 v37, v62, v58
	ds_read2_b32 v[57:58], v45 offset0:128 offset1:144
	s_waitcnt lgkmcnt(1)
	v_fmac_f32_e32 v56, v14, v16
	v_fmac_f32_e32 v54, v15, v16
	v_fmac_f32_e32 v53, v14, v59
	v_fmac_f32_e32 v37, v15, v59
	ds_read2_b32 v[14:15], v45 offset0:96 offset1:112
	s_waitcnt lgkmcnt(0)
	v_fmac_f32_e32 v56, v14, v17
	v_fmac_f32_e32 v54, v15, v17
	;; [unrolled: 1-line block ×4, first 2 shown]
	ds_read_b128 v[14:17], v47 offset:2064
	v_fmac_f32_e32 v56, v57, v10
	v_fmac_f32_e32 v54, v58, v10
	s_waitcnt lgkmcnt(0)
	v_fmac_f32_e32 v53, v57, v14
	v_fmac_f32_e32 v37, v58, v14
	ds_read2_b32 v[57:58], v45 offset0:160 offset1:176
	s_waitcnt lgkmcnt(0)
	v_fmac_f32_e32 v56, v57, v11
	v_fmac_f32_e32 v54, v58, v11
	ds_read2_b32 v[10:11], v45 offset0:192 offset1:208
	v_fmac_f32_e32 v53, v57, v15
	v_fmac_f32_e32 v37, v58, v15
	s_waitcnt lgkmcnt(0)
	v_fmac_f32_e32 v56, v10, v12
	v_fmac_f32_e32 v54, v11, v12
	;; [unrolled: 1-line block ×4, first 2 shown]
	ds_read2_b32 v[10:11], v45 offset0:224 offset1:240
	s_waitcnt lgkmcnt(0)
	v_fmac_f32_e32 v56, v10, v13
	v_fmac_f32_e32 v53, v10, v17
	v_add_u32_e32 v10, 0x400, v45
	v_fmac_f32_e32 v54, v11, v13
	v_fmac_f32_e32 v37, v11, v17
	ds_read2_b32 v[15:16], v10 offset1:16
	ds_read_b128 v[11:14], v47 offset:2080
	s_waitcnt lgkmcnt(1)
	v_fmac_f32_e32 v56, v15, v6
	v_fmac_f32_e32 v54, v16, v6
	s_waitcnt lgkmcnt(0)
	v_fmac_f32_e32 v53, v15, v11
	v_fmac_f32_e32 v37, v16, v11
	ds_read2_b32 v[15:16], v10 offset0:32 offset1:48
	s_waitcnt lgkmcnt(0)
	v_fmac_f32_e32 v56, v15, v7
	v_fmac_f32_e32 v54, v16, v7
	ds_read2_b32 v[6:7], v10 offset0:64 offset1:80
	v_fmac_f32_e32 v53, v15, v12
	v_fmac_f32_e32 v37, v16, v12
	ds_read2_b32 v[11:12], v10 offset0:128 offset1:144
	s_waitcnt lgkmcnt(1)
	v_fmac_f32_e32 v56, v6, v8
	v_fmac_f32_e32 v54, v7, v8
	;; [unrolled: 1-line block ×4, first 2 shown]
	ds_read2_b32 v[6:7], v10 offset0:96 offset1:112
	s_waitcnt lgkmcnt(0)
	v_fmac_f32_e32 v56, v6, v9
	v_fmac_f32_e32 v54, v7, v9
	;; [unrolled: 1-line block ×4, first 2 shown]
	ds_read_b128 v[6:9], v47 offset:2096
	v_fmac_f32_e32 v56, v11, v2
	v_fmac_f32_e32 v54, v12, v2
	s_waitcnt lgkmcnt(0)
	v_fmac_f32_e32 v53, v11, v6
	v_fmac_f32_e32 v37, v12, v6
	ds_read2_b32 v[11:12], v10 offset0:160 offset1:176
	s_waitcnt lgkmcnt(0)
	v_fmac_f32_e32 v56, v11, v3
	v_fmac_f32_e32 v54, v12, v3
	ds_read2_b32 v[2:3], v10 offset0:192 offset1:208
	v_fmac_f32_e32 v53, v11, v7
	v_fmac_f32_e32 v37, v12, v7
	s_waitcnt lgkmcnt(0)
	v_fmac_f32_e32 v56, v2, v4
	v_fmac_f32_e32 v54, v3, v4
	;; [unrolled: 1-line block ×4, first 2 shown]
	ds_read2_b32 v[2:3], v10 offset0:224 offset1:240
	v_add_u32_e32 v10, 0x800, v45
	ds_read2_b32 v[11:12], v10 offset1:16
	s_waitcnt lgkmcnt(1)
	v_fmac_f32_e32 v56, v2, v5
	v_fmac_f32_e32 v54, v3, v5
	;; [unrolled: 1-line block ×4, first 2 shown]
	ds_read_b128 v[2:5], v47 offset:64
	ds_read_b128 v[6:9], v47 offset:2112
	s_waitcnt lgkmcnt(1)
	v_fmac_f32_e32 v56, v11, v2
	v_fmac_f32_e32 v54, v12, v2
	s_waitcnt lgkmcnt(0)
	v_fmac_f32_e32 v53, v11, v6
	v_fmac_f32_e32 v37, v12, v6
	ds_read2_b32 v[11:12], v10 offset0:32 offset1:48
	s_waitcnt lgkmcnt(0)
	v_fmac_f32_e32 v56, v11, v3
	v_fmac_f32_e32 v54, v12, v3
	ds_read2_b32 v[2:3], v10 offset0:64 offset1:80
	v_fmac_f32_e32 v53, v11, v7
	v_fmac_f32_e32 v37, v12, v7
	s_waitcnt lgkmcnt(0)
	v_fmac_f32_e32 v56, v2, v4
	v_fmac_f32_e32 v54, v3, v4
	;; [unrolled: 1-line block ×4, first 2 shown]
	ds_read2_b32 v[2:3], v10 offset0:96 offset1:112
	s_waitcnt lgkmcnt(0)
	v_fmac_f32_e32 v56, v2, v5
	v_fmac_f32_e32 v54, v3, v5
	;; [unrolled: 1-line block ×4, first 2 shown]
	ds_read_b128 v[2:5], v47 offset:80
	ds_read2_b32 v[11:12], v10 offset0:128 offset1:144
	ds_read_b128 v[6:9], v47 offset:2128
	s_waitcnt lgkmcnt(1)
	v_fmac_f32_e32 v56, v11, v2
	v_fmac_f32_e32 v54, v12, v2
	s_waitcnt lgkmcnt(0)
	v_fmac_f32_e32 v53, v11, v6
	v_fmac_f32_e32 v37, v12, v6
	ds_read2_b32 v[11:12], v10 offset0:160 offset1:176
	s_waitcnt lgkmcnt(0)
	v_fmac_f32_e32 v56, v11, v3
	v_fmac_f32_e32 v54, v12, v3
	ds_read2_b32 v[2:3], v10 offset0:192 offset1:208
	v_fmac_f32_e32 v53, v11, v7
	v_fmac_f32_e32 v37, v12, v7
	s_waitcnt lgkmcnt(0)
	v_fmac_f32_e32 v56, v2, v4
	v_fmac_f32_e32 v54, v3, v4
	;; [unrolled: 1-line block ×4, first 2 shown]
	ds_read2_b32 v[2:3], v10 offset0:224 offset1:240
	v_add_u32_e32 v10, 0xc00, v45
	ds_read2_b32 v[11:12], v10 offset1:16
	s_waitcnt lgkmcnt(1)
	v_fmac_f32_e32 v56, v2, v5
	v_fmac_f32_e32 v54, v3, v5
	;; [unrolled: 1-line block ×4, first 2 shown]
	ds_read_b128 v[2:5], v47 offset:96
	ds_read_b128 v[6:9], v47 offset:2144
	s_waitcnt lgkmcnt(1)
	v_fmac_f32_e32 v56, v11, v2
	v_fmac_f32_e32 v54, v12, v2
	s_waitcnt lgkmcnt(0)
	v_fmac_f32_e32 v53, v11, v6
	v_fmac_f32_e32 v37, v12, v6
	ds_read2_b32 v[11:12], v10 offset0:32 offset1:48
	s_waitcnt lgkmcnt(0)
	v_fmac_f32_e32 v56, v11, v3
	v_fmac_f32_e32 v54, v12, v3
	ds_read2_b32 v[2:3], v10 offset0:64 offset1:80
	v_fmac_f32_e32 v53, v11, v7
	v_fmac_f32_e32 v37, v12, v7
	s_waitcnt lgkmcnt(0)
	v_fmac_f32_e32 v56, v2, v4
	v_fmac_f32_e32 v54, v3, v4
	;; [unrolled: 1-line block ×4, first 2 shown]
	ds_read2_b32 v[2:3], v10 offset0:96 offset1:112
	s_waitcnt lgkmcnt(0)
	v_fmac_f32_e32 v56, v2, v5
	v_fmac_f32_e32 v54, v3, v5
	;; [unrolled: 1-line block ×4, first 2 shown]
	ds_read_b128 v[2:5], v47 offset:112
	ds_read2_b32 v[11:12], v10 offset0:128 offset1:144
	ds_read_b128 v[6:9], v47 offset:2160
	s_waitcnt lgkmcnt(1)
	v_fmac_f32_e32 v56, v11, v2
	v_fmac_f32_e32 v54, v12, v2
	s_waitcnt lgkmcnt(0)
	v_fmac_f32_e32 v53, v11, v6
	v_fmac_f32_e32 v37, v12, v6
	ds_read2_b32 v[11:12], v10 offset0:160 offset1:176
	s_waitcnt lgkmcnt(0)
	v_fmac_f32_e32 v56, v11, v3
	v_fmac_f32_e32 v54, v12, v3
	ds_read2_b32 v[2:3], v10 offset0:192 offset1:208
	v_fmac_f32_e32 v53, v11, v7
	v_fmac_f32_e32 v37, v12, v7
	s_waitcnt lgkmcnt(0)
	v_fmac_f32_e32 v56, v2, v4
	v_fmac_f32_e32 v54, v3, v4
	;; [unrolled: 1-line block ×4, first 2 shown]
	ds_read2_b32 v[2:3], v10 offset0:224 offset1:240
	s_waitcnt lgkmcnt(0)
	s_barrier
	v_fmac_f32_e32 v56, v2, v5
	v_fmac_f32_e32 v54, v3, v5
	v_fmac_f32_e32 v53, v2, v9
	v_fmac_f32_e32 v37, v3, v9
	s_cbranch_scc1 .LBB10_43
.LBB10_7:                               ;   Parent Loop BB10_4 Depth=1
                                        ; =>  This Inner Loop Header: Depth=2
	v_mov_b32_e32 v2, s27
	v_add_co_u32_e64 v4, s[10:11], s26, v1
	v_addc_co_u32_e64 v5, s[10:11], 0, v2, s[10:11]
	v_mov_b32_e32 v3, s21
	v_add_co_u32_e64 v2, s[10:11], s20, v43
	v_addc_co_u32_e64 v3, s[10:11], v44, v3, s[10:11]
	v_cmp_le_i64_e64 s[12:13], s[40:41], v[4:5]
	v_cmp_eq_u64_e64 s[16:17], s[26:27], v[22:23]
	v_cmp_gt_i64_e64 s[10:11], v[4:5], v[18:19]
	s_and_b64 s[28:29], s[34:35], s[16:17]
	s_or_b64 s[16:17], s[12:13], s[10:11]
	s_or_b64 s[16:17], s[16:17], s[28:29]
	s_nor_b64 s[16:17], s[0:1], s[16:17]
                                        ; implicit-def: $vgpr6
	s_and_saveexec_b64 s[18:19], s[16:17]
	s_xor_b64 s[16:17], exec, s[18:19]
	s_cbranch_execz .LBB10_9
; %bb.8:                                ;   in Loop: Header=BB10_7 Depth=2
	global_load_dword v6, v[2:3], off
.LBB10_9:                               ;   in Loop: Header=BB10_7 Depth=2
	s_andn2_saveexec_b64 s[16:17], s[16:17]
	s_cbranch_execz .LBB10_11
; %bb.10:                               ;   in Loop: Header=BB10_7 Depth=2
	s_waitcnt vmcnt(0)
	v_cndmask_b32_e64 v6, 0, 1.0, s[28:29]
.LBB10_11:                              ;   in Loop: Header=BB10_7 Depth=2
	s_or_b64 exec, exec, s[16:17]
	v_cmp_eq_u64_e64 s[16:17], s[26:27], v[24:25]
	v_cmp_lt_i64_e64 s[18:19], v[20:21], v[4:5]
	s_and_b64 s[16:17], s[34:35], s[16:17]
	s_or_b64 s[12:13], s[12:13], s[18:19]
	s_or_b64 s[12:13], s[12:13], s[16:17]
	s_nor_b64 s[12:13], s[2:3], s[12:13]
	s_waitcnt vmcnt(0)
	ds_write_b32 v46, v6
	s_and_saveexec_b64 s[18:19], s[12:13]
	s_xor_b64 s[18:19], exec, s[18:19]
	s_cbranch_execz .LBB10_13
; %bb.12:                               ;   in Loop: Header=BB10_7 Depth=2
	v_mov_b32_e32 v7, s21
	v_add_co_u32_e64 v6, s[12:13], s20, v48
	v_addc_co_u32_e64 v7, s[12:13], v49, v7, s[12:13]
	global_load_dword v6, v[6:7], off
	s_waitcnt vmcnt(0)
	ds_write_b32 v46, v6 offset:64
.LBB10_13:                              ;   in Loop: Header=BB10_7 Depth=2
	s_andn2_saveexec_b64 s[12:13], s[18:19]
	s_cbranch_execz .LBB10_19
; %bb.14:                               ;   in Loop: Header=BB10_7 Depth=2
	s_xor_b64 s[16:17], s[16:17], -1
	s_and_saveexec_b64 s[18:19], s[16:17]
	s_xor_b64 s[16:17], exec, s[18:19]
; %bb.15:                               ;   in Loop: Header=BB10_7 Depth=2
	ds_write_b32 v46, v42 offset:64
; %bb.16:                               ;   in Loop: Header=BB10_7 Depth=2
	s_andn2_saveexec_b64 s[16:17], s[16:17]
; %bb.17:                               ;   in Loop: Header=BB10_7 Depth=2
	ds_write_b32 v46, v51 offset:64
; %bb.18:                               ;   in Loop: Header=BB10_7 Depth=2
	s_or_b64 exec, exec, s[16:17]
.LBB10_19:                              ;   in Loop: Header=BB10_7 Depth=2
	s_or_b64 exec, exec, s[12:13]
	v_add_co_u32_e64 v4, s[12:13], 16, v4
	v_addc_co_u32_e64 v5, s[12:13], 0, v5, s[12:13]
	v_cmp_le_i64_e64 s[12:13], s[40:41], v[4:5]
	v_cmp_eq_u64_e64 s[16:17], s[26:27], v[30:31]
	v_cmp_gt_i64_e64 s[18:19], v[4:5], v[18:19]
	s_and_b64 s[16:17], s[34:35], s[16:17]
	s_or_b64 s[18:19], s[12:13], s[18:19]
	s_or_b64 s[18:19], s[18:19], s[16:17]
	s_nor_b64 s[18:19], s[0:1], s[18:19]
                                        ; implicit-def: $vgpr4
	s_and_saveexec_b64 s[50:51], s[18:19]
	s_xor_b64 s[18:19], exec, s[50:51]
	s_cbranch_execz .LBB10_21
; %bb.20:                               ;   in Loop: Header=BB10_7 Depth=2
	global_load_dword v4, v[2:3], off offset:64
.LBB10_21:                              ;   in Loop: Header=BB10_7 Depth=2
	s_andn2_saveexec_b64 s[18:19], s[18:19]
	s_cbranch_execz .LBB10_23
; %bb.22:                               ;   in Loop: Header=BB10_7 Depth=2
	s_waitcnt vmcnt(0)
	v_cndmask_b32_e64 v4, 0, 1.0, s[16:17]
.LBB10_23:                              ;   in Loop: Header=BB10_7 Depth=2
	s_or_b64 exec, exec, s[18:19]
	s_or_b64 s[10:11], s[12:13], s[10:11]
	s_or_b64 s[10:11], s[10:11], s[28:29]
	s_nor_b64 s[10:11], s[2:3], s[10:11]
	s_waitcnt vmcnt(0)
	ds_write_b32 v46, v4 offset:2048
	s_and_saveexec_b64 s[12:13], s[10:11]
	s_xor_b64 s[12:13], exec, s[12:13]
	s_cbranch_execz .LBB10_25
; %bb.24:                               ;   in Loop: Header=BB10_7 Depth=2
	v_mov_b32_e32 v3, s21
	v_add_co_u32_e64 v2, s[10:11], s20, v48
	v_addc_co_u32_e64 v3, s[10:11], v49, v3, s[10:11]
	global_load_dword v2, v[2:3], off offset:64
	s_waitcnt vmcnt(0)
	ds_write_b32 v46, v2 offset:2112
.LBB10_25:                              ;   in Loop: Header=BB10_7 Depth=2
	s_andn2_saveexec_b64 s[10:11], s[12:13]
	s_cbranch_execz .LBB10_31
; %bb.26:                               ;   in Loop: Header=BB10_7 Depth=2
	s_xor_b64 s[12:13], s[28:29], -1
	s_and_saveexec_b64 s[16:17], s[12:13]
	s_xor_b64 s[12:13], exec, s[16:17]
; %bb.27:                               ;   in Loop: Header=BB10_7 Depth=2
	ds_write_b32 v46, v42 offset:2112
; %bb.28:                               ;   in Loop: Header=BB10_7 Depth=2
	s_andn2_saveexec_b64 s[12:13], s[12:13]
; %bb.29:                               ;   in Loop: Header=BB10_7 Depth=2
	ds_write_b32 v46, v51 offset:2112
; %bb.30:                               ;   in Loop: Header=BB10_7 Depth=2
	s_or_b64 exec, exec, s[12:13]
.LBB10_31:                              ;   in Loop: Header=BB10_7 Depth=2
	s_or_b64 exec, exec, s[10:11]
	v_mov_b32_e32 v2, s27
	v_add_co_u32_e64 v4, s[10:11], s26, v0
	v_addc_co_u32_e64 v5, s[10:11], 0, v2, s[10:11]
	v_cmp_gt_i64_e64 s[10:11], s[40:41], v[4:5]
	v_mov_b32_e32 v3, s21
	v_add_co_u32_e64 v2, s[12:13], s20, v38
	v_addc_co_u32_e64 v3, s[12:13], v39, v3, s[12:13]
	s_and_b64 s[16:17], vcc, s[10:11]
	v_mov_b32_e32 v6, 0
	s_and_saveexec_b64 s[12:13], s[16:17]
	s_cbranch_execz .LBB10_33
; %bb.32:                               ;   in Loop: Header=BB10_7 Depth=2
	global_load_dword v6, v[2:3], off offset:-64
.LBB10_33:                              ;   in Loop: Header=BB10_7 Depth=2
	s_or_b64 exec, exec, s[12:13]
	v_cmp_gt_i64_e64 s[12:13], s[42:43], v[4:5]
	s_waitcnt vmcnt(0)
	ds_write_b32 v50, v6
	s_and_b64 s[16:17], vcc, s[12:13]
	s_xor_b64 s[16:17], s[16:17], -1
	s_and_saveexec_b64 s[18:19], s[16:17]
	s_xor_b64 s[16:17], exec, s[18:19]
; %bb.34:                               ;   in Loop: Header=BB10_7 Depth=2
	ds_write_b32 v50, v42 offset:64
                                        ; implicit-def: $vgpr2_vgpr3
; %bb.35:                               ;   in Loop: Header=BB10_7 Depth=2
	s_andn2_saveexec_b64 s[16:17], s[16:17]
	s_cbranch_execz .LBB10_37
; %bb.36:                               ;   in Loop: Header=BB10_7 Depth=2
	global_load_dword v2, v[2:3], off
	s_waitcnt vmcnt(0)
	ds_write_b32 v50, v2 offset:64
.LBB10_37:                              ;   in Loop: Header=BB10_7 Depth=2
	s_or_b64 exec, exec, s[16:17]
	v_mov_b32_e32 v3, s21
	v_add_co_u32_e64 v2, s[16:17], s20, v40
	v_addc_co_u32_e64 v3, s[16:17], v41, v3, s[16:17]
	s_and_b64 s[16:17], s[8:9], s[10:11]
	v_mov_b32_e32 v4, 0
	s_and_saveexec_b64 s[10:11], s[16:17]
	s_cbranch_execz .LBB10_39
; %bb.38:                               ;   in Loop: Header=BB10_7 Depth=2
	global_load_dword v4, v[2:3], off
.LBB10_39:                              ;   in Loop: Header=BB10_7 Depth=2
	s_or_b64 exec, exec, s[10:11]
	s_and_b64 s[10:11], s[8:9], s[12:13]
	s_xor_b64 s[10:11], s[10:11], -1
	s_waitcnt vmcnt(0)
	ds_write_b32 v50, v4 offset:2048
	s_and_saveexec_b64 s[12:13], s[10:11]
	s_xor_b64 s[10:11], exec, s[12:13]
; %bb.40:                               ;   in Loop: Header=BB10_7 Depth=2
	ds_write_b32 v50, v42 offset:2112
                                        ; implicit-def: $vgpr2_vgpr3
; %bb.41:                               ;   in Loop: Header=BB10_7 Depth=2
	s_andn2_saveexec_b64 s[10:11], s[10:11]
	s_cbranch_execz .LBB10_6
; %bb.42:                               ;   in Loop: Header=BB10_7 Depth=2
	global_load_dword v2, v[2:3], off offset:64
	s_waitcnt vmcnt(0)
	ds_write_b32 v50, v2 offset:2112
	s_branch .LBB10_6
.LBB10_43:                              ;   in Loop: Header=BB10_4 Depth=1
	v_mul_lo_u32 v4, s45, v52
	v_mul_lo_u32 v5, s44, v55
	v_mad_u64_u32 v[2:3], s[8:9], s44, v52, 0
	v_cmp_gt_i32_e32 vcc, s30, v52
	v_add3_u32 v3, v3, v5, v4
	v_lshlrev_b64 v[2:3], 2, v[2:3]
	v_mov_b32_e32 v4, s47
	v_add_co_u32_e64 v2, s[8:9], s46, v2
	v_addc_co_u32_e64 v3, s[8:9], v4, v3, s[8:9]
	s_and_b64 s[8:9], s[4:5], vcc
	s_and_saveexec_b64 s[10:11], s[8:9]
	s_cbranch_execz .LBB10_45
; %bb.44:                               ;   in Loop: Header=BB10_4 Depth=1
	v_add_co_u32_e64 v4, s[8:9], v2, v26
	v_addc_co_u32_e64 v5, s[8:9], v3, v27, s[8:9]
	global_load_dword v6, v[4:5], off
	s_waitcnt vmcnt(0)
	v_fmac_f32_e32 v6, s33, v56
	global_store_dword v[4:5], v6, off
.LBB10_45:                              ;   in Loop: Header=BB10_4 Depth=1
	s_or_b64 exec, exec, s[10:11]
	s_and_b64 s[10:11], s[14:15], vcc
	s_and_saveexec_b64 s[8:9], s[10:11]
	s_cbranch_execz .LBB10_47
; %bb.46:                               ;   in Loop: Header=BB10_4 Depth=1
	v_add_co_u32_e32 v2, vcc, v2, v34
	v_addc_co_u32_e32 v3, vcc, v3, v35, vcc
	global_load_dword v4, v[2:3], off
	s_waitcnt vmcnt(0)
	v_fmac_f32_e32 v4, s33, v54
	global_store_dword v[2:3], v4, off
.LBB10_47:                              ;   in Loop: Header=BB10_4 Depth=1
	s_or_b64 exec, exec, s[8:9]
	v_add_u32_e32 v4, 16, v52
	v_ashrrev_i32_e32 v2, 31, v4
	v_mul_lo_u32 v5, s44, v2
	v_mul_lo_u32 v6, s45, v4
	v_mad_u64_u32 v[2:3], s[8:9], s44, v4, 0
	v_cmp_gt_i32_e32 vcc, s30, v4
	v_mov_b32_e32 v4, s47
	v_add3_u32 v3, v3, v5, v6
	v_lshlrev_b64 v[2:3], 2, v[2:3]
	v_add_co_u32_e64 v2, s[8:9], s46, v2
	v_addc_co_u32_e64 v3, s[8:9], v4, v3, s[8:9]
	s_and_b64 s[8:9], s[4:5], vcc
	s_and_saveexec_b64 s[10:11], s[8:9]
	s_cbranch_execz .LBB10_49
; %bb.48:                               ;   in Loop: Header=BB10_4 Depth=1
	v_add_co_u32_e64 v4, s[8:9], v2, v26
	v_addc_co_u32_e64 v5, s[8:9], v3, v27, s[8:9]
	global_load_dword v6, v[4:5], off
	s_waitcnt vmcnt(0)
	v_fmac_f32_e32 v6, s33, v53
	global_store_dword v[4:5], v6, off
.LBB10_49:                              ;   in Loop: Header=BB10_4 Depth=1
	s_or_b64 exec, exec, s[10:11]
	s_and_b64 s[10:11], s[14:15], vcc
	s_and_saveexec_b64 s[8:9], s[10:11]
	s_cbranch_execz .LBB10_3
; %bb.50:                               ;   in Loop: Header=BB10_4 Depth=1
	v_add_co_u32_e32 v2, vcc, v2, v34
	v_addc_co_u32_e32 v3, vcc, v3, v35, vcc
	global_load_dword v4, v[2:3], off
	s_waitcnt vmcnt(0)
	v_fmac_f32_e32 v4, s33, v37
	global_store_dword v[2:3], v4, off
	s_branch .LBB10_3
.LBB10_51:
	s_endpgm
	.section	.rodata,"a",@progbits
	.p2align	6, 0x0
	.amdhsa_kernel _ZL30rocblas_trmm_outofplace_kernelIfLi32ELi2ELb1ELb1ELb1ELb1EPKfS0_fEv17rocblas_diagonal_iiT6_lPT7_lllS5_lllPT8_llli
		.amdhsa_group_segment_fixed_size 8192
		.amdhsa_private_segment_fixed_size 0
		.amdhsa_kernarg_size 392
		.amdhsa_user_sgpr_count 6
		.amdhsa_user_sgpr_private_segment_buffer 1
		.amdhsa_user_sgpr_dispatch_ptr 0
		.amdhsa_user_sgpr_queue_ptr 0
		.amdhsa_user_sgpr_kernarg_segment_ptr 1
		.amdhsa_user_sgpr_dispatch_id 0
		.amdhsa_user_sgpr_flat_scratch_init 0
		.amdhsa_user_sgpr_private_segment_size 0
		.amdhsa_uses_dynamic_stack 0
		.amdhsa_system_sgpr_private_segment_wavefront_offset 0
		.amdhsa_system_sgpr_workgroup_id_x 1
		.amdhsa_system_sgpr_workgroup_id_y 1
		.amdhsa_system_sgpr_workgroup_id_z 1
		.amdhsa_system_sgpr_workgroup_info 0
		.amdhsa_system_vgpr_workitem_id 1
		.amdhsa_next_free_vgpr 63
		.amdhsa_next_free_sgpr 61
		.amdhsa_reserve_vcc 1
		.amdhsa_reserve_flat_scratch 0
		.amdhsa_float_round_mode_32 0
		.amdhsa_float_round_mode_16_64 0
		.amdhsa_float_denorm_mode_32 3
		.amdhsa_float_denorm_mode_16_64 3
		.amdhsa_dx10_clamp 1
		.amdhsa_ieee_mode 1
		.amdhsa_fp16_overflow 0
		.amdhsa_exception_fp_ieee_invalid_op 0
		.amdhsa_exception_fp_denorm_src 0
		.amdhsa_exception_fp_ieee_div_zero 0
		.amdhsa_exception_fp_ieee_overflow 0
		.amdhsa_exception_fp_ieee_underflow 0
		.amdhsa_exception_fp_ieee_inexact 0
		.amdhsa_exception_int_div_zero 0
	.end_amdhsa_kernel
	.section	.text._ZL30rocblas_trmm_outofplace_kernelIfLi32ELi2ELb1ELb1ELb1ELb1EPKfS0_fEv17rocblas_diagonal_iiT6_lPT7_lllS5_lllPT8_llli,"axG",@progbits,_ZL30rocblas_trmm_outofplace_kernelIfLi32ELi2ELb1ELb1ELb1ELb1EPKfS0_fEv17rocblas_diagonal_iiT6_lPT7_lllS5_lllPT8_llli,comdat
.Lfunc_end10:
	.size	_ZL30rocblas_trmm_outofplace_kernelIfLi32ELi2ELb1ELb1ELb1ELb1EPKfS0_fEv17rocblas_diagonal_iiT6_lPT7_lllS5_lllPT8_llli, .Lfunc_end10-_ZL30rocblas_trmm_outofplace_kernelIfLi32ELi2ELb1ELb1ELb1ELb1EPKfS0_fEv17rocblas_diagonal_iiT6_lPT7_lllS5_lllPT8_llli
                                        ; -- End function
	.set _ZL30rocblas_trmm_outofplace_kernelIfLi32ELi2ELb1ELb1ELb1ELb1EPKfS0_fEv17rocblas_diagonal_iiT6_lPT7_lllS5_lllPT8_llli.num_vgpr, 63
	.set _ZL30rocblas_trmm_outofplace_kernelIfLi32ELi2ELb1ELb1ELb1ELb1EPKfS0_fEv17rocblas_diagonal_iiT6_lPT7_lllS5_lllPT8_llli.num_agpr, 0
	.set _ZL30rocblas_trmm_outofplace_kernelIfLi32ELi2ELb1ELb1ELb1ELb1EPKfS0_fEv17rocblas_diagonal_iiT6_lPT7_lllS5_lllPT8_llli.numbered_sgpr, 52
	.set _ZL30rocblas_trmm_outofplace_kernelIfLi32ELi2ELb1ELb1ELb1ELb1EPKfS0_fEv17rocblas_diagonal_iiT6_lPT7_lllS5_lllPT8_llli.num_named_barrier, 0
	.set _ZL30rocblas_trmm_outofplace_kernelIfLi32ELi2ELb1ELb1ELb1ELb1EPKfS0_fEv17rocblas_diagonal_iiT6_lPT7_lllS5_lllPT8_llli.private_seg_size, 0
	.set _ZL30rocblas_trmm_outofplace_kernelIfLi32ELi2ELb1ELb1ELb1ELb1EPKfS0_fEv17rocblas_diagonal_iiT6_lPT7_lllS5_lllPT8_llli.uses_vcc, 1
	.set _ZL30rocblas_trmm_outofplace_kernelIfLi32ELi2ELb1ELb1ELb1ELb1EPKfS0_fEv17rocblas_diagonal_iiT6_lPT7_lllS5_lllPT8_llli.uses_flat_scratch, 0
	.set _ZL30rocblas_trmm_outofplace_kernelIfLi32ELi2ELb1ELb1ELb1ELb1EPKfS0_fEv17rocblas_diagonal_iiT6_lPT7_lllS5_lllPT8_llli.has_dyn_sized_stack, 0
	.set _ZL30rocblas_trmm_outofplace_kernelIfLi32ELi2ELb1ELb1ELb1ELb1EPKfS0_fEv17rocblas_diagonal_iiT6_lPT7_lllS5_lllPT8_llli.has_recursion, 0
	.set _ZL30rocblas_trmm_outofplace_kernelIfLi32ELi2ELb1ELb1ELb1ELb1EPKfS0_fEv17rocblas_diagonal_iiT6_lPT7_lllS5_lllPT8_llli.has_indirect_call, 0
	.section	.AMDGPU.csdata,"",@progbits
; Kernel info:
; codeLenInByte = 3028
; TotalNumSgprs: 56
; NumVgprs: 63
; ScratchSize: 0
; MemoryBound: 0
; FloatMode: 240
; IeeeMode: 1
; LDSByteSize: 8192 bytes/workgroup (compile time only)
; SGPRBlocks: 8
; VGPRBlocks: 15
; NumSGPRsForWavesPerEU: 65
; NumVGPRsForWavesPerEU: 63
; Occupancy: 4
; WaveLimiterHint : 0
; COMPUTE_PGM_RSRC2:SCRATCH_EN: 0
; COMPUTE_PGM_RSRC2:USER_SGPR: 6
; COMPUTE_PGM_RSRC2:TRAP_HANDLER: 0
; COMPUTE_PGM_RSRC2:TGID_X_EN: 1
; COMPUTE_PGM_RSRC2:TGID_Y_EN: 1
; COMPUTE_PGM_RSRC2:TGID_Z_EN: 1
; COMPUTE_PGM_RSRC2:TIDIG_COMP_CNT: 1
	.section	.text._ZL30rocblas_trmm_outofplace_kernelIfLi32ELi2ELb1ELb1ELb1ELb1EfKffEv17rocblas_diagonal_iiT6_lPT7_lllS4_lllPT8_llli,"axG",@progbits,_ZL30rocblas_trmm_outofplace_kernelIfLi32ELi2ELb1ELb1ELb1ELb1EfKffEv17rocblas_diagonal_iiT6_lPT7_lllS4_lllPT8_llli,comdat
	.globl	_ZL30rocblas_trmm_outofplace_kernelIfLi32ELi2ELb1ELb1ELb1ELb1EfKffEv17rocblas_diagonal_iiT6_lPT7_lllS4_lllPT8_llli ; -- Begin function _ZL30rocblas_trmm_outofplace_kernelIfLi32ELi2ELb1ELb1ELb1ELb1EfKffEv17rocblas_diagonal_iiT6_lPT7_lllS4_lllPT8_llli
	.p2align	8
	.type	_ZL30rocblas_trmm_outofplace_kernelIfLi32ELi2ELb1ELb1ELb1ELb1EfKffEv17rocblas_diagonal_iiT6_lPT7_lllS4_lllPT8_llli,@function
_ZL30rocblas_trmm_outofplace_kernelIfLi32ELi2ELb1ELb1ELb1ELb1EfKffEv17rocblas_diagonal_iiT6_lPT7_lllS4_lllPT8_llli: ; @_ZL30rocblas_trmm_outofplace_kernelIfLi32ELi2ELb1ELb1ELb1ELb1EfKffEv17rocblas_diagonal_iiT6_lPT7_lllS4_lllPT8_llli
; %bb.0:
	s_load_dwordx4 s[28:31], s[4:5], 0x0
	s_waitcnt lgkmcnt(0)
	v_cmp_eq_f32_e64 s[0:1], s31, 0
	s_and_b64 vcc, exec, s[0:1]
	s_cbranch_vccnz .LBB11_51
; %bb.1:
	s_add_i32 s0, s30, -1
	s_ashr_i32 s1, s0, 31
	s_lshr_b32 s1, s1, 27
	s_add_i32 s0, s0, s1
	s_ashr_i32 s33, s0, 5
	s_cmp_gt_i32 s7, s33
	s_cbranch_scc1 .LBB11_51
; %bb.2:
	s_load_dwordx16 s[12:27], s[4:5], 0x18
	s_load_dwordx8 s[36:43], s[4:5], 0x58
	v_lshlrev_b32_e32 v6, 2, v1
	s_load_dword s48, s[4:5], 0x84
	v_lshlrev_b32_e32 v45, 2, v0
	s_waitcnt lgkmcnt(0)
	s_mul_i32 s1, s19, s8
	s_mul_hi_u32 s2, s18, s8
	s_mul_i32 s0, s18, s8
	s_add_i32 s1, s2, s1
	s_lshl_b64 s[10:11], s[0:1], 2
	s_add_u32 s0, s12, s10
	s_addc_u32 s1, s13, s11
	s_lshl_b64 s[18:19], s[14:15], 2
	s_add_u32 s2, s0, s18
	s_addc_u32 s3, s1, s19
	s_mul_i32 s0, s43, s8
	s_mul_hi_u32 s1, s42, s8
	s_add_i32 s1, s1, s0
	s_mul_i32 s0, s42, s8
	s_lshl_b64 s[0:1], s[0:1], 2
	s_add_u32 s9, s36, s0
	s_addc_u32 s14, s37, s1
	s_lshl_b64 s[0:1], s[38:39], 2
	s_add_u32 s44, s9, s0
	s_addc_u32 s45, s14, s1
	s_lshl_b32 s46, s6, 5
	v_add_u32_e32 v18, s46, v0
	v_ashrrev_i32_e32 v19, 31, v18
	v_mul_lo_u32 v4, s16, v19
	v_mul_lo_u32 v5, s17, v18
	v_mad_u64_u32 v[2:3], s[0:1], s16, v18, 0
	s_cmp_gt_i32 s6, -1
	s_cselect_b64 s[34:35], -1, 0
	v_add3_u32 v3, v3, v4, v5
	v_lshlrev_b64 v[2:3], 2, v[2:3]
	v_mov_b32_e32 v4, s3
	v_add_co_u32_e32 v2, vcc, s2, v2
	s_cmpk_eq_i32 s28, 0x84
	v_addc_co_u32_e32 v3, vcc, v4, v3, vcc
	s_cselect_b64 s[36:37], -1, 0
	s_ashr_i32 s39, s29, 31
	s_ashr_i32 s6, s30, 31
	v_add_co_u32_e32 v43, vcc, v2, v6
	s_add_u32 s42, s29, -16
	s_mul_i32 s9, s27, s8
	s_mul_hi_u32 s27, s26, s8
	v_addc_co_u32_e32 v44, vcc, 0, v3, vcc
	s_addc_u32 s43, s39, -1
	s_add_i32 s9, s27, s9
	s_mul_i32 s8, s26, s8
	v_add_co_u32_e32 v20, vcc, 16, v18
	s_lshl_b64 s[8:9], s[8:9], 2
	s_lshl_b64 s[22:23], s[22:23], 2
	v_addc_co_u32_e32 v21, vcc, 0, v19, vcc
	s_add_u32 s8, s8, s22
	v_sub_co_u32_e32 v22, vcc, v18, v1
	s_addc_u32 s9, s9, s23
	v_subbrev_co_u32_e32 v23, vcc, 0, v19, vcc
	s_add_u32 s22, s20, s8
	v_add_co_u32_e32 v24, vcc, 16, v22
	s_addc_u32 s8, s21, s9
	s_lshl_b64 s[20:21], s[24:25], 2
	s_lshl_b32 s49, s48, 5
	v_lshlrev_b64 v[26:27], 2, v[18:19]
	v_addc_co_u32_e32 v25, vcc, 0, v23, vcc
	v_mov_b32_e32 v7, s8
	s_add_u32 s8, s18, s10
	v_add_co_u32_e32 v8, vcc, 64, v26
	s_addc_u32 s9, s19, s11
	v_mov_b32_e32 v4, s8
	v_addc_co_u32_e32 v9, vcc, 0, v27, vcc
	v_mov_b32_e32 v5, s9
	v_mad_u64_u32 v[4:5], s[8:9], s16, v8, v[4:5]
	v_mul_lo_u32 v9, s16, v9
	v_mul_lo_u32 v8, s17, v8
	v_add_co_u32_e32 v28, vcc, s22, v45
	v_addc_co_u32_e32 v29, vcc, 0, v7, vcc
	v_add_co_u32_e32 v30, vcc, -16, v22
	v_addc_co_u32_e32 v31, vcc, -1, v23, vcc
	v_add3_u32 v5, v8, v5, v9
	v_add_co_u32_e32 v4, vcc, v4, v6
	v_lshlrev_b32_e32 v2, 7, v1
	v_addc_co_u32_e32 v5, vcc, 0, v5, vcc
	v_add_u32_e32 v46, v45, v2
	v_add_u32_e32 v47, 0x1000, v2
	;; [unrolled: 1-line block ×3, first 2 shown]
	v_mov_b32_e32 v6, s13
	v_add_co_u32_e32 v48, vcc, s12, v4
	s_mov_b32 s38, s29
	v_ashrrev_i32_e32 v3, 31, v2
	v_addc_co_u32_e32 v49, vcc, v6, v5, vcc
	v_cmp_le_i64_e64 s[2:3], s[38:39], v[20:21]
	v_add_co_u32_e32 v32, vcc, 64, v28
	v_lshlrev_b64 v[34:35], 2, v[2:3]
	v_mov_b32_e32 v42, 0
	s_mov_b32 s47, s30
	v_cmp_le_i32_e64 s[0:1], s29, v18
	v_cmp_gt_i32_e64 s[4:5], s29, v18
	v_cmp_gt_i32_e64 s[14:15], s29, v2
	v_addc_co_u32_e32 v33, vcc, 0, v29, vcc
	v_add_u32_e32 v50, v47, v45
	v_mov_b32_e32 v51, 1.0
	v_lshl_add_u32 v36, s7, 5, v1
	s_branch .LBB11_4
.LBB11_3:                               ;   in Loop: Header=BB11_4 Depth=1
	s_or_b64 exec, exec, s[8:9]
	s_add_i32 s7, s48, s7
	s_cmp_le_i32 s7, s33
	v_add_u32_e32 v36, s49, v36
	s_cbranch_scc0 .LBB11_51
.LBB11_4:                               ; =>This Loop Header: Depth=1
                                        ;     Child Loop BB11_7 Depth 2
	v_lshl_add_u32 v52, s7, 5, v1
	v_ashrrev_i32_e32 v55, 31, v52
	s_andn2_b64 vcc, exec, s[34:35]
	v_mov_b32_e32 v56, 0
	v_mov_b32_e32 v54, 0
	;; [unrolled: 1-line block ×4, first 2 shown]
	s_cbranch_vccnz .LBB11_43
; %bb.5:                                ;   in Loop: Header=BB11_4 Depth=1
	v_ashrrev_i32_e32 v37, 31, v36
	v_lshlrev_b64 v[2:3], 2, v[36:37]
	v_mad_u64_u32 v[38:39], s[8:9], s20, v36, v[32:33]
	v_add_co_u32_e32 v2, vcc, 64, v2
	v_addc_co_u32_e32 v3, vcc, 0, v3, vcc
	v_mul_lo_u32 v3, s24, v3
	v_mul_lo_u32 v6, s25, v2
	v_mad_u64_u32 v[40:41], s[8:9], s24, v2, v[28:29]
	v_mul_lo_u32 v4, s21, v36
	v_mul_lo_u32 v5, s20, v37
	v_add3_u32 v41, v6, v41, v3
	v_mov_b32_e32 v3, s6
	v_sub_co_u32_e32 v2, vcc, s47, v52
	v_subb_co_u32_e32 v3, vcc, v3, v55, vcc
	v_cmp_lt_i64_e32 vcc, 0, v[2:3]
	v_cmp_lt_i64_e64 s[8:9], 16, v[2:3]
	v_add3_u32 v39, v4, v39, v5
	s_mov_b64 s[22:23], 0
	v_mov_b32_e32 v37, 0
	s_mov_b64 s[26:27], 0
	v_mov_b32_e32 v53, 0
	v_mov_b32_e32 v54, 0
	;; [unrolled: 1-line block ×3, first 2 shown]
	s_branch .LBB11_7
.LBB11_6:                               ;   in Loop: Header=BB11_7 Depth=2
	s_or_b64 exec, exec, s[10:11]
	s_waitcnt lgkmcnt(0)
	s_barrier
	ds_read_b128 v[14:17], v47
	ds_read_b128 v[10:13], v47 offset:16
	ds_read_b128 v[6:9], v47 offset:32
	;; [unrolled: 1-line block ×3, first 2 shown]
	ds_read2_b32 v[61:62], v45 offset1:16
	ds_read_b128 v[57:60], v47 offset:2048
	s_add_u32 s26, s26, 32
	s_addc_u32 s27, s27, 0
	s_sub_i32 s10, s26, 32
	s_waitcnt lgkmcnt(1)
	v_fmac_f32_e32 v56, v61, v14
	v_fmac_f32_e32 v54, v62, v14
	s_waitcnt lgkmcnt(0)
	v_fmac_f32_e32 v53, v61, v57
	v_fmac_f32_e32 v37, v62, v57
	ds_read2_b32 v[61:62], v45 offset0:32 offset1:48
	s_add_u32 s22, s22, 0x80
	s_addc_u32 s23, s23, 0
	s_cmp_ge_i32 s10, s46
	s_waitcnt lgkmcnt(0)
	v_fmac_f32_e32 v56, v61, v15
	v_fmac_f32_e32 v54, v62, v15
	ds_read2_b32 v[14:15], v45 offset0:64 offset1:80
	v_fmac_f32_e32 v53, v61, v58
	v_fmac_f32_e32 v37, v62, v58
	ds_read2_b32 v[57:58], v45 offset0:128 offset1:144
	s_waitcnt lgkmcnt(1)
	v_fmac_f32_e32 v56, v14, v16
	v_fmac_f32_e32 v54, v15, v16
	;; [unrolled: 1-line block ×4, first 2 shown]
	ds_read2_b32 v[14:15], v45 offset0:96 offset1:112
	s_waitcnt lgkmcnt(0)
	v_fmac_f32_e32 v56, v14, v17
	v_fmac_f32_e32 v54, v15, v17
	;; [unrolled: 1-line block ×4, first 2 shown]
	ds_read_b128 v[14:17], v47 offset:2064
	v_fmac_f32_e32 v56, v57, v10
	v_fmac_f32_e32 v54, v58, v10
	s_waitcnt lgkmcnt(0)
	v_fmac_f32_e32 v53, v57, v14
	v_fmac_f32_e32 v37, v58, v14
	ds_read2_b32 v[57:58], v45 offset0:160 offset1:176
	s_waitcnt lgkmcnt(0)
	v_fmac_f32_e32 v56, v57, v11
	v_fmac_f32_e32 v54, v58, v11
	ds_read2_b32 v[10:11], v45 offset0:192 offset1:208
	v_fmac_f32_e32 v53, v57, v15
	v_fmac_f32_e32 v37, v58, v15
	s_waitcnt lgkmcnt(0)
	v_fmac_f32_e32 v56, v10, v12
	v_fmac_f32_e32 v54, v11, v12
	;; [unrolled: 1-line block ×4, first 2 shown]
	ds_read2_b32 v[10:11], v45 offset0:224 offset1:240
	s_waitcnt lgkmcnt(0)
	v_fmac_f32_e32 v56, v10, v13
	v_fmac_f32_e32 v53, v10, v17
	v_add_u32_e32 v10, 0x400, v45
	v_fmac_f32_e32 v54, v11, v13
	v_fmac_f32_e32 v37, v11, v17
	ds_read2_b32 v[15:16], v10 offset1:16
	ds_read_b128 v[11:14], v47 offset:2080
	s_waitcnt lgkmcnt(1)
	v_fmac_f32_e32 v56, v15, v6
	v_fmac_f32_e32 v54, v16, v6
	s_waitcnt lgkmcnt(0)
	v_fmac_f32_e32 v53, v15, v11
	v_fmac_f32_e32 v37, v16, v11
	ds_read2_b32 v[15:16], v10 offset0:32 offset1:48
	s_waitcnt lgkmcnt(0)
	v_fmac_f32_e32 v56, v15, v7
	v_fmac_f32_e32 v54, v16, v7
	ds_read2_b32 v[6:7], v10 offset0:64 offset1:80
	v_fmac_f32_e32 v53, v15, v12
	v_fmac_f32_e32 v37, v16, v12
	ds_read2_b32 v[11:12], v10 offset0:128 offset1:144
	s_waitcnt lgkmcnt(1)
	v_fmac_f32_e32 v56, v6, v8
	v_fmac_f32_e32 v54, v7, v8
	;; [unrolled: 1-line block ×4, first 2 shown]
	ds_read2_b32 v[6:7], v10 offset0:96 offset1:112
	s_waitcnt lgkmcnt(0)
	v_fmac_f32_e32 v56, v6, v9
	v_fmac_f32_e32 v54, v7, v9
	;; [unrolled: 1-line block ×4, first 2 shown]
	ds_read_b128 v[6:9], v47 offset:2096
	v_fmac_f32_e32 v56, v11, v2
	v_fmac_f32_e32 v54, v12, v2
	s_waitcnt lgkmcnt(0)
	v_fmac_f32_e32 v53, v11, v6
	v_fmac_f32_e32 v37, v12, v6
	ds_read2_b32 v[11:12], v10 offset0:160 offset1:176
	s_waitcnt lgkmcnt(0)
	v_fmac_f32_e32 v56, v11, v3
	v_fmac_f32_e32 v54, v12, v3
	ds_read2_b32 v[2:3], v10 offset0:192 offset1:208
	v_fmac_f32_e32 v53, v11, v7
	v_fmac_f32_e32 v37, v12, v7
	s_waitcnt lgkmcnt(0)
	v_fmac_f32_e32 v56, v2, v4
	v_fmac_f32_e32 v54, v3, v4
	;; [unrolled: 1-line block ×4, first 2 shown]
	ds_read2_b32 v[2:3], v10 offset0:224 offset1:240
	v_add_u32_e32 v10, 0x800, v45
	ds_read2_b32 v[11:12], v10 offset1:16
	s_waitcnt lgkmcnt(1)
	v_fmac_f32_e32 v56, v2, v5
	v_fmac_f32_e32 v54, v3, v5
	;; [unrolled: 1-line block ×4, first 2 shown]
	ds_read_b128 v[2:5], v47 offset:64
	ds_read_b128 v[6:9], v47 offset:2112
	s_waitcnt lgkmcnt(1)
	v_fmac_f32_e32 v56, v11, v2
	v_fmac_f32_e32 v54, v12, v2
	s_waitcnt lgkmcnt(0)
	v_fmac_f32_e32 v53, v11, v6
	v_fmac_f32_e32 v37, v12, v6
	ds_read2_b32 v[11:12], v10 offset0:32 offset1:48
	s_waitcnt lgkmcnt(0)
	v_fmac_f32_e32 v56, v11, v3
	v_fmac_f32_e32 v54, v12, v3
	ds_read2_b32 v[2:3], v10 offset0:64 offset1:80
	v_fmac_f32_e32 v53, v11, v7
	v_fmac_f32_e32 v37, v12, v7
	s_waitcnt lgkmcnt(0)
	v_fmac_f32_e32 v56, v2, v4
	v_fmac_f32_e32 v54, v3, v4
	;; [unrolled: 1-line block ×4, first 2 shown]
	ds_read2_b32 v[2:3], v10 offset0:96 offset1:112
	s_waitcnt lgkmcnt(0)
	v_fmac_f32_e32 v56, v2, v5
	v_fmac_f32_e32 v54, v3, v5
	;; [unrolled: 1-line block ×4, first 2 shown]
	ds_read_b128 v[2:5], v47 offset:80
	ds_read2_b32 v[11:12], v10 offset0:128 offset1:144
	ds_read_b128 v[6:9], v47 offset:2128
	s_waitcnt lgkmcnt(1)
	v_fmac_f32_e32 v56, v11, v2
	v_fmac_f32_e32 v54, v12, v2
	s_waitcnt lgkmcnt(0)
	v_fmac_f32_e32 v53, v11, v6
	v_fmac_f32_e32 v37, v12, v6
	ds_read2_b32 v[11:12], v10 offset0:160 offset1:176
	s_waitcnt lgkmcnt(0)
	v_fmac_f32_e32 v56, v11, v3
	v_fmac_f32_e32 v54, v12, v3
	ds_read2_b32 v[2:3], v10 offset0:192 offset1:208
	v_fmac_f32_e32 v53, v11, v7
	v_fmac_f32_e32 v37, v12, v7
	s_waitcnt lgkmcnt(0)
	v_fmac_f32_e32 v56, v2, v4
	v_fmac_f32_e32 v54, v3, v4
	;; [unrolled: 1-line block ×4, first 2 shown]
	ds_read2_b32 v[2:3], v10 offset0:224 offset1:240
	v_add_u32_e32 v10, 0xc00, v45
	ds_read2_b32 v[11:12], v10 offset1:16
	s_waitcnt lgkmcnt(1)
	v_fmac_f32_e32 v56, v2, v5
	v_fmac_f32_e32 v54, v3, v5
	v_fmac_f32_e32 v53, v2, v9
	v_fmac_f32_e32 v37, v3, v9
	ds_read_b128 v[2:5], v47 offset:96
	ds_read_b128 v[6:9], v47 offset:2144
	s_waitcnt lgkmcnt(1)
	v_fmac_f32_e32 v56, v11, v2
	v_fmac_f32_e32 v54, v12, v2
	s_waitcnt lgkmcnt(0)
	v_fmac_f32_e32 v53, v11, v6
	v_fmac_f32_e32 v37, v12, v6
	ds_read2_b32 v[11:12], v10 offset0:32 offset1:48
	s_waitcnt lgkmcnt(0)
	v_fmac_f32_e32 v56, v11, v3
	v_fmac_f32_e32 v54, v12, v3
	ds_read2_b32 v[2:3], v10 offset0:64 offset1:80
	v_fmac_f32_e32 v53, v11, v7
	v_fmac_f32_e32 v37, v12, v7
	s_waitcnt lgkmcnt(0)
	v_fmac_f32_e32 v56, v2, v4
	v_fmac_f32_e32 v54, v3, v4
	;; [unrolled: 1-line block ×4, first 2 shown]
	ds_read2_b32 v[2:3], v10 offset0:96 offset1:112
	s_waitcnt lgkmcnt(0)
	v_fmac_f32_e32 v56, v2, v5
	v_fmac_f32_e32 v54, v3, v5
	;; [unrolled: 1-line block ×4, first 2 shown]
	ds_read_b128 v[2:5], v47 offset:112
	ds_read2_b32 v[11:12], v10 offset0:128 offset1:144
	ds_read_b128 v[6:9], v47 offset:2160
	s_waitcnt lgkmcnt(1)
	v_fmac_f32_e32 v56, v11, v2
	v_fmac_f32_e32 v54, v12, v2
	s_waitcnt lgkmcnt(0)
	v_fmac_f32_e32 v53, v11, v6
	v_fmac_f32_e32 v37, v12, v6
	ds_read2_b32 v[11:12], v10 offset0:160 offset1:176
	s_waitcnt lgkmcnt(0)
	v_fmac_f32_e32 v56, v11, v3
	v_fmac_f32_e32 v54, v12, v3
	ds_read2_b32 v[2:3], v10 offset0:192 offset1:208
	v_fmac_f32_e32 v53, v11, v7
	v_fmac_f32_e32 v37, v12, v7
	s_waitcnt lgkmcnt(0)
	v_fmac_f32_e32 v56, v2, v4
	v_fmac_f32_e32 v54, v3, v4
	;; [unrolled: 1-line block ×4, first 2 shown]
	ds_read2_b32 v[2:3], v10 offset0:224 offset1:240
	s_waitcnt lgkmcnt(0)
	s_barrier
	v_fmac_f32_e32 v56, v2, v5
	v_fmac_f32_e32 v54, v3, v5
	;; [unrolled: 1-line block ×4, first 2 shown]
	s_cbranch_scc1 .LBB11_43
.LBB11_7:                               ;   Parent Loop BB11_4 Depth=1
                                        ; =>  This Inner Loop Header: Depth=2
	v_mov_b32_e32 v2, s27
	v_add_co_u32_e64 v4, s[10:11], s26, v1
	v_addc_co_u32_e64 v5, s[10:11], 0, v2, s[10:11]
	v_mov_b32_e32 v3, s23
	v_add_co_u32_e64 v2, s[10:11], s22, v43
	v_addc_co_u32_e64 v3, s[10:11], v44, v3, s[10:11]
	v_cmp_le_i64_e64 s[12:13], s[38:39], v[4:5]
	v_cmp_eq_u64_e64 s[16:17], s[26:27], v[22:23]
	v_cmp_gt_i64_e64 s[10:11], v[4:5], v[18:19]
	s_and_b64 s[28:29], s[36:37], s[16:17]
	s_or_b64 s[16:17], s[12:13], s[10:11]
	s_or_b64 s[16:17], s[16:17], s[28:29]
	s_nor_b64 s[16:17], s[0:1], s[16:17]
                                        ; implicit-def: $vgpr6
	s_and_saveexec_b64 s[18:19], s[16:17]
	s_xor_b64 s[16:17], exec, s[18:19]
	s_cbranch_execz .LBB11_9
; %bb.8:                                ;   in Loop: Header=BB11_7 Depth=2
	global_load_dword v6, v[2:3], off
.LBB11_9:                               ;   in Loop: Header=BB11_7 Depth=2
	s_andn2_saveexec_b64 s[16:17], s[16:17]
	s_cbranch_execz .LBB11_11
; %bb.10:                               ;   in Loop: Header=BB11_7 Depth=2
	s_waitcnt vmcnt(0)
	v_cndmask_b32_e64 v6, 0, 1.0, s[28:29]
.LBB11_11:                              ;   in Loop: Header=BB11_7 Depth=2
	s_or_b64 exec, exec, s[16:17]
	v_cmp_eq_u64_e64 s[16:17], s[26:27], v[24:25]
	v_cmp_lt_i64_e64 s[18:19], v[20:21], v[4:5]
	s_and_b64 s[16:17], s[36:37], s[16:17]
	s_or_b64 s[12:13], s[12:13], s[18:19]
	s_or_b64 s[12:13], s[12:13], s[16:17]
	s_nor_b64 s[12:13], s[2:3], s[12:13]
	s_waitcnt vmcnt(0)
	ds_write_b32 v46, v6
	s_and_saveexec_b64 s[18:19], s[12:13]
	s_xor_b64 s[18:19], exec, s[18:19]
	s_cbranch_execz .LBB11_13
; %bb.12:                               ;   in Loop: Header=BB11_7 Depth=2
	v_mov_b32_e32 v7, s23
	v_add_co_u32_e64 v6, s[12:13], s22, v48
	v_addc_co_u32_e64 v7, s[12:13], v49, v7, s[12:13]
	global_load_dword v6, v[6:7], off
	s_waitcnt vmcnt(0)
	ds_write_b32 v46, v6 offset:64
.LBB11_13:                              ;   in Loop: Header=BB11_7 Depth=2
	s_andn2_saveexec_b64 s[12:13], s[18:19]
	s_cbranch_execz .LBB11_19
; %bb.14:                               ;   in Loop: Header=BB11_7 Depth=2
	s_xor_b64 s[16:17], s[16:17], -1
	s_and_saveexec_b64 s[18:19], s[16:17]
	s_xor_b64 s[16:17], exec, s[18:19]
; %bb.15:                               ;   in Loop: Header=BB11_7 Depth=2
	ds_write_b32 v46, v42 offset:64
; %bb.16:                               ;   in Loop: Header=BB11_7 Depth=2
	s_andn2_saveexec_b64 s[16:17], s[16:17]
; %bb.17:                               ;   in Loop: Header=BB11_7 Depth=2
	ds_write_b32 v46, v51 offset:64
; %bb.18:                               ;   in Loop: Header=BB11_7 Depth=2
	s_or_b64 exec, exec, s[16:17]
.LBB11_19:                              ;   in Loop: Header=BB11_7 Depth=2
	s_or_b64 exec, exec, s[12:13]
	v_add_co_u32_e64 v4, s[12:13], 16, v4
	v_addc_co_u32_e64 v5, s[12:13], 0, v5, s[12:13]
	v_cmp_le_i64_e64 s[12:13], s[38:39], v[4:5]
	v_cmp_eq_u64_e64 s[16:17], s[26:27], v[30:31]
	v_cmp_gt_i64_e64 s[18:19], v[4:5], v[18:19]
	s_and_b64 s[16:17], s[36:37], s[16:17]
	s_or_b64 s[18:19], s[12:13], s[18:19]
	s_or_b64 s[18:19], s[18:19], s[16:17]
	s_nor_b64 s[18:19], s[0:1], s[18:19]
                                        ; implicit-def: $vgpr4
	s_and_saveexec_b64 s[50:51], s[18:19]
	s_xor_b64 s[18:19], exec, s[50:51]
	s_cbranch_execz .LBB11_21
; %bb.20:                               ;   in Loop: Header=BB11_7 Depth=2
	global_load_dword v4, v[2:3], off offset:64
.LBB11_21:                              ;   in Loop: Header=BB11_7 Depth=2
	s_andn2_saveexec_b64 s[18:19], s[18:19]
	s_cbranch_execz .LBB11_23
; %bb.22:                               ;   in Loop: Header=BB11_7 Depth=2
	s_waitcnt vmcnt(0)
	v_cndmask_b32_e64 v4, 0, 1.0, s[16:17]
.LBB11_23:                              ;   in Loop: Header=BB11_7 Depth=2
	s_or_b64 exec, exec, s[18:19]
	s_or_b64 s[10:11], s[12:13], s[10:11]
	s_or_b64 s[10:11], s[10:11], s[28:29]
	s_nor_b64 s[10:11], s[2:3], s[10:11]
	s_waitcnt vmcnt(0)
	ds_write_b32 v46, v4 offset:2048
	s_and_saveexec_b64 s[12:13], s[10:11]
	s_xor_b64 s[12:13], exec, s[12:13]
	s_cbranch_execz .LBB11_25
; %bb.24:                               ;   in Loop: Header=BB11_7 Depth=2
	v_mov_b32_e32 v3, s23
	v_add_co_u32_e64 v2, s[10:11], s22, v48
	v_addc_co_u32_e64 v3, s[10:11], v49, v3, s[10:11]
	global_load_dword v2, v[2:3], off offset:64
	s_waitcnt vmcnt(0)
	ds_write_b32 v46, v2 offset:2112
.LBB11_25:                              ;   in Loop: Header=BB11_7 Depth=2
	s_andn2_saveexec_b64 s[10:11], s[12:13]
	s_cbranch_execz .LBB11_31
; %bb.26:                               ;   in Loop: Header=BB11_7 Depth=2
	s_xor_b64 s[12:13], s[28:29], -1
	s_and_saveexec_b64 s[16:17], s[12:13]
	s_xor_b64 s[12:13], exec, s[16:17]
; %bb.27:                               ;   in Loop: Header=BB11_7 Depth=2
	ds_write_b32 v46, v42 offset:2112
; %bb.28:                               ;   in Loop: Header=BB11_7 Depth=2
	s_andn2_saveexec_b64 s[12:13], s[12:13]
; %bb.29:                               ;   in Loop: Header=BB11_7 Depth=2
	ds_write_b32 v46, v51 offset:2112
; %bb.30:                               ;   in Loop: Header=BB11_7 Depth=2
	s_or_b64 exec, exec, s[12:13]
.LBB11_31:                              ;   in Loop: Header=BB11_7 Depth=2
	s_or_b64 exec, exec, s[10:11]
	v_mov_b32_e32 v2, s27
	v_add_co_u32_e64 v4, s[10:11], s26, v0
	v_addc_co_u32_e64 v5, s[10:11], 0, v2, s[10:11]
	v_cmp_gt_i64_e64 s[10:11], s[38:39], v[4:5]
	v_mov_b32_e32 v3, s23
	v_add_co_u32_e64 v2, s[12:13], s22, v38
	v_addc_co_u32_e64 v3, s[12:13], v39, v3, s[12:13]
	s_and_b64 s[16:17], vcc, s[10:11]
	v_mov_b32_e32 v6, 0
	s_and_saveexec_b64 s[12:13], s[16:17]
	s_cbranch_execz .LBB11_33
; %bb.32:                               ;   in Loop: Header=BB11_7 Depth=2
	global_load_dword v6, v[2:3], off offset:-64
.LBB11_33:                              ;   in Loop: Header=BB11_7 Depth=2
	s_or_b64 exec, exec, s[12:13]
	v_cmp_gt_i64_e64 s[12:13], s[42:43], v[4:5]
	s_waitcnt vmcnt(0)
	ds_write_b32 v50, v6
	s_and_b64 s[16:17], vcc, s[12:13]
	s_xor_b64 s[16:17], s[16:17], -1
	s_and_saveexec_b64 s[18:19], s[16:17]
	s_xor_b64 s[16:17], exec, s[18:19]
; %bb.34:                               ;   in Loop: Header=BB11_7 Depth=2
	ds_write_b32 v50, v42 offset:64
                                        ; implicit-def: $vgpr2_vgpr3
; %bb.35:                               ;   in Loop: Header=BB11_7 Depth=2
	s_andn2_saveexec_b64 s[16:17], s[16:17]
	s_cbranch_execz .LBB11_37
; %bb.36:                               ;   in Loop: Header=BB11_7 Depth=2
	global_load_dword v2, v[2:3], off
	s_waitcnt vmcnt(0)
	ds_write_b32 v50, v2 offset:64
.LBB11_37:                              ;   in Loop: Header=BB11_7 Depth=2
	s_or_b64 exec, exec, s[16:17]
	v_mov_b32_e32 v3, s23
	v_add_co_u32_e64 v2, s[16:17], s22, v40
	v_addc_co_u32_e64 v3, s[16:17], v41, v3, s[16:17]
	s_and_b64 s[16:17], s[8:9], s[10:11]
	v_mov_b32_e32 v4, 0
	s_and_saveexec_b64 s[10:11], s[16:17]
	s_cbranch_execz .LBB11_39
; %bb.38:                               ;   in Loop: Header=BB11_7 Depth=2
	global_load_dword v4, v[2:3], off
.LBB11_39:                              ;   in Loop: Header=BB11_7 Depth=2
	s_or_b64 exec, exec, s[10:11]
	s_and_b64 s[10:11], s[8:9], s[12:13]
	s_xor_b64 s[10:11], s[10:11], -1
	s_waitcnt vmcnt(0)
	ds_write_b32 v50, v4 offset:2048
	s_and_saveexec_b64 s[12:13], s[10:11]
	s_xor_b64 s[10:11], exec, s[12:13]
; %bb.40:                               ;   in Loop: Header=BB11_7 Depth=2
	ds_write_b32 v50, v42 offset:2112
                                        ; implicit-def: $vgpr2_vgpr3
; %bb.41:                               ;   in Loop: Header=BB11_7 Depth=2
	s_andn2_saveexec_b64 s[10:11], s[10:11]
	s_cbranch_execz .LBB11_6
; %bb.42:                               ;   in Loop: Header=BB11_7 Depth=2
	global_load_dword v2, v[2:3], off offset:64
	s_waitcnt vmcnt(0)
	ds_write_b32 v50, v2 offset:2112
	s_branch .LBB11_6
.LBB11_43:                              ;   in Loop: Header=BB11_4 Depth=1
	v_mul_lo_u32 v4, s41, v52
	v_mul_lo_u32 v5, s40, v55
	v_mad_u64_u32 v[2:3], s[8:9], s40, v52, 0
	v_cmp_gt_i32_e32 vcc, s30, v52
	v_add3_u32 v3, v3, v5, v4
	v_lshlrev_b64 v[2:3], 2, v[2:3]
	v_mov_b32_e32 v4, s45
	v_add_co_u32_e64 v2, s[8:9], s44, v2
	v_addc_co_u32_e64 v3, s[8:9], v4, v3, s[8:9]
	s_and_b64 s[8:9], s[4:5], vcc
	s_and_saveexec_b64 s[10:11], s[8:9]
	s_cbranch_execz .LBB11_45
; %bb.44:                               ;   in Loop: Header=BB11_4 Depth=1
	v_add_co_u32_e64 v4, s[8:9], v2, v26
	v_addc_co_u32_e64 v5, s[8:9], v3, v27, s[8:9]
	global_load_dword v6, v[4:5], off
	s_waitcnt vmcnt(0)
	v_fmac_f32_e32 v6, s31, v56
	global_store_dword v[4:5], v6, off
.LBB11_45:                              ;   in Loop: Header=BB11_4 Depth=1
	s_or_b64 exec, exec, s[10:11]
	s_and_b64 s[10:11], s[14:15], vcc
	s_and_saveexec_b64 s[8:9], s[10:11]
	s_cbranch_execz .LBB11_47
; %bb.46:                               ;   in Loop: Header=BB11_4 Depth=1
	v_add_co_u32_e32 v2, vcc, v2, v34
	v_addc_co_u32_e32 v3, vcc, v3, v35, vcc
	global_load_dword v4, v[2:3], off
	s_waitcnt vmcnt(0)
	v_fmac_f32_e32 v4, s31, v54
	global_store_dword v[2:3], v4, off
.LBB11_47:                              ;   in Loop: Header=BB11_4 Depth=1
	s_or_b64 exec, exec, s[8:9]
	v_add_u32_e32 v4, 16, v52
	v_ashrrev_i32_e32 v2, 31, v4
	v_mul_lo_u32 v5, s40, v2
	v_mul_lo_u32 v6, s41, v4
	v_mad_u64_u32 v[2:3], s[8:9], s40, v4, 0
	v_cmp_gt_i32_e32 vcc, s30, v4
	v_mov_b32_e32 v4, s45
	v_add3_u32 v3, v3, v5, v6
	v_lshlrev_b64 v[2:3], 2, v[2:3]
	v_add_co_u32_e64 v2, s[8:9], s44, v2
	v_addc_co_u32_e64 v3, s[8:9], v4, v3, s[8:9]
	s_and_b64 s[8:9], s[4:5], vcc
	s_and_saveexec_b64 s[10:11], s[8:9]
	s_cbranch_execz .LBB11_49
; %bb.48:                               ;   in Loop: Header=BB11_4 Depth=1
	v_add_co_u32_e64 v4, s[8:9], v2, v26
	v_addc_co_u32_e64 v5, s[8:9], v3, v27, s[8:9]
	global_load_dword v6, v[4:5], off
	s_waitcnt vmcnt(0)
	v_fmac_f32_e32 v6, s31, v53
	global_store_dword v[4:5], v6, off
.LBB11_49:                              ;   in Loop: Header=BB11_4 Depth=1
	s_or_b64 exec, exec, s[10:11]
	s_and_b64 s[10:11], s[14:15], vcc
	s_and_saveexec_b64 s[8:9], s[10:11]
	s_cbranch_execz .LBB11_3
; %bb.50:                               ;   in Loop: Header=BB11_4 Depth=1
	v_add_co_u32_e32 v2, vcc, v2, v34
	v_addc_co_u32_e32 v3, vcc, v3, v35, vcc
	global_load_dword v4, v[2:3], off
	s_waitcnt vmcnt(0)
	v_fmac_f32_e32 v4, s31, v37
	global_store_dword v[2:3], v4, off
	s_branch .LBB11_3
.LBB11_51:
	s_endpgm
	.section	.rodata,"a",@progbits
	.p2align	6, 0x0
	.amdhsa_kernel _ZL30rocblas_trmm_outofplace_kernelIfLi32ELi2ELb1ELb1ELb1ELb1EfKffEv17rocblas_diagonal_iiT6_lPT7_lllS4_lllPT8_llli
		.amdhsa_group_segment_fixed_size 8192
		.amdhsa_private_segment_fixed_size 0
		.amdhsa_kernarg_size 384
		.amdhsa_user_sgpr_count 6
		.amdhsa_user_sgpr_private_segment_buffer 1
		.amdhsa_user_sgpr_dispatch_ptr 0
		.amdhsa_user_sgpr_queue_ptr 0
		.amdhsa_user_sgpr_kernarg_segment_ptr 1
		.amdhsa_user_sgpr_dispatch_id 0
		.amdhsa_user_sgpr_flat_scratch_init 0
		.amdhsa_user_sgpr_private_segment_size 0
		.amdhsa_uses_dynamic_stack 0
		.amdhsa_system_sgpr_private_segment_wavefront_offset 0
		.amdhsa_system_sgpr_workgroup_id_x 1
		.amdhsa_system_sgpr_workgroup_id_y 1
		.amdhsa_system_sgpr_workgroup_id_z 1
		.amdhsa_system_sgpr_workgroup_info 0
		.amdhsa_system_vgpr_workitem_id 1
		.amdhsa_next_free_vgpr 63
		.amdhsa_next_free_sgpr 61
		.amdhsa_reserve_vcc 1
		.amdhsa_reserve_flat_scratch 0
		.amdhsa_float_round_mode_32 0
		.amdhsa_float_round_mode_16_64 0
		.amdhsa_float_denorm_mode_32 3
		.amdhsa_float_denorm_mode_16_64 3
		.amdhsa_dx10_clamp 1
		.amdhsa_ieee_mode 1
		.amdhsa_fp16_overflow 0
		.amdhsa_exception_fp_ieee_invalid_op 0
		.amdhsa_exception_fp_denorm_src 0
		.amdhsa_exception_fp_ieee_div_zero 0
		.amdhsa_exception_fp_ieee_overflow 0
		.amdhsa_exception_fp_ieee_underflow 0
		.amdhsa_exception_fp_ieee_inexact 0
		.amdhsa_exception_int_div_zero 0
	.end_amdhsa_kernel
	.section	.text._ZL30rocblas_trmm_outofplace_kernelIfLi32ELi2ELb1ELb1ELb1ELb1EfKffEv17rocblas_diagonal_iiT6_lPT7_lllS4_lllPT8_llli,"axG",@progbits,_ZL30rocblas_trmm_outofplace_kernelIfLi32ELi2ELb1ELb1ELb1ELb1EfKffEv17rocblas_diagonal_iiT6_lPT7_lllS4_lllPT8_llli,comdat
.Lfunc_end11:
	.size	_ZL30rocblas_trmm_outofplace_kernelIfLi32ELi2ELb1ELb1ELb1ELb1EfKffEv17rocblas_diagonal_iiT6_lPT7_lllS4_lllPT8_llli, .Lfunc_end11-_ZL30rocblas_trmm_outofplace_kernelIfLi32ELi2ELb1ELb1ELb1ELb1EfKffEv17rocblas_diagonal_iiT6_lPT7_lllS4_lllPT8_llli
                                        ; -- End function
	.set _ZL30rocblas_trmm_outofplace_kernelIfLi32ELi2ELb1ELb1ELb1ELb1EfKffEv17rocblas_diagonal_iiT6_lPT7_lllS4_lllPT8_llli.num_vgpr, 63
	.set _ZL30rocblas_trmm_outofplace_kernelIfLi32ELi2ELb1ELb1ELb1ELb1EfKffEv17rocblas_diagonal_iiT6_lPT7_lllS4_lllPT8_llli.num_agpr, 0
	.set _ZL30rocblas_trmm_outofplace_kernelIfLi32ELi2ELb1ELb1ELb1ELb1EfKffEv17rocblas_diagonal_iiT6_lPT7_lllS4_lllPT8_llli.numbered_sgpr, 52
	.set _ZL30rocblas_trmm_outofplace_kernelIfLi32ELi2ELb1ELb1ELb1ELb1EfKffEv17rocblas_diagonal_iiT6_lPT7_lllS4_lllPT8_llli.num_named_barrier, 0
	.set _ZL30rocblas_trmm_outofplace_kernelIfLi32ELi2ELb1ELb1ELb1ELb1EfKffEv17rocblas_diagonal_iiT6_lPT7_lllS4_lllPT8_llli.private_seg_size, 0
	.set _ZL30rocblas_trmm_outofplace_kernelIfLi32ELi2ELb1ELb1ELb1ELb1EfKffEv17rocblas_diagonal_iiT6_lPT7_lllS4_lllPT8_llli.uses_vcc, 1
	.set _ZL30rocblas_trmm_outofplace_kernelIfLi32ELi2ELb1ELb1ELb1ELb1EfKffEv17rocblas_diagonal_iiT6_lPT7_lllS4_lllPT8_llli.uses_flat_scratch, 0
	.set _ZL30rocblas_trmm_outofplace_kernelIfLi32ELi2ELb1ELb1ELb1ELb1EfKffEv17rocblas_diagonal_iiT6_lPT7_lllS4_lllPT8_llli.has_dyn_sized_stack, 0
	.set _ZL30rocblas_trmm_outofplace_kernelIfLi32ELi2ELb1ELb1ELb1ELb1EfKffEv17rocblas_diagonal_iiT6_lPT7_lllS4_lllPT8_llli.has_recursion, 0
	.set _ZL30rocblas_trmm_outofplace_kernelIfLi32ELi2ELb1ELb1ELb1ELb1EfKffEv17rocblas_diagonal_iiT6_lPT7_lllS4_lllPT8_llli.has_indirect_call, 0
	.section	.AMDGPU.csdata,"",@progbits
; Kernel info:
; codeLenInByte = 2976
; TotalNumSgprs: 56
; NumVgprs: 63
; ScratchSize: 0
; MemoryBound: 0
; FloatMode: 240
; IeeeMode: 1
; LDSByteSize: 8192 bytes/workgroup (compile time only)
; SGPRBlocks: 8
; VGPRBlocks: 15
; NumSGPRsForWavesPerEU: 65
; NumVGPRsForWavesPerEU: 63
; Occupancy: 4
; WaveLimiterHint : 0
; COMPUTE_PGM_RSRC2:SCRATCH_EN: 0
; COMPUTE_PGM_RSRC2:USER_SGPR: 6
; COMPUTE_PGM_RSRC2:TRAP_HANDLER: 0
; COMPUTE_PGM_RSRC2:TGID_X_EN: 1
; COMPUTE_PGM_RSRC2:TGID_Y_EN: 1
; COMPUTE_PGM_RSRC2:TGID_Z_EN: 1
; COMPUTE_PGM_RSRC2:TIDIG_COMP_CNT: 1
	.section	.text._ZL30rocblas_trmm_outofplace_kernelIfLi32ELi2ELb0ELb0ELb0ELb0EPKfS0_fEv17rocblas_diagonal_iiT6_lPT7_lllS5_lllPT8_llli,"axG",@progbits,_ZL30rocblas_trmm_outofplace_kernelIfLi32ELi2ELb0ELb0ELb0ELb0EPKfS0_fEv17rocblas_diagonal_iiT6_lPT7_lllS5_lllPT8_llli,comdat
	.globl	_ZL30rocblas_trmm_outofplace_kernelIfLi32ELi2ELb0ELb0ELb0ELb0EPKfS0_fEv17rocblas_diagonal_iiT6_lPT7_lllS5_lllPT8_llli ; -- Begin function _ZL30rocblas_trmm_outofplace_kernelIfLi32ELi2ELb0ELb0ELb0ELb0EPKfS0_fEv17rocblas_diagonal_iiT6_lPT7_lllS5_lllPT8_llli
	.p2align	8
	.type	_ZL30rocblas_trmm_outofplace_kernelIfLi32ELi2ELb0ELb0ELb0ELb0EPKfS0_fEv17rocblas_diagonal_iiT6_lPT7_lllS5_lllPT8_llli,@function
_ZL30rocblas_trmm_outofplace_kernelIfLi32ELi2ELb0ELb0ELb0ELb0EPKfS0_fEv17rocblas_diagonal_iiT6_lPT7_lllS5_lllPT8_llli: ; @_ZL30rocblas_trmm_outofplace_kernelIfLi32ELi2ELb0ELb0ELb0ELb0EPKfS0_fEv17rocblas_diagonal_iiT6_lPT7_lllS5_lllPT8_llli
; %bb.0:
	s_load_dwordx16 s[16:31], s[4:5], 0x10
	s_mov_b64 s[62:63], s[2:3]
	s_mov_b64 s[60:61], s[0:1]
	s_add_u32 s60, s60, s9
	s_addc_u32 s61, s61, 0
	s_waitcnt lgkmcnt(0)
	s_mul_i32 s0, s19, s8
	s_mul_hi_u32 s1, s18, s8
	s_add_i32 s1, s1, s0
	s_mul_i32 s0, s18, s8
	s_lshl_b64 s[0:1], s[0:1], 2
	s_add_u32 s0, s16, s0
	s_addc_u32 s1, s17, s1
	s_load_dword s33, s[0:1], 0x0
	s_waitcnt lgkmcnt(0)
	v_cmp_eq_f32_e64 s[0:1], s33, 0
	s_and_b64 vcc, exec, s[0:1]
	s_cbranch_vccnz .LBB12_51
; %bb.1:
	s_load_dwordx4 s[44:47], s[4:5], 0x0
	s_waitcnt lgkmcnt(0)
	s_add_i32 s0, s46, -1
	s_ashr_i32 s1, s0, 31
	s_lshr_b32 s1, s1, 27
	s_add_i32 s0, s0, s1
	s_ashr_i32 s52, s0, 5
	s_cmp_gt_i32 s7, s52
	s_cbranch_scc1 .LBB12_51
; %bb.2:
	s_load_dwordx4 s[48:51], s[4:5], 0x70
	s_load_dwordx8 s[36:43], s[4:5], 0x50
	s_load_dword s53, s[4:5], 0x8c
	s_mul_hi_u32 s10, s26, s8
	v_lshl_add_u32 v2, s6, 5, v0
	s_waitcnt lgkmcnt(0)
	s_mul_i32 s1, s51, s8
	s_mul_hi_u32 s2, s50, s8
	s_mul_i32 s0, s50, s8
	s_add_i32 s1, s2, s1
	s_lshl_b64 s[0:1], s[0:1], 2
	s_add_u32 s2, s40, s0
	s_addc_u32 s3, s41, s1
	s_lshl_b64 s[0:1], s[42:43], 2
	s_add_u32 s54, s2, s0
	s_addc_u32 s55, s3, s1
	s_cmpk_eq_i32 s44, 0x84
	s_cselect_b64 s[34:35], -1, 0
	s_ashr_i32 s47, s46, 31
	s_ashr_i32 s0, s45, 31
	s_lshl_b64 s[40:41], s[36:37], 7
	s_add_u32 s42, s46, -16
	s_addc_u32 s43, s47, -1
	s_lshl_b32 s9, s7, 5
	v_add_u32_e32 v20, s9, v0
	v_add_u32_e32 v22, s9, v1
	s_mul_i32 s9, s27, s8
	s_add_i32 s11, s10, s9
	s_mul_i32 s10, s26, s8
	s_lshl_b32 s6, s53, 5
	s_lshl_b64 s[10:11], s[10:11], 2
	s_lshl_b64 s[12:13], s[22:23], 2
	s_add_u32 s9, s10, s12
	s_addc_u32 s10, s11, s13
	s_add_u32 s22, s20, s9
	s_addc_u32 s23, s21, s10
	s_add_u32 s26, s28, 64
	s_mul_i32 s9, s39, s8
	s_mul_hi_u32 s10, s38, s8
	v_add_u32_e32 v18, 16, v2
	s_addc_u32 s27, s29, 0
	s_add_i32 s9, s10, s9
	s_mul_i32 s8, s38, s8
	v_ashrrev_i32_e32 v3, 31, v2
	v_sub_co_u32_e32 v4, vcc, s45, v2
	v_cmp_gt_i32_e64 s[4:5], s45, v2
	v_cmp_gt_i32_e64 s[16:17], s45, v18
	s_lshl_b64 s[44:45], s[36:37], 2
	s_lshl_b64 s[8:9], s[8:9], 2
	;; [unrolled: 1-line block ×3, first 2 shown]
	v_mov_b32_e32 v5, s0
	s_add_u32 s8, s8, s10
	v_lshlrev_b64 v[24:25], 2, v[2:3]
	v_lshlrev_b32_e32 v6, 2, v0
	v_subb_co_u32_e32 v5, vcc, v5, v3, vcc
	s_addc_u32 s9, s9, s11
	v_lshlrev_b32_e32 v50, 7, v1
	v_or_b32_e32 v52, 0x1000, v6
	v_cmp_gt_i64_e64 s[0:1], 1, v[4:5]
	v_cmp_gt_i64_e64 s[2:3], 17, v[4:5]
	v_mov_b32_e32 v0, s9
	v_add_co_u32_e32 v2, vcc, s8, v24
	v_add_u32_e32 v51, v50, v6
	v_add_u32_e32 v53, v52, v50
	v_ashrrev_i32_e32 v19, 31, v18
	v_addc_co_u32_e32 v3, vcc, v0, v25, vcc
	s_lshl_b64 s[30:31], s[24:25], 2
	v_mov_b32_e32 v0, 0
	v_mov_b32_e32 v54, 1.0
	s_movk_i32 s56, 0x80
	buffer_store_dword v2, off, s[60:63], 0 ; 4-byte Folded Spill
	s_nop 0
	buffer_store_dword v3, off, s[60:63], 0 offset:4 ; 4-byte Folded Spill
	s_branch .LBB12_4
.LBB12_3:                               ;   in Loop: Header=BB12_4 Depth=1
	s_or_b64 exec, exec, s[8:9]
	s_add_i32 s7, s53, s7
	v_add_u32_e32 v20, s6, v20
	s_cmp_le_i32 s7, s52
	v_add_u32_e32 v22, s6, v22
	s_cbranch_scc0 .LBB12_51
.LBB12_4:                               ; =>This Loop Header: Depth=1
                                        ;     Child Loop BB12_7 Depth 2
	s_lshl_b32 s8, s7, 5
	v_add_u32_e32 v28, s8, v1
	s_sub_i32 s57, s46, s8
	v_ashrrev_i32_e32 v21, 31, v20
	v_ashrrev_i32_e32 v23, 31, v22
	v_ashrrev_i32_e32 v29, 31, v28
	s_cmp_lt_i32 s57, 1
	v_mov_b32_e32 v58, 0
	v_mov_b32_e32 v57, 0
	;; [unrolled: 1-line block ×4, first 2 shown]
	s_cbranch_scc1 .LBB12_43
; %bb.5:                                ;   in Loop: Header=BB12_4 Depth=1
	buffer_load_dword v48, off, s[60:63], 0 ; 4-byte Folded Reload
	buffer_load_dword v49, off, s[60:63], 0 offset:4 ; 4-byte Folded Reload
	v_sub_co_u32_e32 v30, vcc, v22, v20
	v_lshlrev_b64 v[2:3], 2, v[22:23]
	v_subb_co_u32_e32 v31, vcc, v23, v21, vcc
	v_add_co_u32_e32 v6, vcc, 64, v2
	v_addc_co_u32_e32 v7, vcc, 0, v3, vcc
	v_mov_b32_e32 v2, s22
	v_mov_b32_e32 v3, s23
	v_mad_u64_u32 v[32:33], s[8:9], s24, v6, v[2:3]
	v_mov_b32_e32 v4, s26
	v_mad_u64_u32 v[36:37], s[8:9], s30, v22, v[2:3]
	v_mov_b32_e32 v2, s28
	v_mov_b32_e32 v5, s27
	;; [unrolled: 1-line block ×3, first 2 shown]
	v_add_co_u32_e32 v40, vcc, 16, v28
	v_mul_lo_u32 v8, s24, v7
	v_mul_lo_u32 v9, s25, v6
	v_mad_u64_u32 v[34:35], s[8:9], s44, v22, v[4:5]
	v_mul_lo_u32 v4, s44, v23
	v_mul_lo_u32 v5, s45, v22
	v_mul_lo_u32 v10, s30, v23
	v_mul_lo_u32 v11, s31, v22
	v_mul_lo_u32 v7, s36, v7
	v_mul_lo_u32 v12, s37, v6
	v_mad_u64_u32 v[38:39], s[8:9], s36, v6, v[2:3]
	v_addc_co_u32_e32 v41, vcc, 0, v29, vcc
	v_add_co_u32_e32 v42, vcc, 16, v30
	v_addc_co_u32_e32 v43, vcc, 0, v31, vcc
	v_cmp_le_i64_e64 s[10:11], s[46:47], v[40:41]
	v_add_co_u32_e32 v44, vcc, -16, v30
	v_lshlrev_b64 v[46:47], 2, v[20:21]
	v_add3_u32 v33, v9, v33, v8
	v_add3_u32 v35, v5, v35, v4
	v_add3_u32 v37, v11, v37, v10
	v_add3_u32 v39, v12, v39, v7
	v_cmp_le_i32_e64 s[8:9], s46, v28
	v_addc_co_u32_e32 v45, vcc, -1, v31, vcc
	v_mov_b32_e32 v55, 0
	s_mov_b64 s[38:39], 0
	v_mov_b32_e32 v56, 0
	v_mov_b32_e32 v57, 0
	;; [unrolled: 1-line block ×3, first 2 shown]
	s_branch .LBB12_7
.LBB12_6:                               ;   in Loop: Header=BB12_7 Depth=2
	s_or_b64 exec, exec, s[12:13]
	s_waitcnt lgkmcnt(0)
	s_barrier
	ds_read_b128 v[14:17], v50
	ds_read_b128 v[10:13], v50 offset:16
	ds_read_b128 v[6:9], v50 offset:32
	;; [unrolled: 1-line block ×3, first 2 shown]
	ds_read2_b32 v[26:27], v52 offset1:16
	ds_read_b128 v[59:62], v50 offset:2048
	v_add_co_u32_e32 v32, vcc, s56, v32
	v_addc_co_u32_e32 v33, vcc, 0, v33, vcc
	s_waitcnt lgkmcnt(1)
	v_fmac_f32_e32 v58, v26, v14
	v_fmac_f32_e32 v57, v27, v14
	s_waitcnt lgkmcnt(0)
	v_fmac_f32_e32 v56, v26, v59
	v_fmac_f32_e32 v55, v27, v59
	ds_read2_b32 v[26:27], v52 offset0:32 offset1:48
	v_add_co_u32_e32 v48, vcc, s40, v48
	s_add_u32 s38, s38, 32
	s_addc_u32 s39, s39, 0
	s_waitcnt lgkmcnt(0)
	v_fmac_f32_e32 v58, v26, v15
	v_fmac_f32_e32 v57, v27, v15
	ds_read2_b32 v[14:15], v52 offset0:64 offset1:80
	v_fmac_f32_e32 v56, v26, v60
	v_fmac_f32_e32 v55, v27, v60
	ds_read2_b32 v[26:27], v52 offset0:128 offset1:144
	s_cmp_ge_i32 s38, s57
	s_waitcnt lgkmcnt(1)
	v_fmac_f32_e32 v58, v14, v16
	v_fmac_f32_e32 v57, v15, v16
	;; [unrolled: 1-line block ×4, first 2 shown]
	ds_read2_b32 v[14:15], v52 offset0:96 offset1:112
	s_waitcnt lgkmcnt(0)
	v_fmac_f32_e32 v58, v14, v17
	v_fmac_f32_e32 v57, v15, v17
	v_fmac_f32_e32 v56, v14, v62
	v_fmac_f32_e32 v55, v15, v62
	ds_read_b128 v[14:17], v50 offset:2064
	v_fmac_f32_e32 v58, v26, v10
	v_fmac_f32_e32 v57, v27, v10
	s_waitcnt lgkmcnt(0)
	v_fmac_f32_e32 v56, v26, v14
	v_fmac_f32_e32 v55, v27, v14
	ds_read2_b32 v[26:27], v52 offset0:160 offset1:176
	s_waitcnt lgkmcnt(0)
	v_fmac_f32_e32 v58, v26, v11
	v_fmac_f32_e32 v57, v27, v11
	ds_read2_b32 v[10:11], v52 offset0:192 offset1:208
	v_fmac_f32_e32 v56, v26, v15
	v_fmac_f32_e32 v55, v27, v15
	s_waitcnt lgkmcnt(0)
	v_fmac_f32_e32 v58, v10, v12
	v_fmac_f32_e32 v57, v11, v12
	;; [unrolled: 1-line block ×4, first 2 shown]
	ds_read2_b32 v[10:11], v52 offset0:224 offset1:240
	s_waitcnt lgkmcnt(0)
	v_fmac_f32_e32 v58, v10, v13
	v_fmac_f32_e32 v56, v10, v17
	v_add_u32_e32 v10, 0x400, v52
	v_fmac_f32_e32 v57, v11, v13
	v_fmac_f32_e32 v55, v11, v17
	ds_read2_b32 v[15:16], v10 offset1:16
	ds_read_b128 v[11:14], v50 offset:2080
	s_waitcnt lgkmcnt(1)
	v_fmac_f32_e32 v58, v15, v6
	v_fmac_f32_e32 v57, v16, v6
	s_waitcnt lgkmcnt(0)
	v_fmac_f32_e32 v56, v15, v11
	v_fmac_f32_e32 v55, v16, v11
	ds_read2_b32 v[15:16], v10 offset0:32 offset1:48
	s_waitcnt lgkmcnt(0)
	v_fmac_f32_e32 v58, v15, v7
	v_fmac_f32_e32 v57, v16, v7
	ds_read2_b32 v[6:7], v10 offset0:64 offset1:80
	v_fmac_f32_e32 v56, v15, v12
	v_fmac_f32_e32 v55, v16, v12
	ds_read2_b32 v[11:12], v10 offset0:128 offset1:144
	s_waitcnt lgkmcnt(1)
	v_fmac_f32_e32 v58, v6, v8
	v_fmac_f32_e32 v57, v7, v8
	;; [unrolled: 1-line block ×4, first 2 shown]
	ds_read2_b32 v[6:7], v10 offset0:96 offset1:112
	s_waitcnt lgkmcnt(0)
	v_fmac_f32_e32 v58, v6, v9
	v_fmac_f32_e32 v57, v7, v9
	;; [unrolled: 1-line block ×4, first 2 shown]
	ds_read_b128 v[6:9], v50 offset:2096
	v_fmac_f32_e32 v58, v11, v2
	v_fmac_f32_e32 v57, v12, v2
	s_waitcnt lgkmcnt(0)
	v_fmac_f32_e32 v56, v11, v6
	v_fmac_f32_e32 v55, v12, v6
	ds_read2_b32 v[11:12], v10 offset0:160 offset1:176
	s_waitcnt lgkmcnt(0)
	v_fmac_f32_e32 v58, v11, v3
	v_fmac_f32_e32 v57, v12, v3
	ds_read2_b32 v[2:3], v10 offset0:192 offset1:208
	v_fmac_f32_e32 v56, v11, v7
	v_fmac_f32_e32 v55, v12, v7
	s_waitcnt lgkmcnt(0)
	v_fmac_f32_e32 v58, v2, v4
	v_fmac_f32_e32 v57, v3, v4
	;; [unrolled: 1-line block ×4, first 2 shown]
	ds_read2_b32 v[2:3], v10 offset0:224 offset1:240
	v_add_u32_e32 v10, 0x800, v52
	ds_read2_b32 v[11:12], v10 offset1:16
	s_waitcnt lgkmcnt(1)
	v_fmac_f32_e32 v58, v2, v5
	v_fmac_f32_e32 v57, v3, v5
	;; [unrolled: 1-line block ×4, first 2 shown]
	ds_read_b128 v[2:5], v50 offset:64
	ds_read_b128 v[6:9], v50 offset:2112
	s_waitcnt lgkmcnt(1)
	v_fmac_f32_e32 v58, v11, v2
	v_fmac_f32_e32 v57, v12, v2
	s_waitcnt lgkmcnt(0)
	v_fmac_f32_e32 v56, v11, v6
	v_fmac_f32_e32 v55, v12, v6
	ds_read2_b32 v[11:12], v10 offset0:32 offset1:48
	s_waitcnt lgkmcnt(0)
	v_fmac_f32_e32 v58, v11, v3
	v_fmac_f32_e32 v57, v12, v3
	ds_read2_b32 v[2:3], v10 offset0:64 offset1:80
	v_fmac_f32_e32 v56, v11, v7
	v_fmac_f32_e32 v55, v12, v7
	s_waitcnt lgkmcnt(0)
	v_fmac_f32_e32 v58, v2, v4
	v_fmac_f32_e32 v57, v3, v4
	;; [unrolled: 1-line block ×4, first 2 shown]
	ds_read2_b32 v[2:3], v10 offset0:96 offset1:112
	s_waitcnt lgkmcnt(0)
	v_fmac_f32_e32 v58, v2, v5
	v_fmac_f32_e32 v57, v3, v5
	;; [unrolled: 1-line block ×4, first 2 shown]
	ds_read_b128 v[2:5], v50 offset:80
	ds_read2_b32 v[11:12], v10 offset0:128 offset1:144
	ds_read_b128 v[6:9], v50 offset:2128
	s_waitcnt lgkmcnt(1)
	v_fmac_f32_e32 v58, v11, v2
	v_fmac_f32_e32 v57, v12, v2
	s_waitcnt lgkmcnt(0)
	v_fmac_f32_e32 v56, v11, v6
	v_fmac_f32_e32 v55, v12, v6
	ds_read2_b32 v[11:12], v10 offset0:160 offset1:176
	s_waitcnt lgkmcnt(0)
	v_fmac_f32_e32 v58, v11, v3
	v_fmac_f32_e32 v57, v12, v3
	ds_read2_b32 v[2:3], v10 offset0:192 offset1:208
	v_fmac_f32_e32 v56, v11, v7
	v_fmac_f32_e32 v55, v12, v7
	s_waitcnt lgkmcnt(0)
	v_fmac_f32_e32 v58, v2, v4
	v_fmac_f32_e32 v57, v3, v4
	;; [unrolled: 1-line block ×4, first 2 shown]
	ds_read2_b32 v[2:3], v10 offset0:224 offset1:240
	v_add_u32_e32 v10, 0xc00, v52
	ds_read2_b32 v[11:12], v10 offset1:16
	s_waitcnt lgkmcnt(1)
	v_fmac_f32_e32 v58, v2, v5
	v_fmac_f32_e32 v57, v3, v5
	;; [unrolled: 1-line block ×4, first 2 shown]
	ds_read_b128 v[2:5], v50 offset:96
	ds_read_b128 v[6:9], v50 offset:2144
	s_waitcnt lgkmcnt(1)
	v_fmac_f32_e32 v58, v11, v2
	v_fmac_f32_e32 v57, v12, v2
	s_waitcnt lgkmcnt(0)
	v_fmac_f32_e32 v56, v11, v6
	v_fmac_f32_e32 v55, v12, v6
	ds_read2_b32 v[11:12], v10 offset0:32 offset1:48
	s_waitcnt lgkmcnt(0)
	v_fmac_f32_e32 v58, v11, v3
	v_fmac_f32_e32 v57, v12, v3
	ds_read2_b32 v[2:3], v10 offset0:64 offset1:80
	v_fmac_f32_e32 v56, v11, v7
	v_fmac_f32_e32 v55, v12, v7
	s_waitcnt lgkmcnt(0)
	v_fmac_f32_e32 v58, v2, v4
	v_fmac_f32_e32 v57, v3, v4
	;; [unrolled: 1-line block ×4, first 2 shown]
	ds_read2_b32 v[2:3], v10 offset0:96 offset1:112
	s_waitcnt lgkmcnt(0)
	v_fmac_f32_e32 v58, v2, v5
	v_fmac_f32_e32 v57, v3, v5
	;; [unrolled: 1-line block ×4, first 2 shown]
	ds_read_b128 v[2:5], v50 offset:112
	ds_read2_b32 v[11:12], v10 offset0:128 offset1:144
	ds_read_b128 v[6:9], v50 offset:2160
	s_waitcnt lgkmcnt(1)
	v_fmac_f32_e32 v58, v11, v2
	v_fmac_f32_e32 v57, v12, v2
	s_waitcnt lgkmcnt(0)
	v_fmac_f32_e32 v56, v11, v6
	v_fmac_f32_e32 v55, v12, v6
	ds_read2_b32 v[11:12], v10 offset0:160 offset1:176
	s_waitcnt lgkmcnt(0)
	v_fmac_f32_e32 v58, v11, v3
	v_fmac_f32_e32 v57, v12, v3
	ds_read2_b32 v[2:3], v10 offset0:192 offset1:208
	v_fmac_f32_e32 v56, v11, v7
	v_fmac_f32_e32 v55, v12, v7
	s_waitcnt lgkmcnt(0)
	v_fmac_f32_e32 v58, v2, v4
	v_fmac_f32_e32 v57, v3, v4
	;; [unrolled: 1-line block ×4, first 2 shown]
	ds_read2_b32 v[2:3], v10 offset0:224 offset1:240
	s_waitcnt lgkmcnt(0)
	s_barrier
	v_fmac_f32_e32 v58, v2, v5
	v_fmac_f32_e32 v56, v2, v9
	v_mov_b32_e32 v2, s41
	v_addc_co_u32_e32 v49, vcc, v49, v2, vcc
	v_add_co_u32_e32 v36, vcc, 0x80, v36
	v_fmac_f32_e32 v57, v3, v5
	v_fmac_f32_e32 v55, v3, v9
	v_addc_co_u32_e32 v37, vcc, 0, v37, vcc
	s_cbranch_scc1 .LBB12_43
.LBB12_7:                               ;   Parent Loop BB12_4 Depth=1
                                        ; =>  This Inner Loop Header: Depth=2
	v_mov_b32_e32 v3, s39
	v_add_co_u32_e32 v2, vcc, s38, v20
	v_addc_co_u32_e32 v3, vcc, v21, v3, vcc
	v_cmp_eq_u64_e32 vcc, s[38:39], v[30:31]
	v_add_co_u32_e64 v4, s[12:13], v36, v46
	v_addc_co_u32_e64 v5, s[12:13], v37, v47, s[12:13]
	s_and_b64 s[50:51], s[34:35], vcc
	v_cmp_lt_i64_e32 vcc, v[2:3], v[28:29]
	v_cmp_le_i64_e64 s[12:13], s[46:47], v[2:3]
	s_or_b64 s[14:15], s[8:9], vcc
	s_or_b64 s[14:15], s[12:13], s[14:15]
	s_nor_b64 s[14:15], s[14:15], s[50:51]
                                        ; implicit-def: $vgpr6
	s_and_saveexec_b64 s[18:19], s[14:15]
	s_xor_b64 s[14:15], exec, s[18:19]
	s_cbranch_execz .LBB12_9
; %bb.8:                                ;   in Loop: Header=BB12_7 Depth=2
	global_load_dword v6, v[4:5], off
.LBB12_9:                               ;   in Loop: Header=BB12_7 Depth=2
	s_andn2_saveexec_b64 s[14:15], s[14:15]
	s_cbranch_execz .LBB12_11
; %bb.10:                               ;   in Loop: Header=BB12_7 Depth=2
	s_waitcnt vmcnt(0)
	v_cndmask_b32_e64 v6, 0, 1.0, s[50:51]
.LBB12_11:                              ;   in Loop: Header=BB12_7 Depth=2
	s_or_b64 exec, exec, s[14:15]
	s_waitcnt vmcnt(0)
	ds_write_b32 v51, v6
	v_add_co_u32_e64 v6, s[18:19], 16, v2
	v_cmp_eq_u64_e64 s[14:15], s[38:39], v[44:45]
	v_addc_co_u32_e64 v7, s[18:19], 0, v3, s[18:19]
	v_cmp_lt_i64_e64 s[18:19], v[6:7], v[28:29]
	s_and_b64 s[20:21], s[34:35], s[14:15]
	v_cmp_le_i64_e64 s[14:15], s[46:47], v[6:7]
	s_or_b64 s[18:19], s[8:9], s[18:19]
	s_or_b64 s[18:19], s[14:15], s[18:19]
	s_nor_b64 s[18:19], s[18:19], s[20:21]
	s_and_saveexec_b64 s[58:59], s[18:19]
	s_xor_b64 s[18:19], exec, s[58:59]
	s_cbranch_execz .LBB12_13
; %bb.12:                               ;   in Loop: Header=BB12_7 Depth=2
	global_load_dword v4, v[4:5], off offset:64
	s_waitcnt vmcnt(0)
	ds_write_b32 v51, v4 offset:64
.LBB12_13:                              ;   in Loop: Header=BB12_7 Depth=2
	s_andn2_saveexec_b64 s[18:19], s[18:19]
	s_cbranch_execz .LBB12_19
; %bb.14:                               ;   in Loop: Header=BB12_7 Depth=2
	s_xor_b64 s[20:21], s[20:21], -1
	s_and_saveexec_b64 s[58:59], s[20:21]
	s_xor_b64 s[20:21], exec, s[58:59]
; %bb.15:                               ;   in Loop: Header=BB12_7 Depth=2
	ds_write_b32 v51, v0 offset:64
; %bb.16:                               ;   in Loop: Header=BB12_7 Depth=2
	s_andn2_saveexec_b64 s[20:21], s[20:21]
; %bb.17:                               ;   in Loop: Header=BB12_7 Depth=2
	ds_write_b32 v51, v54 offset:64
; %bb.18:                               ;   in Loop: Header=BB12_7 Depth=2
	s_or_b64 exec, exec, s[20:21]
.LBB12_19:                              ;   in Loop: Header=BB12_7 Depth=2
	s_or_b64 exec, exec, s[18:19]
	v_add_co_u32_e64 v4, s[18:19], v32, v46
	v_addc_co_u32_e64 v5, s[18:19], v33, v47, s[18:19]
	v_cmp_eq_u64_e64 s[18:19], s[38:39], v[42:43]
	v_cmp_lt_i64_e64 s[20:21], v[2:3], v[40:41]
	s_and_b64 s[18:19], s[34:35], s[18:19]
	s_or_b64 s[20:21], s[10:11], s[20:21]
	s_or_b64 s[20:21], s[20:21], s[18:19]
	s_nor_b64 s[12:13], s[12:13], s[20:21]
                                        ; implicit-def: $vgpr2
	s_and_saveexec_b64 s[20:21], s[12:13]
	s_xor_b64 s[12:13], exec, s[20:21]
	s_cbranch_execz .LBB12_21
; %bb.20:                               ;   in Loop: Header=BB12_7 Depth=2
	global_load_dword v2, v[4:5], off
.LBB12_21:                              ;   in Loop: Header=BB12_7 Depth=2
	s_andn2_saveexec_b64 s[12:13], s[12:13]
	s_cbranch_execz .LBB12_23
; %bb.22:                               ;   in Loop: Header=BB12_7 Depth=2
	s_waitcnt vmcnt(0)
	v_cndmask_b32_e64 v2, 0, 1.0, s[18:19]
.LBB12_23:                              ;   in Loop: Header=BB12_7 Depth=2
	s_or_b64 exec, exec, s[12:13]
	s_or_b64 s[12:13], s[10:11], vcc
	s_or_b64 s[12:13], s[14:15], s[12:13]
	s_nor_b64 s[12:13], s[12:13], s[50:51]
	s_waitcnt vmcnt(0)
	ds_write_b32 v51, v2 offset:2048
	s_and_saveexec_b64 s[14:15], s[12:13]
	s_xor_b64 s[12:13], exec, s[14:15]
	s_cbranch_execz .LBB12_25
; %bb.24:                               ;   in Loop: Header=BB12_7 Depth=2
	global_load_dword v2, v[4:5], off offset:64
	s_waitcnt vmcnt(0)
	ds_write_b32 v51, v2 offset:2112
.LBB12_25:                              ;   in Loop: Header=BB12_7 Depth=2
	s_andn2_saveexec_b64 s[12:13], s[12:13]
	s_cbranch_execz .LBB12_31
; %bb.26:                               ;   in Loop: Header=BB12_7 Depth=2
	s_xor_b64 s[14:15], s[50:51], -1
	s_and_saveexec_b64 s[18:19], s[14:15]
	s_xor_b64 s[14:15], exec, s[18:19]
; %bb.27:                               ;   in Loop: Header=BB12_7 Depth=2
	ds_write_b32 v51, v0 offset:2112
; %bb.28:                               ;   in Loop: Header=BB12_7 Depth=2
	s_andn2_saveexec_b64 s[14:15], s[14:15]
; %bb.29:                               ;   in Loop: Header=BB12_7 Depth=2
	ds_write_b32 v51, v54 offset:2112
; %bb.30:                               ;   in Loop: Header=BB12_7 Depth=2
	s_or_b64 exec, exec, s[14:15]
.LBB12_31:                              ;   in Loop: Header=BB12_7 Depth=2
	s_or_b64 exec, exec, s[12:13]
	v_mov_b32_e32 v3, s39
	v_add_co_u32_e32 v2, vcc, s38, v22
	v_addc_co_u32_e32 v3, vcc, v23, v3, vcc
	v_cmp_le_i64_e32 vcc, s[46:47], v[2:3]
	v_add_co_u32_e64 v4, s[12:13], v34, v48
	v_addc_co_u32_e64 v5, s[12:13], v35, v49, s[12:13]
	s_nor_b64 s[14:15], vcc, s[0:1]
	v_mov_b32_e32 v6, 0
	s_and_saveexec_b64 s[12:13], s[14:15]
	s_cbranch_execz .LBB12_33
; %bb.32:                               ;   in Loop: Header=BB12_7 Depth=2
	global_load_dword v6, v[4:5], off offset:-64
.LBB12_33:                              ;   in Loop: Header=BB12_7 Depth=2
	s_or_b64 exec, exec, s[12:13]
	s_nor_b64 s[12:13], vcc, s[2:3]
	s_waitcnt vmcnt(0)
	ds_write_b32 v53, v6
	s_and_saveexec_b64 s[14:15], s[12:13]
	s_xor_b64 s[12:13], exec, s[14:15]
	s_cbranch_execz .LBB12_35
; %bb.34:                               ;   in Loop: Header=BB12_7 Depth=2
	global_load_dword v4, v[4:5], off
	s_waitcnt vmcnt(0)
	ds_write_b32 v53, v4 offset:64
.LBB12_35:                              ;   in Loop: Header=BB12_7 Depth=2
	s_andn2_saveexec_b64 s[12:13], s[12:13]
; %bb.36:                               ;   in Loop: Header=BB12_7 Depth=2
	ds_write_b32 v53, v0 offset:64
; %bb.37:                               ;   in Loop: Header=BB12_7 Depth=2
	s_or_b64 exec, exec, s[12:13]
	v_cmp_le_i64_e32 vcc, s[42:43], v[2:3]
	v_add_co_u32_e64 v2, s[12:13], v38, v48
	v_addc_co_u32_e64 v3, s[12:13], v39, v49, s[12:13]
	s_nor_b64 s[14:15], vcc, s[0:1]
	v_mov_b32_e32 v4, 0
	s_and_saveexec_b64 s[12:13], s[14:15]
	s_cbranch_execz .LBB12_39
; %bb.38:                               ;   in Loop: Header=BB12_7 Depth=2
	global_load_dword v4, v[2:3], off
.LBB12_39:                              ;   in Loop: Header=BB12_7 Depth=2
	s_or_b64 exec, exec, s[12:13]
	s_nor_b64 s[12:13], vcc, s[2:3]
	s_waitcnt vmcnt(0)
	ds_write_b32 v53, v4 offset:2048
	s_and_saveexec_b64 s[14:15], s[12:13]
	s_xor_b64 s[12:13], exec, s[14:15]
	s_cbranch_execz .LBB12_41
; %bb.40:                               ;   in Loop: Header=BB12_7 Depth=2
	global_load_dword v2, v[2:3], off offset:64
	s_waitcnt vmcnt(0)
	ds_write_b32 v53, v2 offset:2112
.LBB12_41:                              ;   in Loop: Header=BB12_7 Depth=2
	s_andn2_saveexec_b64 s[12:13], s[12:13]
	s_cbranch_execz .LBB12_6
; %bb.42:                               ;   in Loop: Header=BB12_7 Depth=2
	ds_write_b32 v53, v0 offset:2112
	s_branch .LBB12_6
.LBB12_43:                              ;   in Loop: Header=BB12_4 Depth=1
	v_mul_lo_u32 v4, s49, v28
	v_mul_lo_u32 v5, s48, v29
	v_mad_u64_u32 v[2:3], s[8:9], s48, v28, 0
	v_cmp_gt_i32_e32 vcc, s46, v28
	v_add3_u32 v3, v3, v5, v4
	v_lshlrev_b64 v[2:3], 2, v[2:3]
	v_mov_b32_e32 v4, s55
	v_add_co_u32_e64 v2, s[8:9], s54, v2
	v_addc_co_u32_e64 v3, s[8:9], v4, v3, s[8:9]
	s_and_b64 s[8:9], s[4:5], vcc
	s_and_saveexec_b64 s[10:11], s[8:9]
	s_cbranch_execz .LBB12_45
; %bb.44:                               ;   in Loop: Header=BB12_4 Depth=1
	v_add_co_u32_e64 v4, s[8:9], v2, v24
	v_addc_co_u32_e64 v5, s[8:9], v3, v25, s[8:9]
	global_load_dword v6, v[4:5], off
	s_waitcnt vmcnt(0)
	v_fmac_f32_e32 v6, s33, v58
	global_store_dword v[4:5], v6, off
.LBB12_45:                              ;   in Loop: Header=BB12_4 Depth=1
	s_or_b64 exec, exec, s[10:11]
	s_and_b64 s[10:11], s[16:17], vcc
	s_and_saveexec_b64 s[8:9], s[10:11]
	s_cbranch_execz .LBB12_47
; %bb.46:                               ;   in Loop: Header=BB12_4 Depth=1
	v_lshlrev_b64 v[4:5], 2, v[18:19]
	v_add_co_u32_e32 v2, vcc, v2, v4
	v_addc_co_u32_e32 v3, vcc, v3, v5, vcc
	global_load_dword v4, v[2:3], off
	s_waitcnt vmcnt(0)
	v_fmac_f32_e32 v4, s33, v57
	global_store_dword v[2:3], v4, off
.LBB12_47:                              ;   in Loop: Header=BB12_4 Depth=1
	s_or_b64 exec, exec, s[8:9]
	v_add_u32_e32 v4, 16, v28
	v_ashrrev_i32_e32 v2, 31, v4
	v_mul_lo_u32 v5, s48, v2
	v_mul_lo_u32 v6, s49, v4
	v_mad_u64_u32 v[2:3], s[8:9], s48, v4, 0
	v_cmp_gt_i32_e32 vcc, s46, v4
	v_mov_b32_e32 v4, s55
	v_add3_u32 v3, v3, v5, v6
	v_lshlrev_b64 v[2:3], 2, v[2:3]
	v_add_co_u32_e64 v2, s[8:9], s54, v2
	v_addc_co_u32_e64 v3, s[8:9], v4, v3, s[8:9]
	s_and_b64 s[8:9], s[4:5], vcc
	s_and_saveexec_b64 s[10:11], s[8:9]
	s_cbranch_execz .LBB12_49
; %bb.48:                               ;   in Loop: Header=BB12_4 Depth=1
	v_add_co_u32_e64 v4, s[8:9], v2, v24
	v_addc_co_u32_e64 v5, s[8:9], v3, v25, s[8:9]
	global_load_dword v6, v[4:5], off
	s_waitcnt vmcnt(0)
	v_fmac_f32_e32 v6, s33, v56
	global_store_dword v[4:5], v6, off
.LBB12_49:                              ;   in Loop: Header=BB12_4 Depth=1
	s_or_b64 exec, exec, s[10:11]
	s_and_b64 s[10:11], s[16:17], vcc
	s_and_saveexec_b64 s[8:9], s[10:11]
	s_cbranch_execz .LBB12_3
; %bb.50:                               ;   in Loop: Header=BB12_4 Depth=1
	v_lshlrev_b64 v[4:5], 2, v[18:19]
	v_add_co_u32_e32 v2, vcc, v2, v4
	v_addc_co_u32_e32 v3, vcc, v3, v5, vcc
	global_load_dword v4, v[2:3], off
	s_waitcnt vmcnt(0)
	v_fmac_f32_e32 v4, s33, v55
	global_store_dword v[2:3], v4, off
	s_branch .LBB12_3
.LBB12_51:
	s_endpgm
	.section	.rodata,"a",@progbits
	.p2align	6, 0x0
	.amdhsa_kernel _ZL30rocblas_trmm_outofplace_kernelIfLi32ELi2ELb0ELb0ELb0ELb0EPKfS0_fEv17rocblas_diagonal_iiT6_lPT7_lllS5_lllPT8_llli
		.amdhsa_group_segment_fixed_size 8192
		.amdhsa_private_segment_fixed_size 12
		.amdhsa_kernarg_size 392
		.amdhsa_user_sgpr_count 6
		.amdhsa_user_sgpr_private_segment_buffer 1
		.amdhsa_user_sgpr_dispatch_ptr 0
		.amdhsa_user_sgpr_queue_ptr 0
		.amdhsa_user_sgpr_kernarg_segment_ptr 1
		.amdhsa_user_sgpr_dispatch_id 0
		.amdhsa_user_sgpr_flat_scratch_init 0
		.amdhsa_user_sgpr_private_segment_size 0
		.amdhsa_uses_dynamic_stack 0
		.amdhsa_system_sgpr_private_segment_wavefront_offset 1
		.amdhsa_system_sgpr_workgroup_id_x 1
		.amdhsa_system_sgpr_workgroup_id_y 1
		.amdhsa_system_sgpr_workgroup_id_z 1
		.amdhsa_system_sgpr_workgroup_info 0
		.amdhsa_system_vgpr_workitem_id 1
		.amdhsa_next_free_vgpr 63
		.amdhsa_next_free_sgpr 64
		.amdhsa_reserve_vcc 1
		.amdhsa_reserve_flat_scratch 0
		.amdhsa_float_round_mode_32 0
		.amdhsa_float_round_mode_16_64 0
		.amdhsa_float_denorm_mode_32 3
		.amdhsa_float_denorm_mode_16_64 3
		.amdhsa_dx10_clamp 1
		.amdhsa_ieee_mode 1
		.amdhsa_fp16_overflow 0
		.amdhsa_exception_fp_ieee_invalid_op 0
		.amdhsa_exception_fp_denorm_src 0
		.amdhsa_exception_fp_ieee_div_zero 0
		.amdhsa_exception_fp_ieee_overflow 0
		.amdhsa_exception_fp_ieee_underflow 0
		.amdhsa_exception_fp_ieee_inexact 0
		.amdhsa_exception_int_div_zero 0
	.end_amdhsa_kernel
	.section	.text._ZL30rocblas_trmm_outofplace_kernelIfLi32ELi2ELb0ELb0ELb0ELb0EPKfS0_fEv17rocblas_diagonal_iiT6_lPT7_lllS5_lllPT8_llli,"axG",@progbits,_ZL30rocblas_trmm_outofplace_kernelIfLi32ELi2ELb0ELb0ELb0ELb0EPKfS0_fEv17rocblas_diagonal_iiT6_lPT7_lllS5_lllPT8_llli,comdat
.Lfunc_end12:
	.size	_ZL30rocblas_trmm_outofplace_kernelIfLi32ELi2ELb0ELb0ELb0ELb0EPKfS0_fEv17rocblas_diagonal_iiT6_lPT7_lllS5_lllPT8_llli, .Lfunc_end12-_ZL30rocblas_trmm_outofplace_kernelIfLi32ELi2ELb0ELb0ELb0ELb0EPKfS0_fEv17rocblas_diagonal_iiT6_lPT7_lllS5_lllPT8_llli
                                        ; -- End function
	.set _ZL30rocblas_trmm_outofplace_kernelIfLi32ELi2ELb0ELb0ELb0ELb0EPKfS0_fEv17rocblas_diagonal_iiT6_lPT7_lllS5_lllPT8_llli.num_vgpr, 63
	.set _ZL30rocblas_trmm_outofplace_kernelIfLi32ELi2ELb0ELb0ELb0ELb0EPKfS0_fEv17rocblas_diagonal_iiT6_lPT7_lllS5_lllPT8_llli.num_agpr, 0
	.set _ZL30rocblas_trmm_outofplace_kernelIfLi32ELi2ELb0ELb0ELb0ELb0EPKfS0_fEv17rocblas_diagonal_iiT6_lPT7_lllS5_lllPT8_llli.numbered_sgpr, 64
	.set _ZL30rocblas_trmm_outofplace_kernelIfLi32ELi2ELb0ELb0ELb0ELb0EPKfS0_fEv17rocblas_diagonal_iiT6_lPT7_lllS5_lllPT8_llli.num_named_barrier, 0
	.set _ZL30rocblas_trmm_outofplace_kernelIfLi32ELi2ELb0ELb0ELb0ELb0EPKfS0_fEv17rocblas_diagonal_iiT6_lPT7_lllS5_lllPT8_llli.private_seg_size, 12
	.set _ZL30rocblas_trmm_outofplace_kernelIfLi32ELi2ELb0ELb0ELb0ELb0EPKfS0_fEv17rocblas_diagonal_iiT6_lPT7_lllS5_lllPT8_llli.uses_vcc, 1
	.set _ZL30rocblas_trmm_outofplace_kernelIfLi32ELi2ELb0ELb0ELb0ELb0EPKfS0_fEv17rocblas_diagonal_iiT6_lPT7_lllS5_lllPT8_llli.uses_flat_scratch, 0
	.set _ZL30rocblas_trmm_outofplace_kernelIfLi32ELi2ELb0ELb0ELb0ELb0EPKfS0_fEv17rocblas_diagonal_iiT6_lPT7_lllS5_lllPT8_llli.has_dyn_sized_stack, 0
	.set _ZL30rocblas_trmm_outofplace_kernelIfLi32ELi2ELb0ELb0ELb0ELb0EPKfS0_fEv17rocblas_diagonal_iiT6_lPT7_lllS5_lllPT8_llli.has_recursion, 0
	.set _ZL30rocblas_trmm_outofplace_kernelIfLi32ELi2ELb0ELb0ELb0ELb0EPKfS0_fEv17rocblas_diagonal_iiT6_lPT7_lllS5_lllPT8_llli.has_indirect_call, 0
	.section	.AMDGPU.csdata,"",@progbits
; Kernel info:
; codeLenInByte = 2992
; TotalNumSgprs: 68
; NumVgprs: 63
; ScratchSize: 12
; MemoryBound: 0
; FloatMode: 240
; IeeeMode: 1
; LDSByteSize: 8192 bytes/workgroup (compile time only)
; SGPRBlocks: 8
; VGPRBlocks: 15
; NumSGPRsForWavesPerEU: 68
; NumVGPRsForWavesPerEU: 63
; Occupancy: 4
; WaveLimiterHint : 0
; COMPUTE_PGM_RSRC2:SCRATCH_EN: 1
; COMPUTE_PGM_RSRC2:USER_SGPR: 6
; COMPUTE_PGM_RSRC2:TRAP_HANDLER: 0
; COMPUTE_PGM_RSRC2:TGID_X_EN: 1
; COMPUTE_PGM_RSRC2:TGID_Y_EN: 1
; COMPUTE_PGM_RSRC2:TGID_Z_EN: 1
; COMPUTE_PGM_RSRC2:TIDIG_COMP_CNT: 1
	.section	.text._ZL30rocblas_trmm_outofplace_kernelIfLi32ELi2ELb0ELb0ELb0ELb0EfKffEv17rocblas_diagonal_iiT6_lPT7_lllS4_lllPT8_llli,"axG",@progbits,_ZL30rocblas_trmm_outofplace_kernelIfLi32ELi2ELb0ELb0ELb0ELb0EfKffEv17rocblas_diagonal_iiT6_lPT7_lllS4_lllPT8_llli,comdat
	.globl	_ZL30rocblas_trmm_outofplace_kernelIfLi32ELi2ELb0ELb0ELb0ELb0EfKffEv17rocblas_diagonal_iiT6_lPT7_lllS4_lllPT8_llli ; -- Begin function _ZL30rocblas_trmm_outofplace_kernelIfLi32ELi2ELb0ELb0ELb0ELb0EfKffEv17rocblas_diagonal_iiT6_lPT7_lllS4_lllPT8_llli
	.p2align	8
	.type	_ZL30rocblas_trmm_outofplace_kernelIfLi32ELi2ELb0ELb0ELb0ELb0EfKffEv17rocblas_diagonal_iiT6_lPT7_lllS4_lllPT8_llli,@function
_ZL30rocblas_trmm_outofplace_kernelIfLi32ELi2ELb0ELb0ELb0ELb0EfKffEv17rocblas_diagonal_iiT6_lPT7_lllS4_lllPT8_llli: ; @_ZL30rocblas_trmm_outofplace_kernelIfLi32ELi2ELb0ELb0ELb0ELb0EfKffEv17rocblas_diagonal_iiT6_lPT7_lllS4_lllPT8_llli
; %bb.0:
	s_load_dwordx4 s[28:31], s[4:5], 0x0
	s_mov_b64 s[66:67], s[2:3]
	s_mov_b64 s[64:65], s[0:1]
	s_add_u32 s64, s64, s9
	s_addc_u32 s65, s65, 0
	s_waitcnt lgkmcnt(0)
	v_cmp_eq_f32_e64 s[0:1], s31, 0
	s_and_b64 vcc, exec, s[0:1]
	s_cbranch_vccnz .LBB13_51
; %bb.1:
	s_add_i32 s0, s30, -1
	s_ashr_i32 s1, s0, 31
	s_lshr_b32 s1, s1, 27
	s_add_i32 s0, s0, s1
	s_ashr_i32 s33, s0, 5
	s_cmp_gt_i32 s7, s33
	s_cbranch_scc1 .LBB13_51
; %bb.2:
	s_load_dwordx8 s[20:27], s[4:5], 0x58
	s_load_dwordx16 s[36:51], s[4:5], 0x18
	v_lshl_add_u32 v2, s6, 5, v0
	s_load_dword s6, s[4:5], 0x84
	v_add_u32_e32 v18, 16, v2
	s_waitcnt lgkmcnt(0)
	s_mul_i32 s1, s27, s8
	s_mul_hi_u32 s2, s26, s8
	s_mul_i32 s0, s26, s8
	s_add_i32 s1, s2, s1
	s_lshl_b64 s[0:1], s[0:1], 2
	s_add_u32 s2, s20, s0
	s_addc_u32 s3, s21, s1
	s_lshl_b64 s[0:1], s[22:23], 2
	s_add_u32 s54, s2, s0
	s_addc_u32 s55, s3, s1
	s_cmpk_eq_i32 s28, 0x84
	s_cselect_b64 s[22:23], -1, 0
	s_ashr_i32 s27, s30, 31
	s_ashr_i32 s0, s29, 31
	s_lshl_b64 s[34:35], s[48:49], 7
	s_add_u32 s52, s30, -16
	s_addc_u32 s53, s27, -1
	s_lshl_b32 s9, s7, 5
	v_add_u32_e32 v20, s9, v0
	v_add_u32_e32 v22, s9, v1
	s_mul_i32 s9, s43, s8
	s_mul_hi_u32 s10, s42, s8
	s_add_i32 s11, s10, s9
	s_mul_i32 s10, s42, s8
	s_lshl_b32 s56, s6, 5
	s_lshl_b64 s[10:11], s[10:11], 2
	s_lshl_b64 s[12:13], s[38:39], 2
	s_add_u32 s9, s10, s12
	s_addc_u32 s10, s11, s13
	s_add_u32 s28, s36, s9
	v_sub_co_u32_e32 v4, vcc, s29, v2
	v_cmp_gt_i32_e64 s[4:5], s29, v2
	v_cmp_gt_i32_e64 s[16:17], s29, v18
	s_addc_u32 s29, s37, s10
	s_add_u32 s36, s44, 64
	s_mul_i32 s9, s51, s8
	s_mul_hi_u32 s10, s50, s8
	s_addc_u32 s37, s45, 0
	s_add_i32 s9, s10, s9
	s_mul_i32 s8, s50, s8
	v_ashrrev_i32_e32 v3, 31, v2
	s_lshl_b64 s[38:39], s[48:49], 2
	s_lshl_b64 s[8:9], s[8:9], 2
	;; [unrolled: 1-line block ×3, first 2 shown]
	v_mov_b32_e32 v5, s0
	s_add_u32 s8, s8, s10
	v_lshlrev_b64 v[24:25], 2, v[2:3]
	v_lshlrev_b32_e32 v6, 2, v0
	v_subb_co_u32_e32 v5, vcc, v5, v3, vcc
	s_addc_u32 s9, s9, s11
	v_lshlrev_b32_e32 v50, 7, v1
	v_or_b32_e32 v52, 0x1000, v6
	v_cmp_gt_i64_e64 s[0:1], 1, v[4:5]
	v_cmp_gt_i64_e64 s[2:3], 17, v[4:5]
	v_mov_b32_e32 v0, s9
	v_add_co_u32_e32 v2, vcc, s8, v24
	s_mov_b32 s26, s30
	v_add_u32_e32 v51, v50, v6
	v_add_u32_e32 v53, v52, v50
	v_ashrrev_i32_e32 v19, 31, v18
	v_addc_co_u32_e32 v3, vcc, v0, v25, vcc
	s_lshl_b64 s[42:43], s[40:41], 2
	v_mov_b32_e32 v0, 0
	v_mov_b32_e32 v54, 1.0
	s_movk_i32 s57, 0x80
	buffer_store_dword v2, off, s[64:67], 0 ; 4-byte Folded Spill
	s_nop 0
	buffer_store_dword v3, off, s[64:67], 0 offset:4 ; 4-byte Folded Spill
	s_branch .LBB13_4
.LBB13_3:                               ;   in Loop: Header=BB13_4 Depth=1
	s_or_b64 exec, exec, s[8:9]
	s_add_i32 s7, s6, s7
	v_add_u32_e32 v20, s56, v20
	s_cmp_le_i32 s7, s33
	v_add_u32_e32 v22, s56, v22
	s_cbranch_scc0 .LBB13_51
.LBB13_4:                               ; =>This Loop Header: Depth=1
                                        ;     Child Loop BB13_7 Depth 2
	s_lshl_b32 s8, s7, 5
	v_add_u32_e32 v28, s8, v1
	s_sub_i32 s58, s30, s8
	v_ashrrev_i32_e32 v21, 31, v20
	v_ashrrev_i32_e32 v23, 31, v22
	;; [unrolled: 1-line block ×3, first 2 shown]
	s_cmp_lt_i32 s58, 1
	v_mov_b32_e32 v58, 0
	v_mov_b32_e32 v57, 0
	;; [unrolled: 1-line block ×4, first 2 shown]
	s_cbranch_scc1 .LBB13_43
; %bb.5:                                ;   in Loop: Header=BB13_4 Depth=1
	buffer_load_dword v48, off, s[64:67], 0 ; 4-byte Folded Reload
	buffer_load_dword v49, off, s[64:67], 0 offset:4 ; 4-byte Folded Reload
	v_sub_co_u32_e32 v30, vcc, v22, v20
	v_lshlrev_b64 v[2:3], 2, v[22:23]
	v_subb_co_u32_e32 v31, vcc, v23, v21, vcc
	v_add_co_u32_e32 v6, vcc, 64, v2
	v_addc_co_u32_e32 v7, vcc, 0, v3, vcc
	v_mov_b32_e32 v2, s28
	v_mov_b32_e32 v3, s29
	v_mad_u64_u32 v[32:33], s[8:9], s40, v6, v[2:3]
	v_mov_b32_e32 v4, s36
	v_mad_u64_u32 v[36:37], s[8:9], s42, v22, v[2:3]
	v_mov_b32_e32 v2, s44
	v_mov_b32_e32 v5, s37
	;; [unrolled: 1-line block ×3, first 2 shown]
	v_add_co_u32_e32 v40, vcc, 16, v28
	v_mul_lo_u32 v8, s40, v7
	v_mul_lo_u32 v9, s41, v6
	v_mad_u64_u32 v[34:35], s[8:9], s38, v22, v[4:5]
	v_mul_lo_u32 v4, s38, v23
	v_mul_lo_u32 v5, s39, v22
	;; [unrolled: 1-line block ×6, first 2 shown]
	v_mad_u64_u32 v[38:39], s[8:9], s48, v6, v[2:3]
	v_addc_co_u32_e32 v41, vcc, 0, v29, vcc
	v_add_co_u32_e32 v42, vcc, 16, v30
	v_addc_co_u32_e32 v43, vcc, 0, v31, vcc
	v_cmp_le_i64_e64 s[10:11], s[26:27], v[40:41]
	v_add_co_u32_e32 v44, vcc, -16, v30
	v_lshlrev_b64 v[46:47], 2, v[20:21]
	v_add3_u32 v33, v9, v33, v8
	v_add3_u32 v35, v5, v35, v4
	;; [unrolled: 1-line block ×4, first 2 shown]
	v_cmp_le_i32_e64 s[8:9], s30, v28
	v_addc_co_u32_e32 v45, vcc, -1, v31, vcc
	v_mov_b32_e32 v55, 0
	s_mov_b64 s[46:47], 0
	v_mov_b32_e32 v56, 0
	v_mov_b32_e32 v57, 0
	;; [unrolled: 1-line block ×3, first 2 shown]
	s_branch .LBB13_7
.LBB13_6:                               ;   in Loop: Header=BB13_7 Depth=2
	s_or_b64 exec, exec, s[12:13]
	s_waitcnt lgkmcnt(0)
	s_barrier
	ds_read_b128 v[14:17], v50
	ds_read_b128 v[10:13], v50 offset:16
	ds_read_b128 v[6:9], v50 offset:32
	;; [unrolled: 1-line block ×3, first 2 shown]
	ds_read2_b32 v[26:27], v52 offset1:16
	ds_read_b128 v[59:62], v50 offset:2048
	v_add_co_u32_e32 v32, vcc, s57, v32
	v_addc_co_u32_e32 v33, vcc, 0, v33, vcc
	s_waitcnt lgkmcnt(1)
	v_fmac_f32_e32 v58, v26, v14
	v_fmac_f32_e32 v57, v27, v14
	s_waitcnt lgkmcnt(0)
	v_fmac_f32_e32 v56, v26, v59
	v_fmac_f32_e32 v55, v27, v59
	ds_read2_b32 v[26:27], v52 offset0:32 offset1:48
	v_add_co_u32_e32 v48, vcc, s34, v48
	s_add_u32 s46, s46, 32
	s_addc_u32 s47, s47, 0
	s_waitcnt lgkmcnt(0)
	v_fmac_f32_e32 v58, v26, v15
	v_fmac_f32_e32 v57, v27, v15
	ds_read2_b32 v[14:15], v52 offset0:64 offset1:80
	v_fmac_f32_e32 v56, v26, v60
	v_fmac_f32_e32 v55, v27, v60
	ds_read2_b32 v[26:27], v52 offset0:128 offset1:144
	s_cmp_ge_i32 s46, s58
	s_waitcnt lgkmcnt(1)
	v_fmac_f32_e32 v58, v14, v16
	v_fmac_f32_e32 v57, v15, v16
	;; [unrolled: 1-line block ×4, first 2 shown]
	ds_read2_b32 v[14:15], v52 offset0:96 offset1:112
	s_waitcnt lgkmcnt(0)
	v_fmac_f32_e32 v58, v14, v17
	v_fmac_f32_e32 v57, v15, v17
	;; [unrolled: 1-line block ×4, first 2 shown]
	ds_read_b128 v[14:17], v50 offset:2064
	v_fmac_f32_e32 v58, v26, v10
	v_fmac_f32_e32 v57, v27, v10
	s_waitcnt lgkmcnt(0)
	v_fmac_f32_e32 v56, v26, v14
	v_fmac_f32_e32 v55, v27, v14
	ds_read2_b32 v[26:27], v52 offset0:160 offset1:176
	s_waitcnt lgkmcnt(0)
	v_fmac_f32_e32 v58, v26, v11
	v_fmac_f32_e32 v57, v27, v11
	ds_read2_b32 v[10:11], v52 offset0:192 offset1:208
	v_fmac_f32_e32 v56, v26, v15
	v_fmac_f32_e32 v55, v27, v15
	s_waitcnt lgkmcnt(0)
	v_fmac_f32_e32 v58, v10, v12
	v_fmac_f32_e32 v57, v11, v12
	v_fmac_f32_e32 v56, v10, v16
	v_fmac_f32_e32 v55, v11, v16
	ds_read2_b32 v[10:11], v52 offset0:224 offset1:240
	s_waitcnt lgkmcnt(0)
	v_fmac_f32_e32 v58, v10, v13
	v_fmac_f32_e32 v56, v10, v17
	v_add_u32_e32 v10, 0x400, v52
	v_fmac_f32_e32 v57, v11, v13
	v_fmac_f32_e32 v55, v11, v17
	ds_read2_b32 v[15:16], v10 offset1:16
	ds_read_b128 v[11:14], v50 offset:2080
	s_waitcnt lgkmcnt(1)
	v_fmac_f32_e32 v58, v15, v6
	v_fmac_f32_e32 v57, v16, v6
	s_waitcnt lgkmcnt(0)
	v_fmac_f32_e32 v56, v15, v11
	v_fmac_f32_e32 v55, v16, v11
	ds_read2_b32 v[15:16], v10 offset0:32 offset1:48
	s_waitcnt lgkmcnt(0)
	v_fmac_f32_e32 v58, v15, v7
	v_fmac_f32_e32 v57, v16, v7
	ds_read2_b32 v[6:7], v10 offset0:64 offset1:80
	v_fmac_f32_e32 v56, v15, v12
	v_fmac_f32_e32 v55, v16, v12
	ds_read2_b32 v[11:12], v10 offset0:128 offset1:144
	s_waitcnt lgkmcnt(1)
	v_fmac_f32_e32 v58, v6, v8
	v_fmac_f32_e32 v57, v7, v8
	v_fmac_f32_e32 v56, v6, v13
	v_fmac_f32_e32 v55, v7, v13
	ds_read2_b32 v[6:7], v10 offset0:96 offset1:112
	s_waitcnt lgkmcnt(0)
	v_fmac_f32_e32 v58, v6, v9
	v_fmac_f32_e32 v57, v7, v9
	v_fmac_f32_e32 v56, v6, v14
	v_fmac_f32_e32 v55, v7, v14
	ds_read_b128 v[6:9], v50 offset:2096
	v_fmac_f32_e32 v58, v11, v2
	v_fmac_f32_e32 v57, v12, v2
	s_waitcnt lgkmcnt(0)
	v_fmac_f32_e32 v56, v11, v6
	v_fmac_f32_e32 v55, v12, v6
	ds_read2_b32 v[11:12], v10 offset0:160 offset1:176
	s_waitcnt lgkmcnt(0)
	v_fmac_f32_e32 v58, v11, v3
	v_fmac_f32_e32 v57, v12, v3
	ds_read2_b32 v[2:3], v10 offset0:192 offset1:208
	v_fmac_f32_e32 v56, v11, v7
	v_fmac_f32_e32 v55, v12, v7
	s_waitcnt lgkmcnt(0)
	v_fmac_f32_e32 v58, v2, v4
	v_fmac_f32_e32 v57, v3, v4
	;; [unrolled: 1-line block ×4, first 2 shown]
	ds_read2_b32 v[2:3], v10 offset0:224 offset1:240
	v_add_u32_e32 v10, 0x800, v52
	ds_read2_b32 v[11:12], v10 offset1:16
	s_waitcnt lgkmcnt(1)
	v_fmac_f32_e32 v58, v2, v5
	v_fmac_f32_e32 v57, v3, v5
	;; [unrolled: 1-line block ×4, first 2 shown]
	ds_read_b128 v[2:5], v50 offset:64
	ds_read_b128 v[6:9], v50 offset:2112
	s_waitcnt lgkmcnt(1)
	v_fmac_f32_e32 v58, v11, v2
	v_fmac_f32_e32 v57, v12, v2
	s_waitcnt lgkmcnt(0)
	v_fmac_f32_e32 v56, v11, v6
	v_fmac_f32_e32 v55, v12, v6
	ds_read2_b32 v[11:12], v10 offset0:32 offset1:48
	s_waitcnt lgkmcnt(0)
	v_fmac_f32_e32 v58, v11, v3
	v_fmac_f32_e32 v57, v12, v3
	ds_read2_b32 v[2:3], v10 offset0:64 offset1:80
	v_fmac_f32_e32 v56, v11, v7
	v_fmac_f32_e32 v55, v12, v7
	s_waitcnt lgkmcnt(0)
	v_fmac_f32_e32 v58, v2, v4
	v_fmac_f32_e32 v57, v3, v4
	;; [unrolled: 1-line block ×4, first 2 shown]
	ds_read2_b32 v[2:3], v10 offset0:96 offset1:112
	s_waitcnt lgkmcnt(0)
	v_fmac_f32_e32 v58, v2, v5
	v_fmac_f32_e32 v57, v3, v5
	;; [unrolled: 1-line block ×4, first 2 shown]
	ds_read_b128 v[2:5], v50 offset:80
	ds_read2_b32 v[11:12], v10 offset0:128 offset1:144
	ds_read_b128 v[6:9], v50 offset:2128
	s_waitcnt lgkmcnt(1)
	v_fmac_f32_e32 v58, v11, v2
	v_fmac_f32_e32 v57, v12, v2
	s_waitcnt lgkmcnt(0)
	v_fmac_f32_e32 v56, v11, v6
	v_fmac_f32_e32 v55, v12, v6
	ds_read2_b32 v[11:12], v10 offset0:160 offset1:176
	s_waitcnt lgkmcnt(0)
	v_fmac_f32_e32 v58, v11, v3
	v_fmac_f32_e32 v57, v12, v3
	ds_read2_b32 v[2:3], v10 offset0:192 offset1:208
	v_fmac_f32_e32 v56, v11, v7
	v_fmac_f32_e32 v55, v12, v7
	s_waitcnt lgkmcnt(0)
	v_fmac_f32_e32 v58, v2, v4
	v_fmac_f32_e32 v57, v3, v4
	;; [unrolled: 1-line block ×4, first 2 shown]
	ds_read2_b32 v[2:3], v10 offset0:224 offset1:240
	v_add_u32_e32 v10, 0xc00, v52
	ds_read2_b32 v[11:12], v10 offset1:16
	s_waitcnt lgkmcnt(1)
	v_fmac_f32_e32 v58, v2, v5
	v_fmac_f32_e32 v57, v3, v5
	;; [unrolled: 1-line block ×4, first 2 shown]
	ds_read_b128 v[2:5], v50 offset:96
	ds_read_b128 v[6:9], v50 offset:2144
	s_waitcnt lgkmcnt(1)
	v_fmac_f32_e32 v58, v11, v2
	v_fmac_f32_e32 v57, v12, v2
	s_waitcnt lgkmcnt(0)
	v_fmac_f32_e32 v56, v11, v6
	v_fmac_f32_e32 v55, v12, v6
	ds_read2_b32 v[11:12], v10 offset0:32 offset1:48
	s_waitcnt lgkmcnt(0)
	v_fmac_f32_e32 v58, v11, v3
	v_fmac_f32_e32 v57, v12, v3
	ds_read2_b32 v[2:3], v10 offset0:64 offset1:80
	v_fmac_f32_e32 v56, v11, v7
	v_fmac_f32_e32 v55, v12, v7
	s_waitcnt lgkmcnt(0)
	v_fmac_f32_e32 v58, v2, v4
	v_fmac_f32_e32 v57, v3, v4
	v_fmac_f32_e32 v56, v2, v8
	v_fmac_f32_e32 v55, v3, v8
	ds_read2_b32 v[2:3], v10 offset0:96 offset1:112
	s_waitcnt lgkmcnt(0)
	v_fmac_f32_e32 v58, v2, v5
	v_fmac_f32_e32 v57, v3, v5
	;; [unrolled: 1-line block ×4, first 2 shown]
	ds_read_b128 v[2:5], v50 offset:112
	ds_read2_b32 v[11:12], v10 offset0:128 offset1:144
	ds_read_b128 v[6:9], v50 offset:2160
	s_waitcnt lgkmcnt(1)
	v_fmac_f32_e32 v58, v11, v2
	v_fmac_f32_e32 v57, v12, v2
	s_waitcnt lgkmcnt(0)
	v_fmac_f32_e32 v56, v11, v6
	v_fmac_f32_e32 v55, v12, v6
	ds_read2_b32 v[11:12], v10 offset0:160 offset1:176
	s_waitcnt lgkmcnt(0)
	v_fmac_f32_e32 v58, v11, v3
	v_fmac_f32_e32 v57, v12, v3
	ds_read2_b32 v[2:3], v10 offset0:192 offset1:208
	v_fmac_f32_e32 v56, v11, v7
	v_fmac_f32_e32 v55, v12, v7
	s_waitcnt lgkmcnt(0)
	v_fmac_f32_e32 v58, v2, v4
	v_fmac_f32_e32 v57, v3, v4
	;; [unrolled: 1-line block ×4, first 2 shown]
	ds_read2_b32 v[2:3], v10 offset0:224 offset1:240
	s_waitcnt lgkmcnt(0)
	s_barrier
	v_fmac_f32_e32 v58, v2, v5
	v_fmac_f32_e32 v56, v2, v9
	v_mov_b32_e32 v2, s35
	v_addc_co_u32_e32 v49, vcc, v49, v2, vcc
	v_add_co_u32_e32 v36, vcc, 0x80, v36
	v_fmac_f32_e32 v57, v3, v5
	v_fmac_f32_e32 v55, v3, v9
	v_addc_co_u32_e32 v37, vcc, 0, v37, vcc
	s_cbranch_scc1 .LBB13_43
.LBB13_7:                               ;   Parent Loop BB13_4 Depth=1
                                        ; =>  This Inner Loop Header: Depth=2
	v_mov_b32_e32 v3, s47
	v_add_co_u32_e32 v2, vcc, s46, v20
	v_addc_co_u32_e32 v3, vcc, v21, v3, vcc
	v_cmp_eq_u64_e32 vcc, s[46:47], v[30:31]
	v_add_co_u32_e64 v4, s[12:13], v36, v46
	v_addc_co_u32_e64 v5, s[12:13], v37, v47, s[12:13]
	s_and_b64 s[50:51], s[22:23], vcc
	v_cmp_lt_i64_e32 vcc, v[2:3], v[28:29]
	v_cmp_le_i64_e64 s[12:13], s[26:27], v[2:3]
	s_or_b64 s[14:15], s[8:9], vcc
	s_or_b64 s[14:15], s[12:13], s[14:15]
	s_nor_b64 s[14:15], s[14:15], s[50:51]
                                        ; implicit-def: $vgpr6
	s_and_saveexec_b64 s[18:19], s[14:15]
	s_xor_b64 s[14:15], exec, s[18:19]
	s_cbranch_execz .LBB13_9
; %bb.8:                                ;   in Loop: Header=BB13_7 Depth=2
	global_load_dword v6, v[4:5], off
.LBB13_9:                               ;   in Loop: Header=BB13_7 Depth=2
	s_andn2_saveexec_b64 s[14:15], s[14:15]
	s_cbranch_execz .LBB13_11
; %bb.10:                               ;   in Loop: Header=BB13_7 Depth=2
	s_waitcnt vmcnt(0)
	v_cndmask_b32_e64 v6, 0, 1.0, s[50:51]
.LBB13_11:                              ;   in Loop: Header=BB13_7 Depth=2
	s_or_b64 exec, exec, s[14:15]
	s_waitcnt vmcnt(0)
	ds_write_b32 v51, v6
	v_add_co_u32_e64 v6, s[18:19], 16, v2
	v_cmp_eq_u64_e64 s[14:15], s[46:47], v[44:45]
	v_addc_co_u32_e64 v7, s[18:19], 0, v3, s[18:19]
	v_cmp_lt_i64_e64 s[18:19], v[6:7], v[28:29]
	s_and_b64 s[20:21], s[22:23], s[14:15]
	v_cmp_le_i64_e64 s[14:15], s[26:27], v[6:7]
	s_or_b64 s[18:19], s[8:9], s[18:19]
	s_or_b64 s[18:19], s[14:15], s[18:19]
	s_nor_b64 s[18:19], s[18:19], s[20:21]
	s_and_saveexec_b64 s[60:61], s[18:19]
	s_xor_b64 s[18:19], exec, s[60:61]
	s_cbranch_execz .LBB13_13
; %bb.12:                               ;   in Loop: Header=BB13_7 Depth=2
	global_load_dword v4, v[4:5], off offset:64
	s_waitcnt vmcnt(0)
	ds_write_b32 v51, v4 offset:64
.LBB13_13:                              ;   in Loop: Header=BB13_7 Depth=2
	s_andn2_saveexec_b64 s[18:19], s[18:19]
	s_cbranch_execz .LBB13_19
; %bb.14:                               ;   in Loop: Header=BB13_7 Depth=2
	s_xor_b64 s[20:21], s[20:21], -1
	s_and_saveexec_b64 s[60:61], s[20:21]
	s_xor_b64 s[20:21], exec, s[60:61]
; %bb.15:                               ;   in Loop: Header=BB13_7 Depth=2
	ds_write_b32 v51, v0 offset:64
; %bb.16:                               ;   in Loop: Header=BB13_7 Depth=2
	s_andn2_saveexec_b64 s[20:21], s[20:21]
; %bb.17:                               ;   in Loop: Header=BB13_7 Depth=2
	ds_write_b32 v51, v54 offset:64
; %bb.18:                               ;   in Loop: Header=BB13_7 Depth=2
	s_or_b64 exec, exec, s[20:21]
.LBB13_19:                              ;   in Loop: Header=BB13_7 Depth=2
	s_or_b64 exec, exec, s[18:19]
	v_add_co_u32_e64 v4, s[18:19], v32, v46
	v_addc_co_u32_e64 v5, s[18:19], v33, v47, s[18:19]
	v_cmp_eq_u64_e64 s[18:19], s[46:47], v[42:43]
	v_cmp_lt_i64_e64 s[20:21], v[2:3], v[40:41]
	s_and_b64 s[18:19], s[22:23], s[18:19]
	s_or_b64 s[20:21], s[10:11], s[20:21]
	s_or_b64 s[20:21], s[20:21], s[18:19]
	s_nor_b64 s[12:13], s[12:13], s[20:21]
                                        ; implicit-def: $vgpr2
	s_and_saveexec_b64 s[20:21], s[12:13]
	s_xor_b64 s[12:13], exec, s[20:21]
	s_cbranch_execz .LBB13_21
; %bb.20:                               ;   in Loop: Header=BB13_7 Depth=2
	global_load_dword v2, v[4:5], off
.LBB13_21:                              ;   in Loop: Header=BB13_7 Depth=2
	s_andn2_saveexec_b64 s[12:13], s[12:13]
	s_cbranch_execz .LBB13_23
; %bb.22:                               ;   in Loop: Header=BB13_7 Depth=2
	s_waitcnt vmcnt(0)
	v_cndmask_b32_e64 v2, 0, 1.0, s[18:19]
.LBB13_23:                              ;   in Loop: Header=BB13_7 Depth=2
	s_or_b64 exec, exec, s[12:13]
	s_or_b64 s[12:13], s[10:11], vcc
	s_or_b64 s[12:13], s[14:15], s[12:13]
	s_nor_b64 s[12:13], s[12:13], s[50:51]
	s_waitcnt vmcnt(0)
	ds_write_b32 v51, v2 offset:2048
	s_and_saveexec_b64 s[14:15], s[12:13]
	s_xor_b64 s[12:13], exec, s[14:15]
	s_cbranch_execz .LBB13_25
; %bb.24:                               ;   in Loop: Header=BB13_7 Depth=2
	global_load_dword v2, v[4:5], off offset:64
	s_waitcnt vmcnt(0)
	ds_write_b32 v51, v2 offset:2112
.LBB13_25:                              ;   in Loop: Header=BB13_7 Depth=2
	s_andn2_saveexec_b64 s[12:13], s[12:13]
	s_cbranch_execz .LBB13_31
; %bb.26:                               ;   in Loop: Header=BB13_7 Depth=2
	s_xor_b64 s[14:15], s[50:51], -1
	s_and_saveexec_b64 s[18:19], s[14:15]
	s_xor_b64 s[14:15], exec, s[18:19]
; %bb.27:                               ;   in Loop: Header=BB13_7 Depth=2
	ds_write_b32 v51, v0 offset:2112
; %bb.28:                               ;   in Loop: Header=BB13_7 Depth=2
	s_andn2_saveexec_b64 s[14:15], s[14:15]
; %bb.29:                               ;   in Loop: Header=BB13_7 Depth=2
	ds_write_b32 v51, v54 offset:2112
; %bb.30:                               ;   in Loop: Header=BB13_7 Depth=2
	s_or_b64 exec, exec, s[14:15]
.LBB13_31:                              ;   in Loop: Header=BB13_7 Depth=2
	s_or_b64 exec, exec, s[12:13]
	v_mov_b32_e32 v3, s47
	v_add_co_u32_e32 v2, vcc, s46, v22
	v_addc_co_u32_e32 v3, vcc, v23, v3, vcc
	v_cmp_le_i64_e32 vcc, s[26:27], v[2:3]
	v_add_co_u32_e64 v4, s[12:13], v34, v48
	v_addc_co_u32_e64 v5, s[12:13], v35, v49, s[12:13]
	s_nor_b64 s[14:15], vcc, s[0:1]
	v_mov_b32_e32 v6, 0
	s_and_saveexec_b64 s[12:13], s[14:15]
	s_cbranch_execz .LBB13_33
; %bb.32:                               ;   in Loop: Header=BB13_7 Depth=2
	global_load_dword v6, v[4:5], off offset:-64
.LBB13_33:                              ;   in Loop: Header=BB13_7 Depth=2
	s_or_b64 exec, exec, s[12:13]
	s_nor_b64 s[12:13], vcc, s[2:3]
	s_waitcnt vmcnt(0)
	ds_write_b32 v53, v6
	s_and_saveexec_b64 s[14:15], s[12:13]
	s_xor_b64 s[12:13], exec, s[14:15]
	s_cbranch_execz .LBB13_35
; %bb.34:                               ;   in Loop: Header=BB13_7 Depth=2
	global_load_dword v4, v[4:5], off
	s_waitcnt vmcnt(0)
	ds_write_b32 v53, v4 offset:64
.LBB13_35:                              ;   in Loop: Header=BB13_7 Depth=2
	s_andn2_saveexec_b64 s[12:13], s[12:13]
; %bb.36:                               ;   in Loop: Header=BB13_7 Depth=2
	ds_write_b32 v53, v0 offset:64
; %bb.37:                               ;   in Loop: Header=BB13_7 Depth=2
	s_or_b64 exec, exec, s[12:13]
	v_cmp_le_i64_e32 vcc, s[52:53], v[2:3]
	v_add_co_u32_e64 v2, s[12:13], v38, v48
	v_addc_co_u32_e64 v3, s[12:13], v39, v49, s[12:13]
	s_nor_b64 s[14:15], vcc, s[0:1]
	v_mov_b32_e32 v4, 0
	s_and_saveexec_b64 s[12:13], s[14:15]
	s_cbranch_execz .LBB13_39
; %bb.38:                               ;   in Loop: Header=BB13_7 Depth=2
	global_load_dword v4, v[2:3], off
.LBB13_39:                              ;   in Loop: Header=BB13_7 Depth=2
	s_or_b64 exec, exec, s[12:13]
	s_nor_b64 s[12:13], vcc, s[2:3]
	s_waitcnt vmcnt(0)
	ds_write_b32 v53, v4 offset:2048
	s_and_saveexec_b64 s[14:15], s[12:13]
	s_xor_b64 s[12:13], exec, s[14:15]
	s_cbranch_execz .LBB13_41
; %bb.40:                               ;   in Loop: Header=BB13_7 Depth=2
	global_load_dword v2, v[2:3], off offset:64
	s_waitcnt vmcnt(0)
	ds_write_b32 v53, v2 offset:2112
.LBB13_41:                              ;   in Loop: Header=BB13_7 Depth=2
	s_andn2_saveexec_b64 s[12:13], s[12:13]
	s_cbranch_execz .LBB13_6
; %bb.42:                               ;   in Loop: Header=BB13_7 Depth=2
	ds_write_b32 v53, v0 offset:2112
	s_branch .LBB13_6
.LBB13_43:                              ;   in Loop: Header=BB13_4 Depth=1
	v_mul_lo_u32 v4, s25, v28
	v_mul_lo_u32 v5, s24, v29
	v_mad_u64_u32 v[2:3], s[8:9], s24, v28, 0
	v_cmp_gt_i32_e32 vcc, s30, v28
	v_add3_u32 v3, v3, v5, v4
	v_lshlrev_b64 v[2:3], 2, v[2:3]
	v_mov_b32_e32 v4, s55
	v_add_co_u32_e64 v2, s[8:9], s54, v2
	v_addc_co_u32_e64 v3, s[8:9], v4, v3, s[8:9]
	s_and_b64 s[8:9], s[4:5], vcc
	s_and_saveexec_b64 s[10:11], s[8:9]
	s_cbranch_execz .LBB13_45
; %bb.44:                               ;   in Loop: Header=BB13_4 Depth=1
	v_add_co_u32_e64 v4, s[8:9], v2, v24
	v_addc_co_u32_e64 v5, s[8:9], v3, v25, s[8:9]
	global_load_dword v6, v[4:5], off
	s_waitcnt vmcnt(0)
	v_fmac_f32_e32 v6, s31, v58
	global_store_dword v[4:5], v6, off
.LBB13_45:                              ;   in Loop: Header=BB13_4 Depth=1
	s_or_b64 exec, exec, s[10:11]
	s_and_b64 s[10:11], s[16:17], vcc
	s_and_saveexec_b64 s[8:9], s[10:11]
	s_cbranch_execz .LBB13_47
; %bb.46:                               ;   in Loop: Header=BB13_4 Depth=1
	v_lshlrev_b64 v[4:5], 2, v[18:19]
	v_add_co_u32_e32 v2, vcc, v2, v4
	v_addc_co_u32_e32 v3, vcc, v3, v5, vcc
	global_load_dword v4, v[2:3], off
	s_waitcnt vmcnt(0)
	v_fmac_f32_e32 v4, s31, v57
	global_store_dword v[2:3], v4, off
.LBB13_47:                              ;   in Loop: Header=BB13_4 Depth=1
	s_or_b64 exec, exec, s[8:9]
	v_add_u32_e32 v4, 16, v28
	v_ashrrev_i32_e32 v2, 31, v4
	v_mul_lo_u32 v5, s24, v2
	v_mul_lo_u32 v6, s25, v4
	v_mad_u64_u32 v[2:3], s[8:9], s24, v4, 0
	v_cmp_gt_i32_e32 vcc, s30, v4
	v_mov_b32_e32 v4, s55
	v_add3_u32 v3, v3, v5, v6
	v_lshlrev_b64 v[2:3], 2, v[2:3]
	v_add_co_u32_e64 v2, s[8:9], s54, v2
	v_addc_co_u32_e64 v3, s[8:9], v4, v3, s[8:9]
	s_and_b64 s[8:9], s[4:5], vcc
	s_and_saveexec_b64 s[10:11], s[8:9]
	s_cbranch_execz .LBB13_49
; %bb.48:                               ;   in Loop: Header=BB13_4 Depth=1
	v_add_co_u32_e64 v4, s[8:9], v2, v24
	v_addc_co_u32_e64 v5, s[8:9], v3, v25, s[8:9]
	global_load_dword v6, v[4:5], off
	s_waitcnt vmcnt(0)
	v_fmac_f32_e32 v6, s31, v56
	global_store_dword v[4:5], v6, off
.LBB13_49:                              ;   in Loop: Header=BB13_4 Depth=1
	s_or_b64 exec, exec, s[10:11]
	s_and_b64 s[10:11], s[16:17], vcc
	s_and_saveexec_b64 s[8:9], s[10:11]
	s_cbranch_execz .LBB13_3
; %bb.50:                               ;   in Loop: Header=BB13_4 Depth=1
	v_lshlrev_b64 v[4:5], 2, v[18:19]
	v_add_co_u32_e32 v2, vcc, v2, v4
	v_addc_co_u32_e32 v3, vcc, v3, v5, vcc
	global_load_dword v4, v[2:3], off
	s_waitcnt vmcnt(0)
	v_fmac_f32_e32 v4, s31, v55
	global_store_dword v[2:3], v4, off
	s_branch .LBB13_3
.LBB13_51:
	s_endpgm
	.section	.rodata,"a",@progbits
	.p2align	6, 0x0
	.amdhsa_kernel _ZL30rocblas_trmm_outofplace_kernelIfLi32ELi2ELb0ELb0ELb0ELb0EfKffEv17rocblas_diagonal_iiT6_lPT7_lllS4_lllPT8_llli
		.amdhsa_group_segment_fixed_size 8192
		.amdhsa_private_segment_fixed_size 12
		.amdhsa_kernarg_size 384
		.amdhsa_user_sgpr_count 6
		.amdhsa_user_sgpr_private_segment_buffer 1
		.amdhsa_user_sgpr_dispatch_ptr 0
		.amdhsa_user_sgpr_queue_ptr 0
		.amdhsa_user_sgpr_kernarg_segment_ptr 1
		.amdhsa_user_sgpr_dispatch_id 0
		.amdhsa_user_sgpr_flat_scratch_init 0
		.amdhsa_user_sgpr_private_segment_size 0
		.amdhsa_uses_dynamic_stack 0
		.amdhsa_system_sgpr_private_segment_wavefront_offset 1
		.amdhsa_system_sgpr_workgroup_id_x 1
		.amdhsa_system_sgpr_workgroup_id_y 1
		.amdhsa_system_sgpr_workgroup_id_z 1
		.amdhsa_system_sgpr_workgroup_info 0
		.amdhsa_system_vgpr_workitem_id 1
		.amdhsa_next_free_vgpr 63
		.amdhsa_next_free_sgpr 68
		.amdhsa_reserve_vcc 1
		.amdhsa_reserve_flat_scratch 0
		.amdhsa_float_round_mode_32 0
		.amdhsa_float_round_mode_16_64 0
		.amdhsa_float_denorm_mode_32 3
		.amdhsa_float_denorm_mode_16_64 3
		.amdhsa_dx10_clamp 1
		.amdhsa_ieee_mode 1
		.amdhsa_fp16_overflow 0
		.amdhsa_exception_fp_ieee_invalid_op 0
		.amdhsa_exception_fp_denorm_src 0
		.amdhsa_exception_fp_ieee_div_zero 0
		.amdhsa_exception_fp_ieee_overflow 0
		.amdhsa_exception_fp_ieee_underflow 0
		.amdhsa_exception_fp_ieee_inexact 0
		.amdhsa_exception_int_div_zero 0
	.end_amdhsa_kernel
	.section	.text._ZL30rocblas_trmm_outofplace_kernelIfLi32ELi2ELb0ELb0ELb0ELb0EfKffEv17rocblas_diagonal_iiT6_lPT7_lllS4_lllPT8_llli,"axG",@progbits,_ZL30rocblas_trmm_outofplace_kernelIfLi32ELi2ELb0ELb0ELb0ELb0EfKffEv17rocblas_diagonal_iiT6_lPT7_lllS4_lllPT8_llli,comdat
.Lfunc_end13:
	.size	_ZL30rocblas_trmm_outofplace_kernelIfLi32ELi2ELb0ELb0ELb0ELb0EfKffEv17rocblas_diagonal_iiT6_lPT7_lllS4_lllPT8_llli, .Lfunc_end13-_ZL30rocblas_trmm_outofplace_kernelIfLi32ELi2ELb0ELb0ELb0ELb0EfKffEv17rocblas_diagonal_iiT6_lPT7_lllS4_lllPT8_llli
                                        ; -- End function
	.set _ZL30rocblas_trmm_outofplace_kernelIfLi32ELi2ELb0ELb0ELb0ELb0EfKffEv17rocblas_diagonal_iiT6_lPT7_lllS4_lllPT8_llli.num_vgpr, 63
	.set _ZL30rocblas_trmm_outofplace_kernelIfLi32ELi2ELb0ELb0ELb0ELb0EfKffEv17rocblas_diagonal_iiT6_lPT7_lllS4_lllPT8_llli.num_agpr, 0
	.set _ZL30rocblas_trmm_outofplace_kernelIfLi32ELi2ELb0ELb0ELb0ELb0EfKffEv17rocblas_diagonal_iiT6_lPT7_lllS4_lllPT8_llli.numbered_sgpr, 68
	.set _ZL30rocblas_trmm_outofplace_kernelIfLi32ELi2ELb0ELb0ELb0ELb0EfKffEv17rocblas_diagonal_iiT6_lPT7_lllS4_lllPT8_llli.num_named_barrier, 0
	.set _ZL30rocblas_trmm_outofplace_kernelIfLi32ELi2ELb0ELb0ELb0ELb0EfKffEv17rocblas_diagonal_iiT6_lPT7_lllS4_lllPT8_llli.private_seg_size, 12
	.set _ZL30rocblas_trmm_outofplace_kernelIfLi32ELi2ELb0ELb0ELb0ELb0EfKffEv17rocblas_diagonal_iiT6_lPT7_lllS4_lllPT8_llli.uses_vcc, 1
	.set _ZL30rocblas_trmm_outofplace_kernelIfLi32ELi2ELb0ELb0ELb0ELb0EfKffEv17rocblas_diagonal_iiT6_lPT7_lllS4_lllPT8_llli.uses_flat_scratch, 0
	.set _ZL30rocblas_trmm_outofplace_kernelIfLi32ELi2ELb0ELb0ELb0ELb0EfKffEv17rocblas_diagonal_iiT6_lPT7_lllS4_lllPT8_llli.has_dyn_sized_stack, 0
	.set _ZL30rocblas_trmm_outofplace_kernelIfLi32ELi2ELb0ELb0ELb0ELb0EfKffEv17rocblas_diagonal_iiT6_lPT7_lllS4_lllPT8_llli.has_recursion, 0
	.set _ZL30rocblas_trmm_outofplace_kernelIfLi32ELi2ELb0ELb0ELb0ELb0EfKffEv17rocblas_diagonal_iiT6_lPT7_lllS4_lllPT8_llli.has_indirect_call, 0
	.section	.AMDGPU.csdata,"",@progbits
; Kernel info:
; codeLenInByte = 2944
; TotalNumSgprs: 72
; NumVgprs: 63
; ScratchSize: 12
; MemoryBound: 0
; FloatMode: 240
; IeeeMode: 1
; LDSByteSize: 8192 bytes/workgroup (compile time only)
; SGPRBlocks: 8
; VGPRBlocks: 15
; NumSGPRsForWavesPerEU: 72
; NumVGPRsForWavesPerEU: 63
; Occupancy: 4
; WaveLimiterHint : 0
; COMPUTE_PGM_RSRC2:SCRATCH_EN: 1
; COMPUTE_PGM_RSRC2:USER_SGPR: 6
; COMPUTE_PGM_RSRC2:TRAP_HANDLER: 0
; COMPUTE_PGM_RSRC2:TGID_X_EN: 1
; COMPUTE_PGM_RSRC2:TGID_Y_EN: 1
; COMPUTE_PGM_RSRC2:TGID_Z_EN: 1
; COMPUTE_PGM_RSRC2:TIDIG_COMP_CNT: 1
	.section	.text._ZL30rocblas_trmm_outofplace_kernelIfLi32ELi2ELb0ELb1ELb0ELb0EPKfS0_fEv17rocblas_diagonal_iiT6_lPT7_lllS5_lllPT8_llli,"axG",@progbits,_ZL30rocblas_trmm_outofplace_kernelIfLi32ELi2ELb0ELb1ELb0ELb0EPKfS0_fEv17rocblas_diagonal_iiT6_lPT7_lllS5_lllPT8_llli,comdat
	.globl	_ZL30rocblas_trmm_outofplace_kernelIfLi32ELi2ELb0ELb1ELb0ELb0EPKfS0_fEv17rocblas_diagonal_iiT6_lPT7_lllS5_lllPT8_llli ; -- Begin function _ZL30rocblas_trmm_outofplace_kernelIfLi32ELi2ELb0ELb1ELb0ELb0EPKfS0_fEv17rocblas_diagonal_iiT6_lPT7_lllS5_lllPT8_llli
	.p2align	8
	.type	_ZL30rocblas_trmm_outofplace_kernelIfLi32ELi2ELb0ELb1ELb0ELb0EPKfS0_fEv17rocblas_diagonal_iiT6_lPT7_lllS5_lllPT8_llli,@function
_ZL30rocblas_trmm_outofplace_kernelIfLi32ELi2ELb0ELb1ELb0ELb0EPKfS0_fEv17rocblas_diagonal_iiT6_lPT7_lllS5_lllPT8_llli: ; @_ZL30rocblas_trmm_outofplace_kernelIfLi32ELi2ELb0ELb1ELb0ELb0EPKfS0_fEv17rocblas_diagonal_iiT6_lPT7_lllS5_lllPT8_llli
; %bb.0:
	s_load_dwordx16 s[16:31], s[4:5], 0x10
	s_waitcnt lgkmcnt(0)
	s_mul_i32 s0, s19, s8
	s_mul_hi_u32 s1, s18, s8
	s_add_i32 s1, s1, s0
	s_mul_i32 s0, s18, s8
	s_lshl_b64 s[0:1], s[0:1], 2
	s_add_u32 s0, s16, s0
	s_addc_u32 s1, s17, s1
	s_load_dword s33, s[0:1], 0x0
	s_waitcnt lgkmcnt(0)
	v_cmp_eq_f32_e64 s[0:1], s33, 0
	s_and_b64 vcc, exec, s[0:1]
	s_cbranch_vccnz .LBB14_51
; %bb.1:
	s_load_dwordx4 s[36:39], s[4:5], 0x0
	s_waitcnt lgkmcnt(0)
	s_add_i32 s0, s38, -1
	s_ashr_i32 s1, s0, 31
	s_lshr_b32 s1, s1, 27
	s_add_i32 s0, s0, s1
	s_ashr_i32 s44, s0, 5
	s_cmp_gt_i32 s7, s44
	s_cbranch_scc1 .LBB14_51
; %bb.2:
	s_load_dwordx8 s[12:19], s[4:5], 0x50
	s_load_dwordx4 s[40:43], s[4:5], 0x70
	s_load_dword s45, s[4:5], 0x8c
	v_lshl_add_u32 v2, s6, 5, v0
	v_ashrrev_i32_e32 v3, 31, v2
	s_waitcnt lgkmcnt(0)
	s_mul_i32 s1, s15, s8
	s_mul_hi_u32 s2, s14, s8
	s_mul_i32 s0, s14, s8
	s_add_i32 s1, s2, s1
	s_lshl_b64 s[0:1], s[0:1], 2
	s_add_u32 s2, s28, s0
	s_addc_u32 s3, s29, s1
	s_lshl_b64 s[0:1], s[30:31], 2
	s_add_u32 s2, s2, s0
	s_addc_u32 s3, s3, s1
	s_mul_i32 s0, s43, s8
	s_mul_hi_u32 s1, s42, s8
	s_add_i32 s1, s1, s0
	s_mul_i32 s0, s42, s8
	s_lshl_b64 s[0:1], s[0:1], 2
	s_add_u32 s4, s16, s0
	s_addc_u32 s5, s17, s1
	s_lshl_b64 s[0:1], s[18:19], 2
	s_add_u32 s46, s4, s0
	v_lshlrev_b64 v[18:19], 2, v[2:3]
	s_addc_u32 s47, s5, s1
	v_mov_b32_e32 v4, s3
	v_add_co_u32_e32 v20, vcc, s2, v18
	s_cmpk_eq_i32 s36, 0x84
	v_addc_co_u32_e32 v21, vcc, v4, v19, vcc
	s_cselect_b64 s[28:29], -1, 0
	s_ashr_i32 s0, s37, 31
	v_mov_b32_e32 v5, s0
	v_sub_co_u32_e32 v4, vcc, s37, v2
	v_subb_co_u32_e32 v5, vcc, v5, v3, vcc
	v_sub_co_u32_e32 v49, vcc, 0, v0
	s_ashr_i32 s39, s38, 31
	s_lshl_b64 s[30:31], s[12:13], 7
	v_subb_co_u32_e64 v50, s[10:11], 0, 0, vcc
	s_add_u32 s34, s38, -16
	s_mul_i32 s9, s27, s8
	s_mul_hi_u32 s10, s26, s8
	s_addc_u32 s35, s39, -1
	s_add_i32 s9, s10, s9
	s_mul_i32 s8, s26, s8
	s_lshl_b32 s6, s45, 5
	s_lshl_b64 s[8:9], s[8:9], 2
	s_lshl_b64 s[10:11], s[22:23], 2
	v_cmp_gt_i64_e64 s[0:1], 1, v[4:5]
	v_cmp_gt_i64_e64 s[2:3], 17, v[4:5]
	v_mad_u64_u32 v[4:5], s[14:15], s12, v1, 0
	s_add_u32 s8, s8, s10
	s_addc_u32 s10, s9, s11
	v_lshl_add_u32 v7, v1, 2, 64
	s_add_u32 s22, s20, s8
	v_mad_u64_u32 v[24:25], s[8:9], s12, v7, 0
	v_mad_u64_u32 v[5:6], s[8:9], s13, v1, v[5:6]
	v_mov_b32_e32 v6, v25
	v_mad_u64_u32 v[6:7], s[8:9], s13, v7, v[6:7]
	v_cmp_gt_i32_e64 s[4:5], s37, v2
	v_add_u32_e32 v2, 16, v2
	v_lshlrev_b64 v[4:5], 2, v[4:5]
	v_lshlrev_b32_e32 v45, 2, v0
	v_ashrrev_i32_e32 v3, 31, v2
	v_lshlrev_b32_e32 v44, 7, v1
	v_or_b32_e32 v47, 0x1000, v45
	v_add_co_u32_e32 v51, vcc, 64, v4
	v_lshlrev_b64 v[25:26], 2, v[2:3]
	v_mov_b32_e32 v43, 0
	v_add_u32_e32 v46, v44, v45
	v_add_u32_e32 v48, v47, v44
	v_cmp_gt_i32_e64 s[16:17], s37, v2
	v_lshl_add_u32 v22, s7, 5, v1
	s_addc_u32 s23, s21, s10
	v_addc_co_u32_e32 v52, vcc, 0, v5, vcc
	s_lshl_b64 s[26:27], s[24:25], 2
	v_mov_b32_e32 v53, v6
	v_mov_b32_e32 v54, 1.0
	s_movk_i32 s48, 0x80
	s_branch .LBB14_4
.LBB14_3:                               ;   in Loop: Header=BB14_4 Depth=1
	s_or_b64 exec, exec, s[8:9]
	s_add_i32 s7, s45, s7
	s_cmp_le_i32 s7, s44
	v_add_u32_e32 v22, s6, v22
	s_cbranch_scc0 .LBB14_51
.LBB14_4:                               ; =>This Loop Header: Depth=1
                                        ;     Child Loop BB14_7 Depth 2
	s_lshl_b32 s49, s7, 5
	v_add_u32_e32 v27, s49, v1
	v_ashrrev_i32_e32 v28, 31, v27
	s_cmp_lt_i32 s7, 0
	v_mov_b32_e32 v57, 0
	v_mov_b32_e32 v56, 0
	;; [unrolled: 1-line block ×4, first 2 shown]
	s_cbranch_scc1 .LBB14_43
; %bb.5:                                ;   in Loop: Header=BB14_4 Depth=1
	v_ashrrev_i32_e32 v23, 31, v22
	v_lshlrev_b64 v[2:3], 2, v[22:23]
	v_mov_b32_e32 v42, v21
	v_add_co_u32_e32 v4, vcc, 64, v2
	v_addc_co_u32_e32 v2, vcc, 0, v3, vcc
	v_add_co_u32_e32 v33, vcc, v49, v22
	v_mul_lo_u32 v5, s24, v2
	v_mov_b32_e32 v2, s22
	v_addc_co_u32_e32 v34, vcc, v50, v23, vcc
	v_mov_b32_e32 v3, s23
	v_add_co_u32_e32 v35, vcc, 16, v27
	v_mul_lo_u32 v6, s25, v4
	v_mad_u64_u32 v[29:30], s[8:9], s24, v4, v[2:3]
	v_mad_u64_u32 v[31:32], s[8:9], s26, v22, v[2:3]
	v_mul_lo_u32 v2, s27, v22
	v_mul_lo_u32 v3, s26, v23
	v_addc_co_u32_e32 v36, vcc, 0, v28, vcc
	v_add_co_u32_e32 v37, vcc, 16, v33
	v_addc_co_u32_e32 v38, vcc, 0, v34, vcc
	v_cmp_le_i64_e64 s[10:11], s[38:39], v[35:36]
	v_add_co_u32_e32 v39, vcc, -16, v33
	v_add3_u32 v30, v6, v30, v5
	v_add3_u32 v32, v2, v32, v3
	v_cmp_le_i32_e64 s[8:9], s38, v27
	v_addc_co_u32_e32 v40, vcc, -1, v34, vcc
	v_mov_b32_e32 v23, 0
	s_mov_b64 s[36:37], 0
	v_mov_b32_e32 v41, v20
	v_mov_b32_e32 v55, 0
	;; [unrolled: 1-line block ×4, first 2 shown]
	s_branch .LBB14_7
.LBB14_6:                               ;   in Loop: Header=BB14_7 Depth=2
	s_or_b64 exec, exec, s[12:13]
	s_waitcnt lgkmcnt(0)
	s_barrier
	ds_read_b128 v[14:17], v44
	ds_read_b128 v[10:13], v44 offset:16
	ds_read_b128 v[6:9], v44 offset:32
	;; [unrolled: 1-line block ×3, first 2 shown]
	ds_read2_b32 v[62:63], v47 offset1:16
	ds_read_b128 v[58:61], v44 offset:2048
	v_add_co_u32_e32 v29, vcc, s48, v29
	v_addc_co_u32_e32 v30, vcc, 0, v30, vcc
	s_waitcnt lgkmcnt(1)
	v_fmac_f32_e32 v57, v62, v14
	v_fmac_f32_e32 v56, v63, v14
	s_waitcnt lgkmcnt(0)
	v_fmac_f32_e32 v55, v62, v58
	v_fmac_f32_e32 v23, v63, v58
	ds_read2_b32 v[62:63], v47 offset0:32 offset1:48
	v_add_co_u32_e32 v41, vcc, s30, v41
	s_add_u32 s36, s36, 32
	s_addc_u32 s37, s37, 0
	s_waitcnt lgkmcnt(0)
	v_fmac_f32_e32 v57, v62, v15
	v_fmac_f32_e32 v56, v63, v15
	ds_read2_b32 v[14:15], v47 offset0:64 offset1:80
	v_fmac_f32_e32 v55, v62, v59
	v_fmac_f32_e32 v23, v63, v59
	ds_read2_b32 v[58:59], v47 offset0:128 offset1:144
	s_sub_i32 s12, s36, 32
	s_waitcnt lgkmcnt(1)
	v_fmac_f32_e32 v57, v14, v16
	v_fmac_f32_e32 v56, v15, v16
	;; [unrolled: 1-line block ×4, first 2 shown]
	ds_read2_b32 v[14:15], v47 offset0:96 offset1:112
	s_cmp_ge_i32 s12, s49
	s_waitcnt lgkmcnt(0)
	v_fmac_f32_e32 v57, v14, v17
	v_fmac_f32_e32 v56, v15, v17
	;; [unrolled: 1-line block ×4, first 2 shown]
	ds_read_b128 v[14:17], v44 offset:2064
	v_fmac_f32_e32 v57, v58, v10
	v_fmac_f32_e32 v56, v59, v10
	s_waitcnt lgkmcnt(0)
	v_fmac_f32_e32 v55, v58, v14
	v_fmac_f32_e32 v23, v59, v14
	ds_read2_b32 v[58:59], v47 offset0:160 offset1:176
	s_waitcnt lgkmcnt(0)
	v_fmac_f32_e32 v57, v58, v11
	v_fmac_f32_e32 v56, v59, v11
	ds_read2_b32 v[10:11], v47 offset0:192 offset1:208
	v_fmac_f32_e32 v55, v58, v15
	v_fmac_f32_e32 v23, v59, v15
	s_waitcnt lgkmcnt(0)
	v_fmac_f32_e32 v57, v10, v12
	v_fmac_f32_e32 v56, v11, v12
	;; [unrolled: 1-line block ×4, first 2 shown]
	ds_read2_b32 v[10:11], v47 offset0:224 offset1:240
	s_waitcnt lgkmcnt(0)
	v_fmac_f32_e32 v57, v10, v13
	v_fmac_f32_e32 v55, v10, v17
	v_add_u32_e32 v10, 0x400, v47
	v_fmac_f32_e32 v56, v11, v13
	v_fmac_f32_e32 v23, v11, v17
	ds_read2_b32 v[15:16], v10 offset1:16
	ds_read_b128 v[11:14], v44 offset:2080
	s_waitcnt lgkmcnt(1)
	v_fmac_f32_e32 v57, v15, v6
	v_fmac_f32_e32 v56, v16, v6
	s_waitcnt lgkmcnt(0)
	v_fmac_f32_e32 v55, v15, v11
	v_fmac_f32_e32 v23, v16, v11
	ds_read2_b32 v[15:16], v10 offset0:32 offset1:48
	s_waitcnt lgkmcnt(0)
	v_fmac_f32_e32 v57, v15, v7
	v_fmac_f32_e32 v56, v16, v7
	ds_read2_b32 v[6:7], v10 offset0:64 offset1:80
	v_fmac_f32_e32 v55, v15, v12
	v_fmac_f32_e32 v23, v16, v12
	ds_read2_b32 v[11:12], v10 offset0:128 offset1:144
	s_waitcnt lgkmcnt(1)
	v_fmac_f32_e32 v57, v6, v8
	v_fmac_f32_e32 v56, v7, v8
	;; [unrolled: 1-line block ×4, first 2 shown]
	ds_read2_b32 v[6:7], v10 offset0:96 offset1:112
	s_waitcnt lgkmcnt(0)
	v_fmac_f32_e32 v57, v6, v9
	v_fmac_f32_e32 v56, v7, v9
	;; [unrolled: 1-line block ×4, first 2 shown]
	ds_read_b128 v[6:9], v44 offset:2096
	v_fmac_f32_e32 v57, v11, v2
	v_fmac_f32_e32 v56, v12, v2
	s_waitcnt lgkmcnt(0)
	v_fmac_f32_e32 v55, v11, v6
	v_fmac_f32_e32 v23, v12, v6
	ds_read2_b32 v[11:12], v10 offset0:160 offset1:176
	s_waitcnt lgkmcnt(0)
	v_fmac_f32_e32 v57, v11, v3
	v_fmac_f32_e32 v56, v12, v3
	ds_read2_b32 v[2:3], v10 offset0:192 offset1:208
	v_fmac_f32_e32 v55, v11, v7
	v_fmac_f32_e32 v23, v12, v7
	s_waitcnt lgkmcnt(0)
	v_fmac_f32_e32 v57, v2, v4
	v_fmac_f32_e32 v56, v3, v4
	;; [unrolled: 1-line block ×4, first 2 shown]
	ds_read2_b32 v[2:3], v10 offset0:224 offset1:240
	v_add_u32_e32 v10, 0x800, v47
	ds_read2_b32 v[11:12], v10 offset1:16
	s_waitcnt lgkmcnt(1)
	v_fmac_f32_e32 v57, v2, v5
	v_fmac_f32_e32 v56, v3, v5
	;; [unrolled: 1-line block ×4, first 2 shown]
	ds_read_b128 v[2:5], v44 offset:64
	ds_read_b128 v[6:9], v44 offset:2112
	s_waitcnt lgkmcnt(1)
	v_fmac_f32_e32 v57, v11, v2
	v_fmac_f32_e32 v56, v12, v2
	s_waitcnt lgkmcnt(0)
	v_fmac_f32_e32 v55, v11, v6
	v_fmac_f32_e32 v23, v12, v6
	ds_read2_b32 v[11:12], v10 offset0:32 offset1:48
	s_waitcnt lgkmcnt(0)
	v_fmac_f32_e32 v57, v11, v3
	v_fmac_f32_e32 v56, v12, v3
	ds_read2_b32 v[2:3], v10 offset0:64 offset1:80
	v_fmac_f32_e32 v55, v11, v7
	v_fmac_f32_e32 v23, v12, v7
	s_waitcnt lgkmcnt(0)
	v_fmac_f32_e32 v57, v2, v4
	v_fmac_f32_e32 v56, v3, v4
	;; [unrolled: 1-line block ×4, first 2 shown]
	ds_read2_b32 v[2:3], v10 offset0:96 offset1:112
	s_waitcnt lgkmcnt(0)
	v_fmac_f32_e32 v57, v2, v5
	v_fmac_f32_e32 v56, v3, v5
	;; [unrolled: 1-line block ×4, first 2 shown]
	ds_read_b128 v[2:5], v44 offset:80
	ds_read2_b32 v[11:12], v10 offset0:128 offset1:144
	ds_read_b128 v[6:9], v44 offset:2128
	s_waitcnt lgkmcnt(1)
	v_fmac_f32_e32 v57, v11, v2
	v_fmac_f32_e32 v56, v12, v2
	s_waitcnt lgkmcnt(0)
	v_fmac_f32_e32 v55, v11, v6
	v_fmac_f32_e32 v23, v12, v6
	ds_read2_b32 v[11:12], v10 offset0:160 offset1:176
	s_waitcnt lgkmcnt(0)
	v_fmac_f32_e32 v57, v11, v3
	v_fmac_f32_e32 v56, v12, v3
	ds_read2_b32 v[2:3], v10 offset0:192 offset1:208
	v_fmac_f32_e32 v55, v11, v7
	v_fmac_f32_e32 v23, v12, v7
	s_waitcnt lgkmcnt(0)
	v_fmac_f32_e32 v57, v2, v4
	v_fmac_f32_e32 v56, v3, v4
	;; [unrolled: 1-line block ×4, first 2 shown]
	ds_read2_b32 v[2:3], v10 offset0:224 offset1:240
	v_add_u32_e32 v10, 0xc00, v47
	ds_read2_b32 v[11:12], v10 offset1:16
	s_waitcnt lgkmcnt(1)
	v_fmac_f32_e32 v57, v2, v5
	v_fmac_f32_e32 v56, v3, v5
	;; [unrolled: 1-line block ×4, first 2 shown]
	ds_read_b128 v[2:5], v44 offset:96
	ds_read_b128 v[6:9], v44 offset:2144
	s_waitcnt lgkmcnt(1)
	v_fmac_f32_e32 v57, v11, v2
	v_fmac_f32_e32 v56, v12, v2
	s_waitcnt lgkmcnt(0)
	v_fmac_f32_e32 v55, v11, v6
	v_fmac_f32_e32 v23, v12, v6
	ds_read2_b32 v[11:12], v10 offset0:32 offset1:48
	s_waitcnt lgkmcnt(0)
	v_fmac_f32_e32 v57, v11, v3
	v_fmac_f32_e32 v56, v12, v3
	ds_read2_b32 v[2:3], v10 offset0:64 offset1:80
	v_fmac_f32_e32 v55, v11, v7
	v_fmac_f32_e32 v23, v12, v7
	s_waitcnt lgkmcnt(0)
	v_fmac_f32_e32 v57, v2, v4
	v_fmac_f32_e32 v56, v3, v4
	;; [unrolled: 1-line block ×4, first 2 shown]
	ds_read2_b32 v[2:3], v10 offset0:96 offset1:112
	s_waitcnt lgkmcnt(0)
	v_fmac_f32_e32 v57, v2, v5
	v_fmac_f32_e32 v56, v3, v5
	;; [unrolled: 1-line block ×4, first 2 shown]
	ds_read_b128 v[2:5], v44 offset:112
	ds_read2_b32 v[11:12], v10 offset0:128 offset1:144
	ds_read_b128 v[6:9], v44 offset:2160
	s_waitcnt lgkmcnt(1)
	v_fmac_f32_e32 v57, v11, v2
	v_fmac_f32_e32 v56, v12, v2
	s_waitcnt lgkmcnt(0)
	v_fmac_f32_e32 v55, v11, v6
	v_fmac_f32_e32 v23, v12, v6
	ds_read2_b32 v[11:12], v10 offset0:160 offset1:176
	s_waitcnt lgkmcnt(0)
	v_fmac_f32_e32 v57, v11, v3
	v_fmac_f32_e32 v56, v12, v3
	ds_read2_b32 v[2:3], v10 offset0:192 offset1:208
	v_fmac_f32_e32 v55, v11, v7
	v_fmac_f32_e32 v23, v12, v7
	s_waitcnt lgkmcnt(0)
	v_fmac_f32_e32 v57, v2, v4
	v_fmac_f32_e32 v56, v3, v4
	;; [unrolled: 1-line block ×4, first 2 shown]
	ds_read2_b32 v[2:3], v10 offset0:224 offset1:240
	s_waitcnt lgkmcnt(0)
	s_barrier
	v_fmac_f32_e32 v57, v2, v5
	v_fmac_f32_e32 v55, v2, v9
	v_mov_b32_e32 v2, s31
	v_addc_co_u32_e32 v42, vcc, v42, v2, vcc
	v_add_co_u32_e32 v31, vcc, 0x80, v31
	v_fmac_f32_e32 v56, v3, v5
	v_fmac_f32_e32 v23, v3, v9
	v_addc_co_u32_e32 v32, vcc, 0, v32, vcc
	s_cbranch_scc1 .LBB14_43
.LBB14_7:                               ;   Parent Loop BB14_4 Depth=1
                                        ; =>  This Inner Loop Header: Depth=2
	v_mov_b32_e32 v3, s37
	v_add_co_u32_e32 v2, vcc, s36, v0
	v_addc_co_u32_e32 v3, vcc, 0, v3, vcc
	v_cmp_eq_u64_e32 vcc, s[36:37], v[33:34]
	v_add_co_u32_e64 v4, s[12:13], v31, v45
	s_and_b64 s[42:43], s[28:29], vcc
	v_cmp_gt_i64_e32 vcc, v[2:3], v[27:28]
	v_addc_co_u32_e64 v5, s[12:13], 0, v32, s[12:13]
	v_cmp_le_i64_e64 s[12:13], s[38:39], v[2:3]
	s_or_b64 s[14:15], s[8:9], vcc
	s_or_b64 s[14:15], s[14:15], s[42:43]
	s_nor_b64 s[14:15], s[12:13], s[14:15]
                                        ; implicit-def: $vgpr6
	s_and_saveexec_b64 s[18:19], s[14:15]
	s_xor_b64 s[14:15], exec, s[18:19]
	s_cbranch_execz .LBB14_9
; %bb.8:                                ;   in Loop: Header=BB14_7 Depth=2
	global_load_dword v6, v[4:5], off
.LBB14_9:                               ;   in Loop: Header=BB14_7 Depth=2
	s_andn2_saveexec_b64 s[14:15], s[14:15]
	s_cbranch_execz .LBB14_11
; %bb.10:                               ;   in Loop: Header=BB14_7 Depth=2
	s_waitcnt vmcnt(0)
	v_cndmask_b32_e64 v6, 0, 1.0, s[42:43]
.LBB14_11:                              ;   in Loop: Header=BB14_7 Depth=2
	s_or_b64 exec, exec, s[14:15]
	s_waitcnt vmcnt(0)
	ds_write_b32 v46, v6
	v_add_co_u32_e64 v6, s[18:19], 16, v2
	v_addc_co_u32_e64 v7, s[18:19], 0, v3, s[18:19]
	v_cmp_eq_u64_e64 s[14:15], s[36:37], v[39:40]
	v_cmp_gt_i64_e64 s[18:19], v[6:7], v[27:28]
	s_and_b64 s[20:21], s[28:29], s[14:15]
	v_cmp_le_i64_e64 s[14:15], s[38:39], v[6:7]
	s_or_b64 s[18:19], s[8:9], s[18:19]
	s_or_b64 s[18:19], s[18:19], s[20:21]
	s_nor_b64 s[18:19], s[14:15], s[18:19]
	s_and_saveexec_b64 s[50:51], s[18:19]
	s_xor_b64 s[18:19], exec, s[50:51]
	s_cbranch_execz .LBB14_13
; %bb.12:                               ;   in Loop: Header=BB14_7 Depth=2
	global_load_dword v4, v[4:5], off offset:64
	s_waitcnt vmcnt(0)
	ds_write_b32 v46, v4 offset:64
.LBB14_13:                              ;   in Loop: Header=BB14_7 Depth=2
	s_andn2_saveexec_b64 s[18:19], s[18:19]
	s_cbranch_execz .LBB14_19
; %bb.14:                               ;   in Loop: Header=BB14_7 Depth=2
	s_xor_b64 s[20:21], s[20:21], -1
	s_and_saveexec_b64 s[50:51], s[20:21]
	s_xor_b64 s[20:21], exec, s[50:51]
; %bb.15:                               ;   in Loop: Header=BB14_7 Depth=2
	ds_write_b32 v46, v43 offset:64
; %bb.16:                               ;   in Loop: Header=BB14_7 Depth=2
	s_andn2_saveexec_b64 s[20:21], s[20:21]
; %bb.17:                               ;   in Loop: Header=BB14_7 Depth=2
	ds_write_b32 v46, v54 offset:64
; %bb.18:                               ;   in Loop: Header=BB14_7 Depth=2
	s_or_b64 exec, exec, s[20:21]
.LBB14_19:                              ;   in Loop: Header=BB14_7 Depth=2
	s_or_b64 exec, exec, s[18:19]
	v_add_co_u32_e64 v4, s[18:19], v29, v45
	v_addc_co_u32_e64 v5, s[18:19], 0, v30, s[18:19]
	v_cmp_eq_u64_e64 s[18:19], s[36:37], v[37:38]
	v_cmp_gt_i64_e64 s[20:21], v[2:3], v[35:36]
	s_and_b64 s[18:19], s[28:29], s[18:19]
	s_or_b64 s[20:21], s[10:11], s[20:21]
	s_or_b64 s[20:21], s[20:21], s[18:19]
	s_nor_b64 s[12:13], s[12:13], s[20:21]
                                        ; implicit-def: $vgpr2
	s_and_saveexec_b64 s[20:21], s[12:13]
	s_xor_b64 s[12:13], exec, s[20:21]
	s_cbranch_execz .LBB14_21
; %bb.20:                               ;   in Loop: Header=BB14_7 Depth=2
	global_load_dword v2, v[4:5], off
.LBB14_21:                              ;   in Loop: Header=BB14_7 Depth=2
	s_andn2_saveexec_b64 s[12:13], s[12:13]
	s_cbranch_execz .LBB14_23
; %bb.22:                               ;   in Loop: Header=BB14_7 Depth=2
	s_waitcnt vmcnt(0)
	v_cndmask_b32_e64 v2, 0, 1.0, s[18:19]
.LBB14_23:                              ;   in Loop: Header=BB14_7 Depth=2
	s_or_b64 exec, exec, s[12:13]
	s_or_b64 s[12:13], s[10:11], vcc
	s_or_b64 s[12:13], s[12:13], s[42:43]
	s_nor_b64 s[12:13], s[14:15], s[12:13]
	s_waitcnt vmcnt(0)
	ds_write_b32 v46, v2 offset:2048
	s_and_saveexec_b64 s[14:15], s[12:13]
	s_xor_b64 s[12:13], exec, s[14:15]
	s_cbranch_execz .LBB14_25
; %bb.24:                               ;   in Loop: Header=BB14_7 Depth=2
	global_load_dword v2, v[4:5], off offset:64
	s_waitcnt vmcnt(0)
	ds_write_b32 v46, v2 offset:2112
.LBB14_25:                              ;   in Loop: Header=BB14_7 Depth=2
	s_andn2_saveexec_b64 s[12:13], s[12:13]
	s_cbranch_execz .LBB14_31
; %bb.26:                               ;   in Loop: Header=BB14_7 Depth=2
	s_xor_b64 s[14:15], s[42:43], -1
	s_and_saveexec_b64 s[18:19], s[14:15]
	s_xor_b64 s[14:15], exec, s[18:19]
; %bb.27:                               ;   in Loop: Header=BB14_7 Depth=2
	ds_write_b32 v46, v43 offset:2112
; %bb.28:                               ;   in Loop: Header=BB14_7 Depth=2
	s_andn2_saveexec_b64 s[14:15], s[14:15]
; %bb.29:                               ;   in Loop: Header=BB14_7 Depth=2
	ds_write_b32 v46, v54 offset:2112
; %bb.30:                               ;   in Loop: Header=BB14_7 Depth=2
	s_or_b64 exec, exec, s[14:15]
.LBB14_31:                              ;   in Loop: Header=BB14_7 Depth=2
	s_or_b64 exec, exec, s[12:13]
	v_mov_b32_e32 v3, s37
	v_add_co_u32_e32 v2, vcc, s36, v1
	v_addc_co_u32_e32 v3, vcc, 0, v3, vcc
	v_cmp_le_i64_e32 vcc, s[38:39], v[2:3]
	v_add_co_u32_e64 v4, s[12:13], v41, v51
	v_addc_co_u32_e64 v5, s[12:13], v42, v52, s[12:13]
	s_nor_b64 s[14:15], vcc, s[0:1]
	v_mov_b32_e32 v6, 0
	s_and_saveexec_b64 s[12:13], s[14:15]
	s_cbranch_execz .LBB14_33
; %bb.32:                               ;   in Loop: Header=BB14_7 Depth=2
	global_load_dword v6, v[4:5], off offset:-64
.LBB14_33:                              ;   in Loop: Header=BB14_7 Depth=2
	s_or_b64 exec, exec, s[12:13]
	s_nor_b64 s[12:13], vcc, s[2:3]
	s_waitcnt vmcnt(0)
	ds_write_b32 v48, v6
	s_and_saveexec_b64 s[14:15], s[12:13]
	s_xor_b64 s[12:13], exec, s[14:15]
	s_cbranch_execz .LBB14_35
; %bb.34:                               ;   in Loop: Header=BB14_7 Depth=2
	global_load_dword v4, v[4:5], off
	s_waitcnt vmcnt(0)
	ds_write_b32 v48, v4 offset:64
.LBB14_35:                              ;   in Loop: Header=BB14_7 Depth=2
	s_andn2_saveexec_b64 s[12:13], s[12:13]
; %bb.36:                               ;   in Loop: Header=BB14_7 Depth=2
	ds_write_b32 v48, v43 offset:64
; %bb.37:                               ;   in Loop: Header=BB14_7 Depth=2
	s_or_b64 exec, exec, s[12:13]
	v_cmp_le_i64_e32 vcc, s[34:35], v[2:3]
	v_add_co_u32_e64 v2, s[12:13], v41, v24
	v_addc_co_u32_e64 v3, s[12:13], v42, v53, s[12:13]
	s_nor_b64 s[14:15], vcc, s[0:1]
	v_mov_b32_e32 v4, 0
	s_and_saveexec_b64 s[12:13], s[14:15]
	s_cbranch_execz .LBB14_39
; %bb.38:                               ;   in Loop: Header=BB14_7 Depth=2
	global_load_dword v4, v[2:3], off
.LBB14_39:                              ;   in Loop: Header=BB14_7 Depth=2
	s_or_b64 exec, exec, s[12:13]
	s_nor_b64 s[12:13], vcc, s[2:3]
	s_waitcnt vmcnt(0)
	ds_write_b32 v48, v4 offset:2048
	s_and_saveexec_b64 s[14:15], s[12:13]
	s_xor_b64 s[12:13], exec, s[14:15]
	s_cbranch_execz .LBB14_41
; %bb.40:                               ;   in Loop: Header=BB14_7 Depth=2
	global_load_dword v2, v[2:3], off offset:64
	s_waitcnt vmcnt(0)
	ds_write_b32 v48, v2 offset:2112
.LBB14_41:                              ;   in Loop: Header=BB14_7 Depth=2
	s_andn2_saveexec_b64 s[12:13], s[12:13]
	s_cbranch_execz .LBB14_6
; %bb.42:                               ;   in Loop: Header=BB14_7 Depth=2
	ds_write_b32 v48, v43 offset:2112
	s_branch .LBB14_6
.LBB14_43:                              ;   in Loop: Header=BB14_4 Depth=1
	v_mul_lo_u32 v4, s41, v27
	v_mul_lo_u32 v5, s40, v28
	v_mad_u64_u32 v[2:3], s[8:9], s40, v27, 0
	v_cmp_gt_i32_e32 vcc, s38, v27
	v_add3_u32 v3, v3, v5, v4
	v_lshlrev_b64 v[2:3], 2, v[2:3]
	v_mov_b32_e32 v4, s47
	v_add_co_u32_e64 v2, s[8:9], s46, v2
	v_addc_co_u32_e64 v3, s[8:9], v4, v3, s[8:9]
	s_and_b64 s[8:9], s[4:5], vcc
	s_and_saveexec_b64 s[10:11], s[8:9]
	s_cbranch_execz .LBB14_45
; %bb.44:                               ;   in Loop: Header=BB14_4 Depth=1
	v_add_co_u32_e64 v4, s[8:9], v2, v18
	v_addc_co_u32_e64 v5, s[8:9], v3, v19, s[8:9]
	global_load_dword v6, v[4:5], off
	s_waitcnt vmcnt(0)
	v_fmac_f32_e32 v6, s33, v57
	global_store_dword v[4:5], v6, off
.LBB14_45:                              ;   in Loop: Header=BB14_4 Depth=1
	s_or_b64 exec, exec, s[10:11]
	s_and_b64 s[10:11], s[16:17], vcc
	s_and_saveexec_b64 s[8:9], s[10:11]
	s_cbranch_execz .LBB14_47
; %bb.46:                               ;   in Loop: Header=BB14_4 Depth=1
	v_add_co_u32_e32 v2, vcc, v2, v25
	v_addc_co_u32_e32 v3, vcc, v3, v26, vcc
	global_load_dword v4, v[2:3], off
	s_waitcnt vmcnt(0)
	v_fmac_f32_e32 v4, s33, v56
	global_store_dword v[2:3], v4, off
.LBB14_47:                              ;   in Loop: Header=BB14_4 Depth=1
	s_or_b64 exec, exec, s[8:9]
	v_add_u32_e32 v4, 16, v27
	v_ashrrev_i32_e32 v2, 31, v4
	v_mul_lo_u32 v5, s40, v2
	v_mul_lo_u32 v6, s41, v4
	v_mad_u64_u32 v[2:3], s[8:9], s40, v4, 0
	v_cmp_gt_i32_e32 vcc, s38, v4
	v_mov_b32_e32 v4, s47
	v_add3_u32 v3, v3, v5, v6
	v_lshlrev_b64 v[2:3], 2, v[2:3]
	v_add_co_u32_e64 v2, s[8:9], s46, v2
	v_addc_co_u32_e64 v3, s[8:9], v4, v3, s[8:9]
	s_and_b64 s[8:9], s[4:5], vcc
	s_and_saveexec_b64 s[10:11], s[8:9]
	s_cbranch_execz .LBB14_49
; %bb.48:                               ;   in Loop: Header=BB14_4 Depth=1
	v_add_co_u32_e64 v4, s[8:9], v2, v18
	v_addc_co_u32_e64 v5, s[8:9], v3, v19, s[8:9]
	global_load_dword v6, v[4:5], off
	s_waitcnt vmcnt(0)
	v_fmac_f32_e32 v6, s33, v55
	global_store_dword v[4:5], v6, off
.LBB14_49:                              ;   in Loop: Header=BB14_4 Depth=1
	s_or_b64 exec, exec, s[10:11]
	s_and_b64 s[10:11], s[16:17], vcc
	s_and_saveexec_b64 s[8:9], s[10:11]
	s_cbranch_execz .LBB14_3
; %bb.50:                               ;   in Loop: Header=BB14_4 Depth=1
	v_add_co_u32_e32 v2, vcc, v2, v25
	v_addc_co_u32_e32 v3, vcc, v3, v26, vcc
	global_load_dword v4, v[2:3], off
	s_waitcnt vmcnt(0)
	v_fmac_f32_e32 v4, s33, v23
	global_store_dword v[2:3], v4, off
	s_branch .LBB14_3
.LBB14_51:
	s_endpgm
	.section	.rodata,"a",@progbits
	.p2align	6, 0x0
	.amdhsa_kernel _ZL30rocblas_trmm_outofplace_kernelIfLi32ELi2ELb0ELb1ELb0ELb0EPKfS0_fEv17rocblas_diagonal_iiT6_lPT7_lllS5_lllPT8_llli
		.amdhsa_group_segment_fixed_size 8192
		.amdhsa_private_segment_fixed_size 0
		.amdhsa_kernarg_size 392
		.amdhsa_user_sgpr_count 6
		.amdhsa_user_sgpr_private_segment_buffer 1
		.amdhsa_user_sgpr_dispatch_ptr 0
		.amdhsa_user_sgpr_queue_ptr 0
		.amdhsa_user_sgpr_kernarg_segment_ptr 1
		.amdhsa_user_sgpr_dispatch_id 0
		.amdhsa_user_sgpr_flat_scratch_init 0
		.amdhsa_user_sgpr_private_segment_size 0
		.amdhsa_uses_dynamic_stack 0
		.amdhsa_system_sgpr_private_segment_wavefront_offset 0
		.amdhsa_system_sgpr_workgroup_id_x 1
		.amdhsa_system_sgpr_workgroup_id_y 1
		.amdhsa_system_sgpr_workgroup_id_z 1
		.amdhsa_system_sgpr_workgroup_info 0
		.amdhsa_system_vgpr_workitem_id 1
		.amdhsa_next_free_vgpr 64
		.amdhsa_next_free_sgpr 61
		.amdhsa_reserve_vcc 1
		.amdhsa_reserve_flat_scratch 0
		.amdhsa_float_round_mode_32 0
		.amdhsa_float_round_mode_16_64 0
		.amdhsa_float_denorm_mode_32 3
		.amdhsa_float_denorm_mode_16_64 3
		.amdhsa_dx10_clamp 1
		.amdhsa_ieee_mode 1
		.amdhsa_fp16_overflow 0
		.amdhsa_exception_fp_ieee_invalid_op 0
		.amdhsa_exception_fp_denorm_src 0
		.amdhsa_exception_fp_ieee_div_zero 0
		.amdhsa_exception_fp_ieee_overflow 0
		.amdhsa_exception_fp_ieee_underflow 0
		.amdhsa_exception_fp_ieee_inexact 0
		.amdhsa_exception_int_div_zero 0
	.end_amdhsa_kernel
	.section	.text._ZL30rocblas_trmm_outofplace_kernelIfLi32ELi2ELb0ELb1ELb0ELb0EPKfS0_fEv17rocblas_diagonal_iiT6_lPT7_lllS5_lllPT8_llli,"axG",@progbits,_ZL30rocblas_trmm_outofplace_kernelIfLi32ELi2ELb0ELb1ELb0ELb0EPKfS0_fEv17rocblas_diagonal_iiT6_lPT7_lllS5_lllPT8_llli,comdat
.Lfunc_end14:
	.size	_ZL30rocblas_trmm_outofplace_kernelIfLi32ELi2ELb0ELb1ELb0ELb0EPKfS0_fEv17rocblas_diagonal_iiT6_lPT7_lllS5_lllPT8_llli, .Lfunc_end14-_ZL30rocblas_trmm_outofplace_kernelIfLi32ELi2ELb0ELb1ELb0ELb0EPKfS0_fEv17rocblas_diagonal_iiT6_lPT7_lllS5_lllPT8_llli
                                        ; -- End function
	.set _ZL30rocblas_trmm_outofplace_kernelIfLi32ELi2ELb0ELb1ELb0ELb0EPKfS0_fEv17rocblas_diagonal_iiT6_lPT7_lllS5_lllPT8_llli.num_vgpr, 64
	.set _ZL30rocblas_trmm_outofplace_kernelIfLi32ELi2ELb0ELb1ELb0ELb0EPKfS0_fEv17rocblas_diagonal_iiT6_lPT7_lllS5_lllPT8_llli.num_agpr, 0
	.set _ZL30rocblas_trmm_outofplace_kernelIfLi32ELi2ELb0ELb1ELb0ELb0EPKfS0_fEv17rocblas_diagonal_iiT6_lPT7_lllS5_lllPT8_llli.numbered_sgpr, 52
	.set _ZL30rocblas_trmm_outofplace_kernelIfLi32ELi2ELb0ELb1ELb0ELb0EPKfS0_fEv17rocblas_diagonal_iiT6_lPT7_lllS5_lllPT8_llli.num_named_barrier, 0
	.set _ZL30rocblas_trmm_outofplace_kernelIfLi32ELi2ELb0ELb1ELb0ELb0EPKfS0_fEv17rocblas_diagonal_iiT6_lPT7_lllS5_lllPT8_llli.private_seg_size, 0
	.set _ZL30rocblas_trmm_outofplace_kernelIfLi32ELi2ELb0ELb1ELb0ELb0EPKfS0_fEv17rocblas_diagonal_iiT6_lPT7_lllS5_lllPT8_llli.uses_vcc, 1
	.set _ZL30rocblas_trmm_outofplace_kernelIfLi32ELi2ELb0ELb1ELb0ELb0EPKfS0_fEv17rocblas_diagonal_iiT6_lPT7_lllS5_lllPT8_llli.uses_flat_scratch, 0
	.set _ZL30rocblas_trmm_outofplace_kernelIfLi32ELi2ELb0ELb1ELb0ELb0EPKfS0_fEv17rocblas_diagonal_iiT6_lPT7_lllS5_lllPT8_llli.has_dyn_sized_stack, 0
	.set _ZL30rocblas_trmm_outofplace_kernelIfLi32ELi2ELb0ELb1ELb0ELb0EPKfS0_fEv17rocblas_diagonal_iiT6_lPT7_lllS5_lllPT8_llli.has_recursion, 0
	.set _ZL30rocblas_trmm_outofplace_kernelIfLi32ELi2ELb0ELb1ELb0ELb0EPKfS0_fEv17rocblas_diagonal_iiT6_lPT7_lllS5_lllPT8_llli.has_indirect_call, 0
	.section	.AMDGPU.csdata,"",@progbits
; Kernel info:
; codeLenInByte = 2912
; TotalNumSgprs: 56
; NumVgprs: 64
; ScratchSize: 0
; MemoryBound: 0
; FloatMode: 240
; IeeeMode: 1
; LDSByteSize: 8192 bytes/workgroup (compile time only)
; SGPRBlocks: 8
; VGPRBlocks: 15
; NumSGPRsForWavesPerEU: 65
; NumVGPRsForWavesPerEU: 64
; Occupancy: 4
; WaveLimiterHint : 0
; COMPUTE_PGM_RSRC2:SCRATCH_EN: 0
; COMPUTE_PGM_RSRC2:USER_SGPR: 6
; COMPUTE_PGM_RSRC2:TRAP_HANDLER: 0
; COMPUTE_PGM_RSRC2:TGID_X_EN: 1
; COMPUTE_PGM_RSRC2:TGID_Y_EN: 1
; COMPUTE_PGM_RSRC2:TGID_Z_EN: 1
; COMPUTE_PGM_RSRC2:TIDIG_COMP_CNT: 1
	.section	.text._ZL30rocblas_trmm_outofplace_kernelIfLi32ELi2ELb0ELb1ELb0ELb0EfKffEv17rocblas_diagonal_iiT6_lPT7_lllS4_lllPT8_llli,"axG",@progbits,_ZL30rocblas_trmm_outofplace_kernelIfLi32ELi2ELb0ELb1ELb0ELb0EfKffEv17rocblas_diagonal_iiT6_lPT7_lllS4_lllPT8_llli,comdat
	.globl	_ZL30rocblas_trmm_outofplace_kernelIfLi32ELi2ELb0ELb1ELb0ELb0EfKffEv17rocblas_diagonal_iiT6_lPT7_lllS4_lllPT8_llli ; -- Begin function _ZL30rocblas_trmm_outofplace_kernelIfLi32ELi2ELb0ELb1ELb0ELb0EfKffEv17rocblas_diagonal_iiT6_lPT7_lllS4_lllPT8_llli
	.p2align	8
	.type	_ZL30rocblas_trmm_outofplace_kernelIfLi32ELi2ELb0ELb1ELb0ELb0EfKffEv17rocblas_diagonal_iiT6_lPT7_lllS4_lllPT8_llli,@function
_ZL30rocblas_trmm_outofplace_kernelIfLi32ELi2ELb0ELb1ELb0ELb0EfKffEv17rocblas_diagonal_iiT6_lPT7_lllS4_lllPT8_llli: ; @_ZL30rocblas_trmm_outofplace_kernelIfLi32ELi2ELb0ELb1ELb0ELb0EfKffEv17rocblas_diagonal_iiT6_lPT7_lllS4_lllPT8_llli
; %bb.0:
	s_load_dwordx4 s[28:31], s[4:5], 0x0
	s_waitcnt lgkmcnt(0)
	v_cmp_eq_f32_e64 s[0:1], s31, 0
	s_and_b64 vcc, exec, s[0:1]
	s_cbranch_vccnz .LBB15_51
; %bb.1:
	s_add_i32 s0, s30, -1
	s_ashr_i32 s1, s0, 31
	s_lshr_b32 s1, s1, 27
	s_add_i32 s0, s0, s1
	s_ashr_i32 s33, s0, 5
	s_cmp_gt_i32 s7, s33
	s_cbranch_scc1 .LBB15_51
; %bb.2:
	s_load_dwordx16 s[36:51], s[4:5], 0x18
	s_load_dwordx8 s[20:27], s[4:5], 0x58
	v_lshl_add_u32 v2, s6, 5, v0
	v_ashrrev_i32_e32 v3, 31, v2
	v_lshlrev_b64 v[18:19], 2, v[2:3]
	s_waitcnt lgkmcnt(0)
	s_mul_i32 s1, s51, s8
	s_mul_hi_u32 s2, s50, s8
	s_mul_i32 s0, s50, s8
	s_add_i32 s1, s2, s1
	s_lshl_b64 s[0:1], s[0:1], 2
	s_add_u32 s2, s44, s0
	s_addc_u32 s3, s45, s1
	s_lshl_b64 s[0:1], s[46:47], 2
	s_add_u32 s2, s2, s0
	s_addc_u32 s3, s3, s1
	s_mul_i32 s0, s27, s8
	s_mul_hi_u32 s1, s26, s8
	s_add_i32 s1, s1, s0
	s_mul_i32 s0, s26, s8
	s_lshl_b64 s[0:1], s[0:1], 2
	s_add_u32 s9, s20, s0
	s_addc_u32 s10, s21, s1
	s_lshl_b64 s[0:1], s[22:23], 2
	s_add_u32 s46, s9, s0
	s_addc_u32 s47, s10, s1
	v_mov_b32_e32 v4, s3
	v_add_co_u32_e32 v20, vcc, s2, v18
	s_cmpk_eq_i32 s28, 0x84
	v_addc_co_u32_e32 v21, vcc, v4, v19, vcc
	s_cselect_b64 s[22:23], -1, 0
	s_ashr_i32 s0, s29, 31
	v_mov_b32_e32 v5, s0
	v_sub_co_u32_e32 v4, vcc, s29, v2
	v_subb_co_u32_e32 v5, vcc, v5, v3, vcc
	s_load_dword s6, s[4:5], 0x84
	v_sub_co_u32_e32 v49, vcc, 0, v0
	s_ashr_i32 s27, s30, 31
	s_lshl_b64 s[34:35], s[48:49], 7
	v_subb_co_u32_e64 v50, s[10:11], 0, 0, vcc
	s_add_u32 s44, s30, -16
	s_mul_i32 s9, s43, s8
	s_mul_hi_u32 s10, s42, s8
	s_addc_u32 s45, s27, -1
	s_add_i32 s9, s10, s9
	s_mul_i32 s8, s42, s8
	s_waitcnt lgkmcnt(0)
	s_lshl_b32 s50, s6, 5
	s_lshl_b64 s[8:9], s[8:9], 2
	s_lshl_b64 s[10:11], s[38:39], 2
	v_cmp_gt_i64_e64 s[0:1], 1, v[4:5]
	v_cmp_gt_i64_e64 s[2:3], 17, v[4:5]
	v_mad_u64_u32 v[4:5], s[12:13], s48, v1, 0
	s_add_u32 s8, s8, s10
	s_addc_u32 s10, s9, s11
	v_lshl_add_u32 v7, v1, 2, 64
	s_add_u32 s28, s36, s8
	v_mad_u64_u32 v[24:25], s[8:9], s48, v7, 0
	v_mad_u64_u32 v[5:6], s[8:9], s49, v1, v[5:6]
	v_mov_b32_e32 v6, v25
	v_mad_u64_u32 v[6:7], s[8:9], s49, v7, v[6:7]
	v_cmp_gt_i32_e64 s[4:5], s29, v2
	v_add_u32_e32 v2, 16, v2
	v_lshlrev_b64 v[4:5], 2, v[4:5]
	v_lshlrev_b32_e32 v45, 2, v0
	v_ashrrev_i32_e32 v3, 31, v2
	v_lshlrev_b32_e32 v44, 7, v1
	v_or_b32_e32 v47, 0x1000, v45
	v_add_co_u32_e32 v51, vcc, 64, v4
	v_lshlrev_b64 v[25:26], 2, v[2:3]
	v_mov_b32_e32 v43, 0
	s_mov_b32 s26, s30
	v_add_u32_e32 v46, v44, v45
	v_add_u32_e32 v48, v47, v44
	v_cmp_gt_i32_e64 s[16:17], s29, v2
	v_lshl_add_u32 v22, s7, 5, v1
	s_addc_u32 s29, s37, s10
	v_addc_co_u32_e32 v52, vcc, 0, v5, vcc
	s_lshl_b64 s[36:37], s[40:41], 2
	v_mov_b32_e32 v53, v6
	v_mov_b32_e32 v54, 1.0
	s_movk_i32 s48, 0x80
	s_branch .LBB15_4
.LBB15_3:                               ;   in Loop: Header=BB15_4 Depth=1
	s_or_b64 exec, exec, s[8:9]
	s_add_i32 s7, s6, s7
	s_cmp_le_i32 s7, s33
	v_add_u32_e32 v22, s50, v22
	s_cbranch_scc0 .LBB15_51
.LBB15_4:                               ; =>This Loop Header: Depth=1
                                        ;     Child Loop BB15_7 Depth 2
	s_lshl_b32 s49, s7, 5
	v_add_u32_e32 v27, s49, v1
	v_ashrrev_i32_e32 v28, 31, v27
	s_cmp_lt_i32 s7, 0
	v_mov_b32_e32 v57, 0
	v_mov_b32_e32 v56, 0
	;; [unrolled: 1-line block ×4, first 2 shown]
	s_cbranch_scc1 .LBB15_43
; %bb.5:                                ;   in Loop: Header=BB15_4 Depth=1
	v_ashrrev_i32_e32 v23, 31, v22
	v_lshlrev_b64 v[2:3], 2, v[22:23]
	v_mov_b32_e32 v42, v21
	v_add_co_u32_e32 v4, vcc, 64, v2
	v_addc_co_u32_e32 v2, vcc, 0, v3, vcc
	v_add_co_u32_e32 v33, vcc, v49, v22
	v_mul_lo_u32 v5, s40, v2
	v_mov_b32_e32 v2, s28
	v_addc_co_u32_e32 v34, vcc, v50, v23, vcc
	v_mov_b32_e32 v3, s29
	v_add_co_u32_e32 v35, vcc, 16, v27
	v_mul_lo_u32 v6, s41, v4
	v_mad_u64_u32 v[29:30], s[8:9], s40, v4, v[2:3]
	v_mad_u64_u32 v[31:32], s[8:9], s36, v22, v[2:3]
	v_mul_lo_u32 v2, s37, v22
	v_mul_lo_u32 v3, s36, v23
	v_addc_co_u32_e32 v36, vcc, 0, v28, vcc
	v_add_co_u32_e32 v37, vcc, 16, v33
	v_addc_co_u32_e32 v38, vcc, 0, v34, vcc
	v_cmp_le_i64_e64 s[10:11], s[26:27], v[35:36]
	v_add_co_u32_e32 v39, vcc, -16, v33
	v_add3_u32 v30, v6, v30, v5
	v_add3_u32 v32, v2, v32, v3
	v_cmp_le_i32_e64 s[8:9], s30, v27
	v_addc_co_u32_e32 v40, vcc, -1, v34, vcc
	v_mov_b32_e32 v23, 0
	s_mov_b64 s[38:39], 0
	v_mov_b32_e32 v41, v20
	v_mov_b32_e32 v55, 0
	;; [unrolled: 1-line block ×4, first 2 shown]
	s_branch .LBB15_7
.LBB15_6:                               ;   in Loop: Header=BB15_7 Depth=2
	s_or_b64 exec, exec, s[12:13]
	s_waitcnt lgkmcnt(0)
	s_barrier
	ds_read_b128 v[14:17], v44
	ds_read_b128 v[10:13], v44 offset:16
	ds_read_b128 v[6:9], v44 offset:32
	;; [unrolled: 1-line block ×3, first 2 shown]
	ds_read2_b32 v[62:63], v47 offset1:16
	ds_read_b128 v[58:61], v44 offset:2048
	v_add_co_u32_e32 v29, vcc, s48, v29
	v_addc_co_u32_e32 v30, vcc, 0, v30, vcc
	s_waitcnt lgkmcnt(1)
	v_fmac_f32_e32 v57, v62, v14
	v_fmac_f32_e32 v56, v63, v14
	s_waitcnt lgkmcnt(0)
	v_fmac_f32_e32 v55, v62, v58
	v_fmac_f32_e32 v23, v63, v58
	ds_read2_b32 v[62:63], v47 offset0:32 offset1:48
	v_add_co_u32_e32 v41, vcc, s34, v41
	s_add_u32 s38, s38, 32
	s_addc_u32 s39, s39, 0
	s_waitcnt lgkmcnt(0)
	v_fmac_f32_e32 v57, v62, v15
	v_fmac_f32_e32 v56, v63, v15
	ds_read2_b32 v[14:15], v47 offset0:64 offset1:80
	v_fmac_f32_e32 v55, v62, v59
	v_fmac_f32_e32 v23, v63, v59
	ds_read2_b32 v[58:59], v47 offset0:128 offset1:144
	s_sub_i32 s12, s38, 32
	s_waitcnt lgkmcnt(1)
	v_fmac_f32_e32 v57, v14, v16
	v_fmac_f32_e32 v56, v15, v16
	;; [unrolled: 1-line block ×4, first 2 shown]
	ds_read2_b32 v[14:15], v47 offset0:96 offset1:112
	s_cmp_ge_i32 s12, s49
	s_waitcnt lgkmcnt(0)
	v_fmac_f32_e32 v57, v14, v17
	v_fmac_f32_e32 v56, v15, v17
	;; [unrolled: 1-line block ×4, first 2 shown]
	ds_read_b128 v[14:17], v44 offset:2064
	v_fmac_f32_e32 v57, v58, v10
	v_fmac_f32_e32 v56, v59, v10
	s_waitcnt lgkmcnt(0)
	v_fmac_f32_e32 v55, v58, v14
	v_fmac_f32_e32 v23, v59, v14
	ds_read2_b32 v[58:59], v47 offset0:160 offset1:176
	s_waitcnt lgkmcnt(0)
	v_fmac_f32_e32 v57, v58, v11
	v_fmac_f32_e32 v56, v59, v11
	ds_read2_b32 v[10:11], v47 offset0:192 offset1:208
	v_fmac_f32_e32 v55, v58, v15
	v_fmac_f32_e32 v23, v59, v15
	s_waitcnt lgkmcnt(0)
	v_fmac_f32_e32 v57, v10, v12
	v_fmac_f32_e32 v56, v11, v12
	;; [unrolled: 1-line block ×4, first 2 shown]
	ds_read2_b32 v[10:11], v47 offset0:224 offset1:240
	s_waitcnt lgkmcnt(0)
	v_fmac_f32_e32 v57, v10, v13
	v_fmac_f32_e32 v55, v10, v17
	v_add_u32_e32 v10, 0x400, v47
	v_fmac_f32_e32 v56, v11, v13
	v_fmac_f32_e32 v23, v11, v17
	ds_read2_b32 v[15:16], v10 offset1:16
	ds_read_b128 v[11:14], v44 offset:2080
	s_waitcnt lgkmcnt(1)
	v_fmac_f32_e32 v57, v15, v6
	v_fmac_f32_e32 v56, v16, v6
	s_waitcnt lgkmcnt(0)
	v_fmac_f32_e32 v55, v15, v11
	v_fmac_f32_e32 v23, v16, v11
	ds_read2_b32 v[15:16], v10 offset0:32 offset1:48
	s_waitcnt lgkmcnt(0)
	v_fmac_f32_e32 v57, v15, v7
	v_fmac_f32_e32 v56, v16, v7
	ds_read2_b32 v[6:7], v10 offset0:64 offset1:80
	v_fmac_f32_e32 v55, v15, v12
	v_fmac_f32_e32 v23, v16, v12
	ds_read2_b32 v[11:12], v10 offset0:128 offset1:144
	s_waitcnt lgkmcnt(1)
	v_fmac_f32_e32 v57, v6, v8
	v_fmac_f32_e32 v56, v7, v8
	;; [unrolled: 1-line block ×4, first 2 shown]
	ds_read2_b32 v[6:7], v10 offset0:96 offset1:112
	s_waitcnt lgkmcnt(0)
	v_fmac_f32_e32 v57, v6, v9
	v_fmac_f32_e32 v56, v7, v9
	;; [unrolled: 1-line block ×4, first 2 shown]
	ds_read_b128 v[6:9], v44 offset:2096
	v_fmac_f32_e32 v57, v11, v2
	v_fmac_f32_e32 v56, v12, v2
	s_waitcnt lgkmcnt(0)
	v_fmac_f32_e32 v55, v11, v6
	v_fmac_f32_e32 v23, v12, v6
	ds_read2_b32 v[11:12], v10 offset0:160 offset1:176
	s_waitcnt lgkmcnt(0)
	v_fmac_f32_e32 v57, v11, v3
	v_fmac_f32_e32 v56, v12, v3
	ds_read2_b32 v[2:3], v10 offset0:192 offset1:208
	v_fmac_f32_e32 v55, v11, v7
	v_fmac_f32_e32 v23, v12, v7
	s_waitcnt lgkmcnt(0)
	v_fmac_f32_e32 v57, v2, v4
	v_fmac_f32_e32 v56, v3, v4
	;; [unrolled: 1-line block ×4, first 2 shown]
	ds_read2_b32 v[2:3], v10 offset0:224 offset1:240
	v_add_u32_e32 v10, 0x800, v47
	ds_read2_b32 v[11:12], v10 offset1:16
	s_waitcnt lgkmcnt(1)
	v_fmac_f32_e32 v57, v2, v5
	v_fmac_f32_e32 v56, v3, v5
	;; [unrolled: 1-line block ×4, first 2 shown]
	ds_read_b128 v[2:5], v44 offset:64
	ds_read_b128 v[6:9], v44 offset:2112
	s_waitcnt lgkmcnt(1)
	v_fmac_f32_e32 v57, v11, v2
	v_fmac_f32_e32 v56, v12, v2
	s_waitcnt lgkmcnt(0)
	v_fmac_f32_e32 v55, v11, v6
	v_fmac_f32_e32 v23, v12, v6
	ds_read2_b32 v[11:12], v10 offset0:32 offset1:48
	s_waitcnt lgkmcnt(0)
	v_fmac_f32_e32 v57, v11, v3
	v_fmac_f32_e32 v56, v12, v3
	ds_read2_b32 v[2:3], v10 offset0:64 offset1:80
	v_fmac_f32_e32 v55, v11, v7
	v_fmac_f32_e32 v23, v12, v7
	s_waitcnt lgkmcnt(0)
	v_fmac_f32_e32 v57, v2, v4
	v_fmac_f32_e32 v56, v3, v4
	;; [unrolled: 1-line block ×4, first 2 shown]
	ds_read2_b32 v[2:3], v10 offset0:96 offset1:112
	s_waitcnt lgkmcnt(0)
	v_fmac_f32_e32 v57, v2, v5
	v_fmac_f32_e32 v56, v3, v5
	;; [unrolled: 1-line block ×4, first 2 shown]
	ds_read_b128 v[2:5], v44 offset:80
	ds_read2_b32 v[11:12], v10 offset0:128 offset1:144
	ds_read_b128 v[6:9], v44 offset:2128
	s_waitcnt lgkmcnt(1)
	v_fmac_f32_e32 v57, v11, v2
	v_fmac_f32_e32 v56, v12, v2
	s_waitcnt lgkmcnt(0)
	v_fmac_f32_e32 v55, v11, v6
	v_fmac_f32_e32 v23, v12, v6
	ds_read2_b32 v[11:12], v10 offset0:160 offset1:176
	s_waitcnt lgkmcnt(0)
	v_fmac_f32_e32 v57, v11, v3
	v_fmac_f32_e32 v56, v12, v3
	ds_read2_b32 v[2:3], v10 offset0:192 offset1:208
	v_fmac_f32_e32 v55, v11, v7
	v_fmac_f32_e32 v23, v12, v7
	s_waitcnt lgkmcnt(0)
	v_fmac_f32_e32 v57, v2, v4
	v_fmac_f32_e32 v56, v3, v4
	;; [unrolled: 1-line block ×4, first 2 shown]
	ds_read2_b32 v[2:3], v10 offset0:224 offset1:240
	v_add_u32_e32 v10, 0xc00, v47
	ds_read2_b32 v[11:12], v10 offset1:16
	s_waitcnt lgkmcnt(1)
	v_fmac_f32_e32 v57, v2, v5
	v_fmac_f32_e32 v56, v3, v5
	;; [unrolled: 1-line block ×4, first 2 shown]
	ds_read_b128 v[2:5], v44 offset:96
	ds_read_b128 v[6:9], v44 offset:2144
	s_waitcnt lgkmcnt(1)
	v_fmac_f32_e32 v57, v11, v2
	v_fmac_f32_e32 v56, v12, v2
	s_waitcnt lgkmcnt(0)
	v_fmac_f32_e32 v55, v11, v6
	v_fmac_f32_e32 v23, v12, v6
	ds_read2_b32 v[11:12], v10 offset0:32 offset1:48
	s_waitcnt lgkmcnt(0)
	v_fmac_f32_e32 v57, v11, v3
	v_fmac_f32_e32 v56, v12, v3
	ds_read2_b32 v[2:3], v10 offset0:64 offset1:80
	v_fmac_f32_e32 v55, v11, v7
	v_fmac_f32_e32 v23, v12, v7
	s_waitcnt lgkmcnt(0)
	v_fmac_f32_e32 v57, v2, v4
	v_fmac_f32_e32 v56, v3, v4
	v_fmac_f32_e32 v55, v2, v8
	v_fmac_f32_e32 v23, v3, v8
	ds_read2_b32 v[2:3], v10 offset0:96 offset1:112
	s_waitcnt lgkmcnt(0)
	v_fmac_f32_e32 v57, v2, v5
	v_fmac_f32_e32 v56, v3, v5
	;; [unrolled: 1-line block ×4, first 2 shown]
	ds_read_b128 v[2:5], v44 offset:112
	ds_read2_b32 v[11:12], v10 offset0:128 offset1:144
	ds_read_b128 v[6:9], v44 offset:2160
	s_waitcnt lgkmcnt(1)
	v_fmac_f32_e32 v57, v11, v2
	v_fmac_f32_e32 v56, v12, v2
	s_waitcnt lgkmcnt(0)
	v_fmac_f32_e32 v55, v11, v6
	v_fmac_f32_e32 v23, v12, v6
	ds_read2_b32 v[11:12], v10 offset0:160 offset1:176
	s_waitcnt lgkmcnt(0)
	v_fmac_f32_e32 v57, v11, v3
	v_fmac_f32_e32 v56, v12, v3
	ds_read2_b32 v[2:3], v10 offset0:192 offset1:208
	v_fmac_f32_e32 v55, v11, v7
	v_fmac_f32_e32 v23, v12, v7
	s_waitcnt lgkmcnt(0)
	v_fmac_f32_e32 v57, v2, v4
	v_fmac_f32_e32 v56, v3, v4
	;; [unrolled: 1-line block ×4, first 2 shown]
	ds_read2_b32 v[2:3], v10 offset0:224 offset1:240
	s_waitcnt lgkmcnt(0)
	s_barrier
	v_fmac_f32_e32 v57, v2, v5
	v_fmac_f32_e32 v55, v2, v9
	v_mov_b32_e32 v2, s35
	v_addc_co_u32_e32 v42, vcc, v42, v2, vcc
	v_add_co_u32_e32 v31, vcc, 0x80, v31
	v_fmac_f32_e32 v56, v3, v5
	v_fmac_f32_e32 v23, v3, v9
	v_addc_co_u32_e32 v32, vcc, 0, v32, vcc
	s_cbranch_scc1 .LBB15_43
.LBB15_7:                               ;   Parent Loop BB15_4 Depth=1
                                        ; =>  This Inner Loop Header: Depth=2
	v_mov_b32_e32 v3, s39
	v_add_co_u32_e32 v2, vcc, s38, v0
	v_addc_co_u32_e32 v3, vcc, 0, v3, vcc
	v_cmp_eq_u64_e32 vcc, s[38:39], v[33:34]
	v_add_co_u32_e64 v4, s[12:13], v31, v45
	s_and_b64 s[42:43], s[22:23], vcc
	v_cmp_gt_i64_e32 vcc, v[2:3], v[27:28]
	v_addc_co_u32_e64 v5, s[12:13], 0, v32, s[12:13]
	v_cmp_le_i64_e64 s[12:13], s[26:27], v[2:3]
	s_or_b64 s[14:15], s[8:9], vcc
	s_or_b64 s[14:15], s[14:15], s[42:43]
	s_nor_b64 s[14:15], s[12:13], s[14:15]
                                        ; implicit-def: $vgpr6
	s_and_saveexec_b64 s[18:19], s[14:15]
	s_xor_b64 s[14:15], exec, s[18:19]
	s_cbranch_execz .LBB15_9
; %bb.8:                                ;   in Loop: Header=BB15_7 Depth=2
	global_load_dword v6, v[4:5], off
.LBB15_9:                               ;   in Loop: Header=BB15_7 Depth=2
	s_andn2_saveexec_b64 s[14:15], s[14:15]
	s_cbranch_execz .LBB15_11
; %bb.10:                               ;   in Loop: Header=BB15_7 Depth=2
	s_waitcnt vmcnt(0)
	v_cndmask_b32_e64 v6, 0, 1.0, s[42:43]
.LBB15_11:                              ;   in Loop: Header=BB15_7 Depth=2
	s_or_b64 exec, exec, s[14:15]
	s_waitcnt vmcnt(0)
	ds_write_b32 v46, v6
	v_add_co_u32_e64 v6, s[18:19], 16, v2
	v_addc_co_u32_e64 v7, s[18:19], 0, v3, s[18:19]
	v_cmp_eq_u64_e64 s[14:15], s[38:39], v[39:40]
	v_cmp_gt_i64_e64 s[18:19], v[6:7], v[27:28]
	s_and_b64 s[20:21], s[22:23], s[14:15]
	v_cmp_le_i64_e64 s[14:15], s[26:27], v[6:7]
	s_or_b64 s[18:19], s[8:9], s[18:19]
	s_or_b64 s[18:19], s[18:19], s[20:21]
	s_nor_b64 s[18:19], s[14:15], s[18:19]
	s_and_saveexec_b64 s[52:53], s[18:19]
	s_xor_b64 s[18:19], exec, s[52:53]
	s_cbranch_execz .LBB15_13
; %bb.12:                               ;   in Loop: Header=BB15_7 Depth=2
	global_load_dword v4, v[4:5], off offset:64
	s_waitcnt vmcnt(0)
	ds_write_b32 v46, v4 offset:64
.LBB15_13:                              ;   in Loop: Header=BB15_7 Depth=2
	s_andn2_saveexec_b64 s[18:19], s[18:19]
	s_cbranch_execz .LBB15_19
; %bb.14:                               ;   in Loop: Header=BB15_7 Depth=2
	s_xor_b64 s[20:21], s[20:21], -1
	s_and_saveexec_b64 s[52:53], s[20:21]
	s_xor_b64 s[20:21], exec, s[52:53]
; %bb.15:                               ;   in Loop: Header=BB15_7 Depth=2
	ds_write_b32 v46, v43 offset:64
; %bb.16:                               ;   in Loop: Header=BB15_7 Depth=2
	s_andn2_saveexec_b64 s[20:21], s[20:21]
; %bb.17:                               ;   in Loop: Header=BB15_7 Depth=2
	ds_write_b32 v46, v54 offset:64
; %bb.18:                               ;   in Loop: Header=BB15_7 Depth=2
	s_or_b64 exec, exec, s[20:21]
.LBB15_19:                              ;   in Loop: Header=BB15_7 Depth=2
	s_or_b64 exec, exec, s[18:19]
	v_add_co_u32_e64 v4, s[18:19], v29, v45
	v_addc_co_u32_e64 v5, s[18:19], 0, v30, s[18:19]
	v_cmp_eq_u64_e64 s[18:19], s[38:39], v[37:38]
	v_cmp_gt_i64_e64 s[20:21], v[2:3], v[35:36]
	s_and_b64 s[18:19], s[22:23], s[18:19]
	s_or_b64 s[20:21], s[10:11], s[20:21]
	s_or_b64 s[20:21], s[20:21], s[18:19]
	s_nor_b64 s[12:13], s[12:13], s[20:21]
                                        ; implicit-def: $vgpr2
	s_and_saveexec_b64 s[20:21], s[12:13]
	s_xor_b64 s[12:13], exec, s[20:21]
	s_cbranch_execz .LBB15_21
; %bb.20:                               ;   in Loop: Header=BB15_7 Depth=2
	global_load_dword v2, v[4:5], off
.LBB15_21:                              ;   in Loop: Header=BB15_7 Depth=2
	s_andn2_saveexec_b64 s[12:13], s[12:13]
	s_cbranch_execz .LBB15_23
; %bb.22:                               ;   in Loop: Header=BB15_7 Depth=2
	s_waitcnt vmcnt(0)
	v_cndmask_b32_e64 v2, 0, 1.0, s[18:19]
.LBB15_23:                              ;   in Loop: Header=BB15_7 Depth=2
	s_or_b64 exec, exec, s[12:13]
	s_or_b64 s[12:13], s[10:11], vcc
	s_or_b64 s[12:13], s[12:13], s[42:43]
	s_nor_b64 s[12:13], s[14:15], s[12:13]
	s_waitcnt vmcnt(0)
	ds_write_b32 v46, v2 offset:2048
	s_and_saveexec_b64 s[14:15], s[12:13]
	s_xor_b64 s[12:13], exec, s[14:15]
	s_cbranch_execz .LBB15_25
; %bb.24:                               ;   in Loop: Header=BB15_7 Depth=2
	global_load_dword v2, v[4:5], off offset:64
	s_waitcnt vmcnt(0)
	ds_write_b32 v46, v2 offset:2112
.LBB15_25:                              ;   in Loop: Header=BB15_7 Depth=2
	s_andn2_saveexec_b64 s[12:13], s[12:13]
	s_cbranch_execz .LBB15_31
; %bb.26:                               ;   in Loop: Header=BB15_7 Depth=2
	s_xor_b64 s[14:15], s[42:43], -1
	s_and_saveexec_b64 s[18:19], s[14:15]
	s_xor_b64 s[14:15], exec, s[18:19]
; %bb.27:                               ;   in Loop: Header=BB15_7 Depth=2
	ds_write_b32 v46, v43 offset:2112
; %bb.28:                               ;   in Loop: Header=BB15_7 Depth=2
	s_andn2_saveexec_b64 s[14:15], s[14:15]
; %bb.29:                               ;   in Loop: Header=BB15_7 Depth=2
	ds_write_b32 v46, v54 offset:2112
; %bb.30:                               ;   in Loop: Header=BB15_7 Depth=2
	s_or_b64 exec, exec, s[14:15]
.LBB15_31:                              ;   in Loop: Header=BB15_7 Depth=2
	s_or_b64 exec, exec, s[12:13]
	v_mov_b32_e32 v3, s39
	v_add_co_u32_e32 v2, vcc, s38, v1
	v_addc_co_u32_e32 v3, vcc, 0, v3, vcc
	v_cmp_le_i64_e32 vcc, s[26:27], v[2:3]
	v_add_co_u32_e64 v4, s[12:13], v41, v51
	v_addc_co_u32_e64 v5, s[12:13], v42, v52, s[12:13]
	s_nor_b64 s[14:15], vcc, s[0:1]
	v_mov_b32_e32 v6, 0
	s_and_saveexec_b64 s[12:13], s[14:15]
	s_cbranch_execz .LBB15_33
; %bb.32:                               ;   in Loop: Header=BB15_7 Depth=2
	global_load_dword v6, v[4:5], off offset:-64
.LBB15_33:                              ;   in Loop: Header=BB15_7 Depth=2
	s_or_b64 exec, exec, s[12:13]
	s_nor_b64 s[12:13], vcc, s[2:3]
	s_waitcnt vmcnt(0)
	ds_write_b32 v48, v6
	s_and_saveexec_b64 s[14:15], s[12:13]
	s_xor_b64 s[12:13], exec, s[14:15]
	s_cbranch_execz .LBB15_35
; %bb.34:                               ;   in Loop: Header=BB15_7 Depth=2
	global_load_dword v4, v[4:5], off
	s_waitcnt vmcnt(0)
	ds_write_b32 v48, v4 offset:64
.LBB15_35:                              ;   in Loop: Header=BB15_7 Depth=2
	s_andn2_saveexec_b64 s[12:13], s[12:13]
; %bb.36:                               ;   in Loop: Header=BB15_7 Depth=2
	ds_write_b32 v48, v43 offset:64
; %bb.37:                               ;   in Loop: Header=BB15_7 Depth=2
	s_or_b64 exec, exec, s[12:13]
	v_cmp_le_i64_e32 vcc, s[44:45], v[2:3]
	v_add_co_u32_e64 v2, s[12:13], v41, v24
	v_addc_co_u32_e64 v3, s[12:13], v42, v53, s[12:13]
	s_nor_b64 s[14:15], vcc, s[0:1]
	v_mov_b32_e32 v4, 0
	s_and_saveexec_b64 s[12:13], s[14:15]
	s_cbranch_execz .LBB15_39
; %bb.38:                               ;   in Loop: Header=BB15_7 Depth=2
	global_load_dword v4, v[2:3], off
.LBB15_39:                              ;   in Loop: Header=BB15_7 Depth=2
	s_or_b64 exec, exec, s[12:13]
	s_nor_b64 s[12:13], vcc, s[2:3]
	s_waitcnt vmcnt(0)
	ds_write_b32 v48, v4 offset:2048
	s_and_saveexec_b64 s[14:15], s[12:13]
	s_xor_b64 s[12:13], exec, s[14:15]
	s_cbranch_execz .LBB15_41
; %bb.40:                               ;   in Loop: Header=BB15_7 Depth=2
	global_load_dword v2, v[2:3], off offset:64
	s_waitcnt vmcnt(0)
	ds_write_b32 v48, v2 offset:2112
.LBB15_41:                              ;   in Loop: Header=BB15_7 Depth=2
	s_andn2_saveexec_b64 s[12:13], s[12:13]
	s_cbranch_execz .LBB15_6
; %bb.42:                               ;   in Loop: Header=BB15_7 Depth=2
	ds_write_b32 v48, v43 offset:2112
	s_branch .LBB15_6
.LBB15_43:                              ;   in Loop: Header=BB15_4 Depth=1
	v_mul_lo_u32 v4, s25, v27
	v_mul_lo_u32 v5, s24, v28
	v_mad_u64_u32 v[2:3], s[8:9], s24, v27, 0
	v_cmp_gt_i32_e32 vcc, s30, v27
	v_add3_u32 v3, v3, v5, v4
	v_lshlrev_b64 v[2:3], 2, v[2:3]
	v_mov_b32_e32 v4, s47
	v_add_co_u32_e64 v2, s[8:9], s46, v2
	v_addc_co_u32_e64 v3, s[8:9], v4, v3, s[8:9]
	s_and_b64 s[8:9], s[4:5], vcc
	s_and_saveexec_b64 s[10:11], s[8:9]
	s_cbranch_execz .LBB15_45
; %bb.44:                               ;   in Loop: Header=BB15_4 Depth=1
	v_add_co_u32_e64 v4, s[8:9], v2, v18
	v_addc_co_u32_e64 v5, s[8:9], v3, v19, s[8:9]
	global_load_dword v6, v[4:5], off
	s_waitcnt vmcnt(0)
	v_fmac_f32_e32 v6, s31, v57
	global_store_dword v[4:5], v6, off
.LBB15_45:                              ;   in Loop: Header=BB15_4 Depth=1
	s_or_b64 exec, exec, s[10:11]
	s_and_b64 s[10:11], s[16:17], vcc
	s_and_saveexec_b64 s[8:9], s[10:11]
	s_cbranch_execz .LBB15_47
; %bb.46:                               ;   in Loop: Header=BB15_4 Depth=1
	v_add_co_u32_e32 v2, vcc, v2, v25
	v_addc_co_u32_e32 v3, vcc, v3, v26, vcc
	global_load_dword v4, v[2:3], off
	s_waitcnt vmcnt(0)
	v_fmac_f32_e32 v4, s31, v56
	global_store_dword v[2:3], v4, off
.LBB15_47:                              ;   in Loop: Header=BB15_4 Depth=1
	s_or_b64 exec, exec, s[8:9]
	v_add_u32_e32 v4, 16, v27
	v_ashrrev_i32_e32 v2, 31, v4
	v_mul_lo_u32 v5, s24, v2
	v_mul_lo_u32 v6, s25, v4
	v_mad_u64_u32 v[2:3], s[8:9], s24, v4, 0
	v_cmp_gt_i32_e32 vcc, s30, v4
	v_mov_b32_e32 v4, s47
	v_add3_u32 v3, v3, v5, v6
	v_lshlrev_b64 v[2:3], 2, v[2:3]
	v_add_co_u32_e64 v2, s[8:9], s46, v2
	v_addc_co_u32_e64 v3, s[8:9], v4, v3, s[8:9]
	s_and_b64 s[8:9], s[4:5], vcc
	s_and_saveexec_b64 s[10:11], s[8:9]
	s_cbranch_execz .LBB15_49
; %bb.48:                               ;   in Loop: Header=BB15_4 Depth=1
	v_add_co_u32_e64 v4, s[8:9], v2, v18
	v_addc_co_u32_e64 v5, s[8:9], v3, v19, s[8:9]
	global_load_dword v6, v[4:5], off
	s_waitcnt vmcnt(0)
	v_fmac_f32_e32 v6, s31, v55
	global_store_dword v[4:5], v6, off
.LBB15_49:                              ;   in Loop: Header=BB15_4 Depth=1
	s_or_b64 exec, exec, s[10:11]
	s_and_b64 s[10:11], s[16:17], vcc
	s_and_saveexec_b64 s[8:9], s[10:11]
	s_cbranch_execz .LBB15_3
; %bb.50:                               ;   in Loop: Header=BB15_4 Depth=1
	v_add_co_u32_e32 v2, vcc, v2, v25
	v_addc_co_u32_e32 v3, vcc, v3, v26, vcc
	global_load_dword v4, v[2:3], off
	s_waitcnt vmcnt(0)
	v_fmac_f32_e32 v4, s31, v23
	global_store_dword v[2:3], v4, off
	s_branch .LBB15_3
.LBB15_51:
	s_endpgm
	.section	.rodata,"a",@progbits
	.p2align	6, 0x0
	.amdhsa_kernel _ZL30rocblas_trmm_outofplace_kernelIfLi32ELi2ELb0ELb1ELb0ELb0EfKffEv17rocblas_diagonal_iiT6_lPT7_lllS4_lllPT8_llli
		.amdhsa_group_segment_fixed_size 8192
		.amdhsa_private_segment_fixed_size 0
		.amdhsa_kernarg_size 384
		.amdhsa_user_sgpr_count 6
		.amdhsa_user_sgpr_private_segment_buffer 1
		.amdhsa_user_sgpr_dispatch_ptr 0
		.amdhsa_user_sgpr_queue_ptr 0
		.amdhsa_user_sgpr_kernarg_segment_ptr 1
		.amdhsa_user_sgpr_dispatch_id 0
		.amdhsa_user_sgpr_flat_scratch_init 0
		.amdhsa_user_sgpr_private_segment_size 0
		.amdhsa_uses_dynamic_stack 0
		.amdhsa_system_sgpr_private_segment_wavefront_offset 0
		.amdhsa_system_sgpr_workgroup_id_x 1
		.amdhsa_system_sgpr_workgroup_id_y 1
		.amdhsa_system_sgpr_workgroup_id_z 1
		.amdhsa_system_sgpr_workgroup_info 0
		.amdhsa_system_vgpr_workitem_id 1
		.amdhsa_next_free_vgpr 64
		.amdhsa_next_free_sgpr 61
		.amdhsa_reserve_vcc 1
		.amdhsa_reserve_flat_scratch 0
		.amdhsa_float_round_mode_32 0
		.amdhsa_float_round_mode_16_64 0
		.amdhsa_float_denorm_mode_32 3
		.amdhsa_float_denorm_mode_16_64 3
		.amdhsa_dx10_clamp 1
		.amdhsa_ieee_mode 1
		.amdhsa_fp16_overflow 0
		.amdhsa_exception_fp_ieee_invalid_op 0
		.amdhsa_exception_fp_denorm_src 0
		.amdhsa_exception_fp_ieee_div_zero 0
		.amdhsa_exception_fp_ieee_overflow 0
		.amdhsa_exception_fp_ieee_underflow 0
		.amdhsa_exception_fp_ieee_inexact 0
		.amdhsa_exception_int_div_zero 0
	.end_amdhsa_kernel
	.section	.text._ZL30rocblas_trmm_outofplace_kernelIfLi32ELi2ELb0ELb1ELb0ELb0EfKffEv17rocblas_diagonal_iiT6_lPT7_lllS4_lllPT8_llli,"axG",@progbits,_ZL30rocblas_trmm_outofplace_kernelIfLi32ELi2ELb0ELb1ELb0ELb0EfKffEv17rocblas_diagonal_iiT6_lPT7_lllS4_lllPT8_llli,comdat
.Lfunc_end15:
	.size	_ZL30rocblas_trmm_outofplace_kernelIfLi32ELi2ELb0ELb1ELb0ELb0EfKffEv17rocblas_diagonal_iiT6_lPT7_lllS4_lllPT8_llli, .Lfunc_end15-_ZL30rocblas_trmm_outofplace_kernelIfLi32ELi2ELb0ELb1ELb0ELb0EfKffEv17rocblas_diagonal_iiT6_lPT7_lllS4_lllPT8_llli
                                        ; -- End function
	.set _ZL30rocblas_trmm_outofplace_kernelIfLi32ELi2ELb0ELb1ELb0ELb0EfKffEv17rocblas_diagonal_iiT6_lPT7_lllS4_lllPT8_llli.num_vgpr, 64
	.set _ZL30rocblas_trmm_outofplace_kernelIfLi32ELi2ELb0ELb1ELb0ELb0EfKffEv17rocblas_diagonal_iiT6_lPT7_lllS4_lllPT8_llli.num_agpr, 0
	.set _ZL30rocblas_trmm_outofplace_kernelIfLi32ELi2ELb0ELb1ELb0ELb0EfKffEv17rocblas_diagonal_iiT6_lPT7_lllS4_lllPT8_llli.numbered_sgpr, 54
	.set _ZL30rocblas_trmm_outofplace_kernelIfLi32ELi2ELb0ELb1ELb0ELb0EfKffEv17rocblas_diagonal_iiT6_lPT7_lllS4_lllPT8_llli.num_named_barrier, 0
	.set _ZL30rocblas_trmm_outofplace_kernelIfLi32ELi2ELb0ELb1ELb0ELb0EfKffEv17rocblas_diagonal_iiT6_lPT7_lllS4_lllPT8_llli.private_seg_size, 0
	.set _ZL30rocblas_trmm_outofplace_kernelIfLi32ELi2ELb0ELb1ELb0ELb0EfKffEv17rocblas_diagonal_iiT6_lPT7_lllS4_lllPT8_llli.uses_vcc, 1
	.set _ZL30rocblas_trmm_outofplace_kernelIfLi32ELi2ELb0ELb1ELb0ELb0EfKffEv17rocblas_diagonal_iiT6_lPT7_lllS4_lllPT8_llli.uses_flat_scratch, 0
	.set _ZL30rocblas_trmm_outofplace_kernelIfLi32ELi2ELb0ELb1ELb0ELb0EfKffEv17rocblas_diagonal_iiT6_lPT7_lllS4_lllPT8_llli.has_dyn_sized_stack, 0
	.set _ZL30rocblas_trmm_outofplace_kernelIfLi32ELi2ELb0ELb1ELb0ELb0EfKffEv17rocblas_diagonal_iiT6_lPT7_lllS4_lllPT8_llli.has_recursion, 0
	.set _ZL30rocblas_trmm_outofplace_kernelIfLi32ELi2ELb0ELb1ELb0ELb0EfKffEv17rocblas_diagonal_iiT6_lPT7_lllS4_lllPT8_llli.has_indirect_call, 0
	.section	.AMDGPU.csdata,"",@progbits
; Kernel info:
; codeLenInByte = 2868
; TotalNumSgprs: 58
; NumVgprs: 64
; ScratchSize: 0
; MemoryBound: 0
; FloatMode: 240
; IeeeMode: 1
; LDSByteSize: 8192 bytes/workgroup (compile time only)
; SGPRBlocks: 8
; VGPRBlocks: 15
; NumSGPRsForWavesPerEU: 65
; NumVGPRsForWavesPerEU: 64
; Occupancy: 4
; WaveLimiterHint : 0
; COMPUTE_PGM_RSRC2:SCRATCH_EN: 0
; COMPUTE_PGM_RSRC2:USER_SGPR: 6
; COMPUTE_PGM_RSRC2:TRAP_HANDLER: 0
; COMPUTE_PGM_RSRC2:TGID_X_EN: 1
; COMPUTE_PGM_RSRC2:TGID_Y_EN: 1
; COMPUTE_PGM_RSRC2:TGID_Z_EN: 1
; COMPUTE_PGM_RSRC2:TIDIG_COMP_CNT: 1
	.section	.text._ZL30rocblas_trmm_outofplace_kernelIfLi32ELi2ELb0ELb0ELb1ELb0EPKfS0_fEv17rocblas_diagonal_iiT6_lPT7_lllS5_lllPT8_llli,"axG",@progbits,_ZL30rocblas_trmm_outofplace_kernelIfLi32ELi2ELb0ELb0ELb1ELb0EPKfS0_fEv17rocblas_diagonal_iiT6_lPT7_lllS5_lllPT8_llli,comdat
	.globl	_ZL30rocblas_trmm_outofplace_kernelIfLi32ELi2ELb0ELb0ELb1ELb0EPKfS0_fEv17rocblas_diagonal_iiT6_lPT7_lllS5_lllPT8_llli ; -- Begin function _ZL30rocblas_trmm_outofplace_kernelIfLi32ELi2ELb0ELb0ELb1ELb0EPKfS0_fEv17rocblas_diagonal_iiT6_lPT7_lllS5_lllPT8_llli
	.p2align	8
	.type	_ZL30rocblas_trmm_outofplace_kernelIfLi32ELi2ELb0ELb0ELb1ELb0EPKfS0_fEv17rocblas_diagonal_iiT6_lPT7_lllS5_lllPT8_llli,@function
_ZL30rocblas_trmm_outofplace_kernelIfLi32ELi2ELb0ELb0ELb1ELb0EPKfS0_fEv17rocblas_diagonal_iiT6_lPT7_lllS5_lllPT8_llli: ; @_ZL30rocblas_trmm_outofplace_kernelIfLi32ELi2ELb0ELb0ELb1ELb0EPKfS0_fEv17rocblas_diagonal_iiT6_lPT7_lllS5_lllPT8_llli
; %bb.0:
	s_load_dwordx16 s[12:27], s[4:5], 0x10
	s_mov_b64 s[54:55], s[2:3]
	s_mov_b64 s[52:53], s[0:1]
	s_add_u32 s52, s52, s9
	s_addc_u32 s53, s53, 0
	s_waitcnt lgkmcnt(0)
	s_mul_i32 s0, s15, s8
	s_mul_hi_u32 s1, s14, s8
	s_add_i32 s1, s1, s0
	s_mul_i32 s0, s14, s8
	s_lshl_b64 s[0:1], s[0:1], 2
	s_add_u32 s0, s12, s0
	s_addc_u32 s1, s13, s1
	s_load_dword s33, s[0:1], 0x0
	s_waitcnt lgkmcnt(0)
	v_cmp_eq_f32_e64 s[0:1], s33, 0
	s_and_b64 vcc, exec, s[0:1]
	s_cbranch_vccnz .LBB16_51
; %bb.1:
	s_load_dwordx4 s[28:31], s[4:5], 0x0
	s_waitcnt lgkmcnt(0)
	s_add_i32 s0, s30, -1
	s_ashr_i32 s1, s0, 31
	s_lshr_b32 s1, s1, 27
	s_add_i32 s0, s0, s1
	s_ashr_i32 s48, s0, 5
	s_cmp_gt_i32 s7, s48
	s_cbranch_scc1 .LBB16_51
; %bb.2:
	s_mul_i32 s0, s23, s8
	s_mul_hi_u32 s1, s22, s8
	s_add_i32 s1, s1, s0
	s_mul_i32 s0, s22, s8
	s_load_dwordx8 s[36:43], s[4:5], 0x50
	s_load_dwordx4 s[44:47], s[4:5], 0x70
	s_lshl_b64 s[10:11], s[0:1], 2
	s_add_u32 s0, s16, s10
	s_addc_u32 s1, s17, s11
	s_lshl_b64 s[12:13], s[18:19], 2
	s_add_u32 s2, s0, s12
	s_addc_u32 s3, s1, s13
	s_waitcnt lgkmcnt(0)
	s_mul_i32 s0, s39, s8
	s_mul_hi_u32 s1, s38, s8
	s_add_i32 s1, s1, s0
	s_mul_i32 s0, s38, s8
	s_lshl_b64 s[0:1], s[0:1], 2
	s_add_u32 s9, s24, s0
	s_addc_u32 s14, s25, s1
	s_lshl_b64 s[0:1], s[26:27], 2
	s_add_u32 s9, s9, s0
	s_addc_u32 s14, s14, s1
	s_mul_i32 s0, s47, s8
	s_mul_hi_u32 s1, s46, s8
	s_add_i32 s1, s1, s0
	s_mul_i32 s0, s46, s8
	s_lshl_b64 s[0:1], s[0:1], 2
	s_load_dword s49, s[4:5], 0x8c
	s_add_u32 s4, s40, s0
	s_addc_u32 s5, s41, s1
	v_mad_u64_u32 v[2:3], s[0:1], s20, v0, 0
	s_lshl_b64 s[0:1], s[42:43], 2
	s_add_u32 s40, s4, s0
	s_addc_u32 s41, s5, s1
	v_mad_u64_u32 v[3:4], s[0:1], s21, v0, v[3:4]
	v_lshl_add_u32 v4, s6, 5, v0
	v_ashrrev_i32_e32 v5, 31, v4
	v_lshlrev_b64 v[2:3], 2, v[2:3]
	v_mov_b32_e32 v6, s3
	v_add_co_u32_e32 v2, vcc, s2, v2
	v_addc_co_u32_e32 v3, vcc, v6, v3, vcc
	v_lshlrev_b64 v[20:21], 2, v[4:5]
	buffer_store_dword v2, off, s[52:55], 0 ; 4-byte Folded Spill
	s_nop 0
	buffer_store_dword v3, off, s[52:55], 0 offset:4 ; 4-byte Folded Spill
	v_mov_b32_e32 v2, s14
	v_add_co_u32_e32 v6, vcc, s9, v20
	v_addc_co_u32_e32 v7, vcc, v2, v21, vcc
	buffer_store_dword v6, off, s[52:55], 0 offset:8 ; 4-byte Folded Spill
	s_nop 0
	buffer_store_dword v7, off, s[52:55], 0 offset:12 ; 4-byte Folded Spill
	s_cmpk_eq_i32 s28, 0x84
	s_cselect_b64 s[22:23], -1, 0
	s_ashr_i32 s0, s29, 31
	v_mov_b32_e32 v3, s0
	v_sub_co_u32_e32 v2, vcc, s29, v4
	v_subb_co_u32_e32 v3, vcc, v3, v5, vcc
	v_cmp_gt_i64_e32 vcc, 1, v[2:3]
	v_cmp_gt_i64_e64 s[0:1], 17, v[2:3]
	v_cmp_gt_i32_e64 s[2:3], s29, v4
	v_add_u32_e32 v2, 16, v4
	v_mad_u64_u32 v[4:5], s[4:5], s36, v1, 0
	s_ashr_i32 s31, s30, 31
	s_lshl_b64 s[24:25], s[20:21], 7
	s_lshl_b64 s[26:27], s[36:37], 7
	s_add_u32 s34, s30, -16
	s_addc_u32 s35, s31, -1
	s_waitcnt lgkmcnt(0)
	s_lshl_b32 s6, s49, 5
	v_lshlrev_b32_e32 v51, 7, v1
	v_lshlrev_b32_e32 v7, 2, v0
	v_add_u32_e32 v52, v51, v7
	v_or_b32_e32 v53, 0x1000, v7
	v_add_u32_e32 v8, 64, v7
	v_ashrrev_i32_e32 v3, 31, v2
	v_lshlrev_b64 v[30:31], 2, v[2:3]
	v_mov_b32_e32 v50, 0
	v_add_u32_e32 v54, v53, v51
	v_cmp_gt_i32_e64 s[4:5], s29, v2
	v_lshl_add_u32 v28, s7, 5, v1
	v_mov_b32_e32 v59, 1.0
	v_mad_u64_u32 v[5:6], s[8:9], s37, v1, v[5:6]
	s_add_u32 s8, s16, s12
	s_addc_u32 s9, s17, s13
	s_add_u32 s8, s8, s10
	s_addc_u32 s9, s9, s11
	v_mov_b32_e32 v6, s8
	v_mov_b32_e32 v7, s9
	v_mad_u64_u32 v[18:19], s[8:9], s20, v8, v[6:7]
	v_sub_co_u32_e64 v63, s[8:9], 0, v0
	v_subb_co_u32_e64 v6, s[8:9], 0, 0, s[8:9]
	buffer_store_dword v6, off, s[52:55], 0 offset:16 ; 4-byte Folded Spill
	v_mov_b32_e32 v6, v19
	v_mad_u64_u32 v[6:7], s[8:9], s21, v8, v[6:7]
	v_lshl_add_u32 v7, v1, 2, 64
	v_mad_u64_u32 v[26:27], s[8:9], s36, v7, 0
	v_mov_b32_e32 v19, v6
	v_lshlrev_b64 v[4:5], 2, v[4:5]
	v_mov_b32_e32 v6, v27
	v_mad_u64_u32 v[6:7], s[8:9], s37, v7, v[6:7]
	v_add_co_u32_e64 v27, s[8:9], 64, v4
	v_addc_co_u32_e64 v57, s[8:9], 0, v5, s[8:9]
	v_mov_b32_e32 v58, v6
	s_branch .LBB16_4
.LBB16_3:                               ;   in Loop: Header=BB16_4 Depth=1
	s_or_b64 exec, exec, s[10:11]
	s_add_i32 s7, s49, s7
	s_cmp_le_i32 s7, s48
	v_add_u32_e32 v28, s6, v28
	s_cbranch_scc0 .LBB16_51
.LBB16_4:                               ; =>This Loop Header: Depth=1
                                        ;     Child Loop BB16_7 Depth 2
	s_lshl_b32 s42, s7, 5
	v_add_u32_e32 v32, s42, v1
	v_ashrrev_i32_e32 v33, 31, v32
	s_cmp_lt_i32 s7, 0
	v_mov_b32_e32 v62, 0
	v_mov_b32_e32 v61, 0
	;; [unrolled: 1-line block ×4, first 2 shown]
	s_cbranch_scc1 .LBB16_43
; %bb.5:                                ;   in Loop: Header=BB16_4 Depth=1
	buffer_load_dword v2, off, s[52:55], 0 offset:16 ; 4-byte Folded Reload
	buffer_load_dword v44, off, s[52:55], 0 ; 4-byte Folded Reload
	buffer_load_dword v45, off, s[52:55], 0 offset:4 ; 4-byte Folded Reload
	buffer_load_dword v48, off, s[52:55], 0 offset:8 ; 4-byte Folded Reload
	;; [unrolled: 1-line block ×3, first 2 shown]
	v_ashrrev_i32_e32 v29, 31, v28
	v_add_co_u32_e64 v34, s[8:9], v63, v28
	v_add_co_u32_e64 v40, s[10:11], 16, v34
	v_lshlrev_b64 v[36:37], 2, v[28:29]
	v_mov_b32_e32 v47, v19
	v_cmp_le_i32_e64 s[16:17], s30, v32
	s_mov_b64 s[28:29], 0
	v_mov_b32_e32 v60, 0
	v_mov_b32_e32 v61, 0
	;; [unrolled: 1-line block ×4, first 2 shown]
	s_waitcnt vmcnt(4)
	v_addc_co_u32_e64 v35, s[8:9], v2, v29, s[8:9]
	v_add_co_u32_e64 v38, s[8:9], 16, v32
	v_addc_co_u32_e64 v39, s[8:9], 0, v33, s[8:9]
	v_addc_co_u32_e64 v41, s[10:11], 0, v35, s[10:11]
	v_cmp_le_i64_e64 s[8:9], s[30:31], v[38:39]
	v_add_co_u32_e64 v42, s[10:11], -16, v34
	v_addc_co_u32_e64 v43, s[10:11], -1, v35, s[10:11]
	v_mov_b32_e32 v29, 0
	s_branch .LBB16_7
.LBB16_6:                               ;   in Loop: Header=BB16_7 Depth=2
	s_or_b64 exec, exec, s[10:11]
	s_waitcnt lgkmcnt(0)
	s_barrier
	ds_read_b128 v[14:17], v51
	ds_read_b128 v[10:13], v51 offset:16
	ds_read_b128 v[6:9], v51 offset:32
	;; [unrolled: 1-line block ×3, first 2 shown]
	ds_read2_b32 v[55:56], v53 offset1:16
	ds_read_b128 v[22:25], v51 offset:2048
	v_add_co_u32_e64 v48, s[10:11], s26, v48
	s_add_u32 s28, s28, 32
	s_waitcnt lgkmcnt(1)
	v_fmac_f32_e32 v62, v55, v14
	v_fmac_f32_e32 v61, v56, v14
	s_waitcnt lgkmcnt(0)
	v_fmac_f32_e32 v60, v55, v22
	v_fmac_f32_e32 v29, v56, v22
	ds_read2_b32 v[55:56], v53 offset0:32 offset1:48
	s_addc_u32 s29, s29, 0
	s_sub_i32 s12, s28, 32
	s_cmp_ge_i32 s12, s42
	s_waitcnt lgkmcnt(0)
	v_fmac_f32_e32 v62, v55, v15
	v_fmac_f32_e32 v61, v56, v15
	ds_read2_b32 v[14:15], v53 offset0:64 offset1:80
	v_fmac_f32_e32 v60, v55, v23
	v_fmac_f32_e32 v29, v56, v23
	ds_read2_b32 v[22:23], v53 offset0:128 offset1:144
	s_waitcnt lgkmcnt(1)
	v_fmac_f32_e32 v62, v14, v16
	v_fmac_f32_e32 v61, v15, v16
	;; [unrolled: 1-line block ×4, first 2 shown]
	ds_read2_b32 v[14:15], v53 offset0:96 offset1:112
	s_waitcnt lgkmcnt(0)
	v_fmac_f32_e32 v62, v14, v17
	v_fmac_f32_e32 v61, v15, v17
	;; [unrolled: 1-line block ×4, first 2 shown]
	ds_read_b128 v[14:17], v51 offset:2064
	v_fmac_f32_e32 v62, v22, v10
	v_fmac_f32_e32 v61, v23, v10
	s_waitcnt lgkmcnt(0)
	v_fmac_f32_e32 v60, v22, v14
	v_fmac_f32_e32 v29, v23, v14
	ds_read2_b32 v[22:23], v53 offset0:160 offset1:176
	s_waitcnt lgkmcnt(0)
	v_fmac_f32_e32 v62, v22, v11
	v_fmac_f32_e32 v61, v23, v11
	ds_read2_b32 v[10:11], v53 offset0:192 offset1:208
	v_fmac_f32_e32 v60, v22, v15
	v_fmac_f32_e32 v29, v23, v15
	s_waitcnt lgkmcnt(0)
	v_fmac_f32_e32 v62, v10, v12
	v_fmac_f32_e32 v61, v11, v12
	;; [unrolled: 1-line block ×4, first 2 shown]
	ds_read2_b32 v[10:11], v53 offset0:224 offset1:240
	s_waitcnt lgkmcnt(0)
	v_fmac_f32_e32 v62, v10, v13
	v_fmac_f32_e32 v60, v10, v17
	v_add_u32_e32 v10, 0x400, v53
	v_fmac_f32_e32 v61, v11, v13
	v_fmac_f32_e32 v29, v11, v17
	ds_read2_b32 v[15:16], v10 offset1:16
	ds_read_b128 v[11:14], v51 offset:2080
	s_waitcnt lgkmcnt(1)
	v_fmac_f32_e32 v62, v15, v6
	v_fmac_f32_e32 v61, v16, v6
	s_waitcnt lgkmcnt(0)
	v_fmac_f32_e32 v60, v15, v11
	v_fmac_f32_e32 v29, v16, v11
	ds_read2_b32 v[15:16], v10 offset0:32 offset1:48
	s_waitcnt lgkmcnt(0)
	v_fmac_f32_e32 v62, v15, v7
	v_fmac_f32_e32 v61, v16, v7
	ds_read2_b32 v[6:7], v10 offset0:64 offset1:80
	v_fmac_f32_e32 v60, v15, v12
	v_fmac_f32_e32 v29, v16, v12
	ds_read2_b32 v[11:12], v10 offset0:128 offset1:144
	s_waitcnt lgkmcnt(1)
	v_fmac_f32_e32 v62, v6, v8
	v_fmac_f32_e32 v61, v7, v8
	;; [unrolled: 1-line block ×4, first 2 shown]
	ds_read2_b32 v[6:7], v10 offset0:96 offset1:112
	s_waitcnt lgkmcnt(0)
	v_fmac_f32_e32 v62, v6, v9
	v_fmac_f32_e32 v61, v7, v9
	;; [unrolled: 1-line block ×4, first 2 shown]
	ds_read_b128 v[6:9], v51 offset:2096
	v_fmac_f32_e32 v62, v11, v2
	v_fmac_f32_e32 v61, v12, v2
	s_waitcnt lgkmcnt(0)
	v_fmac_f32_e32 v60, v11, v6
	v_fmac_f32_e32 v29, v12, v6
	ds_read2_b32 v[11:12], v10 offset0:160 offset1:176
	s_waitcnt lgkmcnt(0)
	v_fmac_f32_e32 v62, v11, v3
	v_fmac_f32_e32 v61, v12, v3
	ds_read2_b32 v[2:3], v10 offset0:192 offset1:208
	v_fmac_f32_e32 v60, v11, v7
	v_fmac_f32_e32 v29, v12, v7
	s_waitcnt lgkmcnt(0)
	v_fmac_f32_e32 v62, v2, v4
	v_fmac_f32_e32 v61, v3, v4
	;; [unrolled: 1-line block ×4, first 2 shown]
	ds_read2_b32 v[2:3], v10 offset0:224 offset1:240
	v_add_u32_e32 v10, 0x800, v53
	ds_read2_b32 v[11:12], v10 offset1:16
	s_waitcnt lgkmcnt(1)
	v_fmac_f32_e32 v62, v2, v5
	v_fmac_f32_e32 v61, v3, v5
	v_fmac_f32_e32 v60, v2, v9
	v_fmac_f32_e32 v29, v3, v9
	ds_read_b128 v[2:5], v51 offset:64
	ds_read_b128 v[6:9], v51 offset:2112
	s_waitcnt lgkmcnt(1)
	v_fmac_f32_e32 v62, v11, v2
	v_fmac_f32_e32 v61, v12, v2
	s_waitcnt lgkmcnt(0)
	v_fmac_f32_e32 v60, v11, v6
	v_fmac_f32_e32 v29, v12, v6
	ds_read2_b32 v[11:12], v10 offset0:32 offset1:48
	s_waitcnt lgkmcnt(0)
	v_fmac_f32_e32 v62, v11, v3
	v_fmac_f32_e32 v61, v12, v3
	ds_read2_b32 v[2:3], v10 offset0:64 offset1:80
	v_fmac_f32_e32 v60, v11, v7
	v_fmac_f32_e32 v29, v12, v7
	s_waitcnt lgkmcnt(0)
	v_fmac_f32_e32 v62, v2, v4
	v_fmac_f32_e32 v61, v3, v4
	;; [unrolled: 1-line block ×4, first 2 shown]
	ds_read2_b32 v[2:3], v10 offset0:96 offset1:112
	s_waitcnt lgkmcnt(0)
	v_fmac_f32_e32 v62, v2, v5
	v_fmac_f32_e32 v61, v3, v5
	;; [unrolled: 1-line block ×4, first 2 shown]
	ds_read_b128 v[2:5], v51 offset:80
	ds_read2_b32 v[11:12], v10 offset0:128 offset1:144
	ds_read_b128 v[6:9], v51 offset:2128
	s_waitcnt lgkmcnt(1)
	v_fmac_f32_e32 v62, v11, v2
	v_fmac_f32_e32 v61, v12, v2
	s_waitcnt lgkmcnt(0)
	v_fmac_f32_e32 v60, v11, v6
	v_fmac_f32_e32 v29, v12, v6
	ds_read2_b32 v[11:12], v10 offset0:160 offset1:176
	s_waitcnt lgkmcnt(0)
	v_fmac_f32_e32 v62, v11, v3
	v_fmac_f32_e32 v61, v12, v3
	ds_read2_b32 v[2:3], v10 offset0:192 offset1:208
	v_fmac_f32_e32 v60, v11, v7
	v_fmac_f32_e32 v29, v12, v7
	s_waitcnt lgkmcnt(0)
	v_fmac_f32_e32 v62, v2, v4
	v_fmac_f32_e32 v61, v3, v4
	;; [unrolled: 1-line block ×4, first 2 shown]
	ds_read2_b32 v[2:3], v10 offset0:224 offset1:240
	v_add_u32_e32 v10, 0xc00, v53
	ds_read2_b32 v[11:12], v10 offset1:16
	s_waitcnt lgkmcnt(1)
	v_fmac_f32_e32 v62, v2, v5
	v_fmac_f32_e32 v61, v3, v5
	;; [unrolled: 1-line block ×4, first 2 shown]
	ds_read_b128 v[2:5], v51 offset:96
	ds_read_b128 v[6:9], v51 offset:2144
	s_waitcnt lgkmcnt(1)
	v_fmac_f32_e32 v62, v11, v2
	v_fmac_f32_e32 v61, v12, v2
	s_waitcnt lgkmcnt(0)
	v_fmac_f32_e32 v60, v11, v6
	v_fmac_f32_e32 v29, v12, v6
	ds_read2_b32 v[11:12], v10 offset0:32 offset1:48
	s_waitcnt lgkmcnt(0)
	v_fmac_f32_e32 v62, v11, v3
	v_fmac_f32_e32 v61, v12, v3
	ds_read2_b32 v[2:3], v10 offset0:64 offset1:80
	v_fmac_f32_e32 v60, v11, v7
	v_fmac_f32_e32 v29, v12, v7
	s_waitcnt lgkmcnt(0)
	v_fmac_f32_e32 v62, v2, v4
	v_fmac_f32_e32 v61, v3, v4
	;; [unrolled: 1-line block ×4, first 2 shown]
	ds_read2_b32 v[2:3], v10 offset0:96 offset1:112
	s_waitcnt lgkmcnt(0)
	v_fmac_f32_e32 v62, v2, v5
	v_fmac_f32_e32 v61, v3, v5
	;; [unrolled: 1-line block ×4, first 2 shown]
	ds_read_b128 v[2:5], v51 offset:112
	ds_read2_b32 v[11:12], v10 offset0:128 offset1:144
	ds_read_b128 v[6:9], v51 offset:2160
	s_waitcnt lgkmcnt(1)
	v_fmac_f32_e32 v62, v11, v2
	v_fmac_f32_e32 v61, v12, v2
	s_waitcnt lgkmcnt(0)
	v_fmac_f32_e32 v60, v11, v6
	v_fmac_f32_e32 v29, v12, v6
	ds_read2_b32 v[11:12], v10 offset0:160 offset1:176
	s_waitcnt lgkmcnt(0)
	v_fmac_f32_e32 v62, v11, v3
	v_fmac_f32_e32 v61, v12, v3
	ds_read2_b32 v[2:3], v10 offset0:192 offset1:208
	v_fmac_f32_e32 v60, v11, v7
	v_fmac_f32_e32 v29, v12, v7
	s_waitcnt lgkmcnt(0)
	v_fmac_f32_e32 v62, v2, v4
	v_fmac_f32_e32 v61, v3, v4
	;; [unrolled: 1-line block ×4, first 2 shown]
	ds_read2_b32 v[2:3], v10 offset0:224 offset1:240
	s_waitcnt lgkmcnt(0)
	s_barrier
	v_fmac_f32_e32 v62, v2, v5
	v_fmac_f32_e32 v60, v2, v9
	v_mov_b32_e32 v2, s27
	v_addc_co_u32_e64 v49, s[10:11], v49, v2, s[10:11]
	v_add_co_u32_e64 v46, s[10:11], s24, v46
	v_mov_b32_e32 v2, s25
	v_addc_co_u32_e64 v47, s[10:11], v47, v2, s[10:11]
	v_add_co_u32_e64 v44, s[10:11], s24, v44
	v_fmac_f32_e32 v61, v3, v5
	v_fmac_f32_e32 v29, v3, v9
	v_addc_co_u32_e64 v45, s[10:11], v45, v2, s[10:11]
	s_cbranch_scc1 .LBB16_43
.LBB16_7:                               ;   Parent Loop BB16_4 Depth=1
                                        ; =>  This Inner Loop Header: Depth=2
	v_mov_b32_e32 v2, s29
	v_add_co_u32_e64 v4, s[10:11], s28, v0
	v_addc_co_u32_e64 v5, s[10:11], 0, v2, s[10:11]
	v_cmp_eq_u64_e64 s[10:11], s[28:29], v[34:35]
	s_waitcnt vmcnt(3)
	v_add_co_u32_e64 v2, s[12:13], v44, v36
	s_and_b64 s[36:37], s[22:23], s[10:11]
	v_cmp_gt_i64_e64 s[10:11], v[4:5], v[32:33]
	s_waitcnt vmcnt(2)
	v_addc_co_u32_e64 v3, s[12:13], v45, v37, s[12:13]
	v_cmp_le_i64_e64 s[12:13], s[30:31], v[4:5]
	s_or_b64 s[14:15], s[16:17], s[10:11]
	s_or_b64 s[14:15], s[14:15], s[36:37]
	s_nor_b64 s[14:15], s[12:13], s[14:15]
                                        ; implicit-def: $vgpr6
	s_and_saveexec_b64 s[18:19], s[14:15]
	s_xor_b64 s[14:15], exec, s[18:19]
	s_cbranch_execz .LBB16_9
; %bb.8:                                ;   in Loop: Header=BB16_7 Depth=2
	global_load_dword v6, v[2:3], off
.LBB16_9:                               ;   in Loop: Header=BB16_7 Depth=2
	s_andn2_saveexec_b64 s[14:15], s[14:15]
	s_cbranch_execz .LBB16_11
; %bb.10:                               ;   in Loop: Header=BB16_7 Depth=2
	s_waitcnt vmcnt(0)
	v_cndmask_b32_e64 v6, 0, 1.0, s[36:37]
.LBB16_11:                              ;   in Loop: Header=BB16_7 Depth=2
	s_or_b64 exec, exec, s[14:15]
	s_waitcnt vmcnt(0)
	ds_write_b32 v52, v6
	v_add_co_u32_e64 v6, s[18:19], 16, v4
	v_addc_co_u32_e64 v7, s[18:19], 0, v5, s[18:19]
	v_cmp_eq_u64_e64 s[14:15], s[28:29], v[42:43]
	v_cmp_gt_i64_e64 s[18:19], v[6:7], v[32:33]
	s_and_b64 s[20:21], s[22:23], s[14:15]
	v_cmp_le_i64_e64 s[14:15], s[30:31], v[6:7]
	s_or_b64 s[18:19], s[16:17], s[18:19]
	s_or_b64 s[18:19], s[18:19], s[20:21]
	s_nor_b64 s[18:19], s[14:15], s[18:19]
	s_and_saveexec_b64 s[38:39], s[18:19]
	s_xor_b64 s[38:39], exec, s[38:39]
	s_cbranch_execz .LBB16_13
; %bb.12:                               ;   in Loop: Header=BB16_7 Depth=2
	v_add_co_u32_e64 v6, s[18:19], v46, v36
	v_addc_co_u32_e64 v7, s[18:19], v47, v37, s[18:19]
	global_load_dword v6, v[6:7], off
	s_waitcnt vmcnt(0)
	ds_write_b32 v52, v6 offset:64
.LBB16_13:                              ;   in Loop: Header=BB16_7 Depth=2
	s_andn2_saveexec_b64 s[18:19], s[38:39]
	s_cbranch_execz .LBB16_19
; %bb.14:                               ;   in Loop: Header=BB16_7 Depth=2
	s_xor_b64 s[20:21], s[20:21], -1
	s_and_saveexec_b64 s[38:39], s[20:21]
	s_xor_b64 s[20:21], exec, s[38:39]
; %bb.15:                               ;   in Loop: Header=BB16_7 Depth=2
	ds_write_b32 v52, v50 offset:64
; %bb.16:                               ;   in Loop: Header=BB16_7 Depth=2
	s_andn2_saveexec_b64 s[20:21], s[20:21]
; %bb.17:                               ;   in Loop: Header=BB16_7 Depth=2
	ds_write_b32 v52, v59 offset:64
; %bb.18:                               ;   in Loop: Header=BB16_7 Depth=2
	s_or_b64 exec, exec, s[20:21]
.LBB16_19:                              ;   in Loop: Header=BB16_7 Depth=2
	s_or_b64 exec, exec, s[18:19]
	v_cmp_eq_u64_e64 s[18:19], s[28:29], v[40:41]
	v_cmp_gt_i64_e64 s[20:21], v[4:5], v[38:39]
	s_and_b64 s[18:19], s[22:23], s[18:19]
	s_or_b64 s[20:21], s[8:9], s[20:21]
	s_or_b64 s[20:21], s[20:21], s[18:19]
	s_nor_b64 s[12:13], s[12:13], s[20:21]
                                        ; implicit-def: $vgpr4
	s_and_saveexec_b64 s[20:21], s[12:13]
	s_xor_b64 s[12:13], exec, s[20:21]
	s_cbranch_execz .LBB16_21
; %bb.20:                               ;   in Loop: Header=BB16_7 Depth=2
	global_load_dword v4, v[2:3], off offset:64
.LBB16_21:                              ;   in Loop: Header=BB16_7 Depth=2
	s_andn2_saveexec_b64 s[12:13], s[12:13]
	s_cbranch_execz .LBB16_23
; %bb.22:                               ;   in Loop: Header=BB16_7 Depth=2
	s_waitcnt vmcnt(0)
	v_cndmask_b32_e64 v4, 0, 1.0, s[18:19]
.LBB16_23:                              ;   in Loop: Header=BB16_7 Depth=2
	s_or_b64 exec, exec, s[12:13]
	s_or_b64 s[10:11], s[8:9], s[10:11]
	s_or_b64 s[10:11], s[10:11], s[36:37]
	s_nor_b64 s[10:11], s[14:15], s[10:11]
	s_waitcnt vmcnt(0)
	ds_write_b32 v52, v4 offset:2048
	s_and_saveexec_b64 s[12:13], s[10:11]
	s_xor_b64 s[12:13], exec, s[12:13]
	s_cbranch_execz .LBB16_25
; %bb.24:                               ;   in Loop: Header=BB16_7 Depth=2
	v_add_co_u32_e64 v2, s[10:11], v46, v36
	v_addc_co_u32_e64 v3, s[10:11], v47, v37, s[10:11]
	global_load_dword v2, v[2:3], off offset:64
	s_waitcnt vmcnt(0)
	ds_write_b32 v52, v2 offset:2112
.LBB16_25:                              ;   in Loop: Header=BB16_7 Depth=2
	s_andn2_saveexec_b64 s[10:11], s[12:13]
	s_cbranch_execz .LBB16_31
; %bb.26:                               ;   in Loop: Header=BB16_7 Depth=2
	s_xor_b64 s[12:13], s[36:37], -1
	s_and_saveexec_b64 s[14:15], s[12:13]
	s_xor_b64 s[12:13], exec, s[14:15]
; %bb.27:                               ;   in Loop: Header=BB16_7 Depth=2
	ds_write_b32 v52, v50 offset:2112
; %bb.28:                               ;   in Loop: Header=BB16_7 Depth=2
	s_andn2_saveexec_b64 s[12:13], s[12:13]
; %bb.29:                               ;   in Loop: Header=BB16_7 Depth=2
	ds_write_b32 v52, v59 offset:2112
; %bb.30:                               ;   in Loop: Header=BB16_7 Depth=2
	s_or_b64 exec, exec, s[12:13]
.LBB16_31:                              ;   in Loop: Header=BB16_7 Depth=2
	s_or_b64 exec, exec, s[10:11]
	v_mov_b32_e32 v3, s29
	v_add_co_u32_e64 v2, s[10:11], s28, v1
	v_addc_co_u32_e64 v3, s[10:11], 0, v3, s[10:11]
	v_cmp_le_i64_e64 s[10:11], s[30:31], v[2:3]
	v_add_co_u32_e64 v4, s[12:13], v48, v27
	v_addc_co_u32_e64 v5, s[12:13], v49, v57, s[12:13]
	s_nor_b64 s[14:15], s[10:11], vcc
	v_mov_b32_e32 v6, 0
	s_and_saveexec_b64 s[12:13], s[14:15]
	s_cbranch_execz .LBB16_33
; %bb.32:                               ;   in Loop: Header=BB16_7 Depth=2
	global_load_dword v6, v[4:5], off offset:-64
.LBB16_33:                              ;   in Loop: Header=BB16_7 Depth=2
	s_or_b64 exec, exec, s[12:13]
	s_nor_b64 s[10:11], s[10:11], s[0:1]
	s_waitcnt vmcnt(0)
	ds_write_b32 v54, v6
	s_and_saveexec_b64 s[12:13], s[10:11]
	s_xor_b64 s[10:11], exec, s[12:13]
	s_cbranch_execz .LBB16_35
; %bb.34:                               ;   in Loop: Header=BB16_7 Depth=2
	global_load_dword v4, v[4:5], off
	s_waitcnt vmcnt(0)
	ds_write_b32 v54, v4 offset:64
.LBB16_35:                              ;   in Loop: Header=BB16_7 Depth=2
	s_andn2_saveexec_b64 s[10:11], s[10:11]
; %bb.36:                               ;   in Loop: Header=BB16_7 Depth=2
	ds_write_b32 v54, v50 offset:64
; %bb.37:                               ;   in Loop: Header=BB16_7 Depth=2
	s_or_b64 exec, exec, s[10:11]
	v_cmp_le_i64_e64 s[10:11], s[34:35], v[2:3]
	v_add_co_u32_e64 v2, s[12:13], v48, v26
	v_addc_co_u32_e64 v3, s[12:13], v49, v58, s[12:13]
	s_nor_b64 s[14:15], s[10:11], vcc
	v_mov_b32_e32 v4, 0
	s_and_saveexec_b64 s[12:13], s[14:15]
	s_cbranch_execz .LBB16_39
; %bb.38:                               ;   in Loop: Header=BB16_7 Depth=2
	global_load_dword v4, v[2:3], off
.LBB16_39:                              ;   in Loop: Header=BB16_7 Depth=2
	s_or_b64 exec, exec, s[12:13]
	s_nor_b64 s[10:11], s[10:11], s[0:1]
	s_waitcnt vmcnt(0)
	ds_write_b32 v54, v4 offset:2048
	s_and_saveexec_b64 s[12:13], s[10:11]
	s_xor_b64 s[10:11], exec, s[12:13]
	s_cbranch_execz .LBB16_41
; %bb.40:                               ;   in Loop: Header=BB16_7 Depth=2
	global_load_dword v2, v[2:3], off offset:64
	s_waitcnt vmcnt(0)
	ds_write_b32 v54, v2 offset:2112
.LBB16_41:                              ;   in Loop: Header=BB16_7 Depth=2
	s_andn2_saveexec_b64 s[10:11], s[10:11]
	s_cbranch_execz .LBB16_6
; %bb.42:                               ;   in Loop: Header=BB16_7 Depth=2
	ds_write_b32 v54, v50 offset:2112
	s_branch .LBB16_6
.LBB16_43:                              ;   in Loop: Header=BB16_4 Depth=1
	v_mul_lo_u32 v4, s45, v32
	v_mul_lo_u32 v5, s44, v33
	v_mad_u64_u32 v[2:3], s[8:9], s44, v32, 0
	v_cmp_gt_i32_e64 s[8:9], s30, v32
	v_add3_u32 v3, v3, v5, v4
	v_lshlrev_b64 v[2:3], 2, v[2:3]
	v_mov_b32_e32 v4, s41
	v_add_co_u32_e64 v2, s[10:11], s40, v2
	v_addc_co_u32_e64 v3, s[10:11], v4, v3, s[10:11]
	s_and_b64 s[10:11], s[2:3], s[8:9]
	s_and_saveexec_b64 s[12:13], s[10:11]
	s_cbranch_execz .LBB16_45
; %bb.44:                               ;   in Loop: Header=BB16_4 Depth=1
	v_add_co_u32_e64 v4, s[10:11], v2, v20
	v_addc_co_u32_e64 v5, s[10:11], v3, v21, s[10:11]
	global_load_dword v6, v[4:5], off
	s_waitcnt vmcnt(0)
	v_fmac_f32_e32 v6, s33, v62
	global_store_dword v[4:5], v6, off
.LBB16_45:                              ;   in Loop: Header=BB16_4 Depth=1
	s_or_b64 exec, exec, s[12:13]
	s_and_b64 s[8:9], s[4:5], s[8:9]
	s_and_saveexec_b64 s[10:11], s[8:9]
	s_cbranch_execz .LBB16_47
; %bb.46:                               ;   in Loop: Header=BB16_4 Depth=1
	v_add_co_u32_e64 v2, s[8:9], v2, v30
	v_addc_co_u32_e64 v3, s[8:9], v3, v31, s[8:9]
	global_load_dword v4, v[2:3], off
	s_waitcnt vmcnt(0)
	v_fmac_f32_e32 v4, s33, v61
	global_store_dword v[2:3], v4, off
.LBB16_47:                              ;   in Loop: Header=BB16_4 Depth=1
	s_or_b64 exec, exec, s[10:11]
	v_add_u32_e32 v4, 16, v32
	v_ashrrev_i32_e32 v2, 31, v4
	v_mul_lo_u32 v5, s44, v2
	v_mul_lo_u32 v6, s45, v4
	v_mad_u64_u32 v[2:3], s[8:9], s44, v4, 0
	v_cmp_gt_i32_e64 s[8:9], s30, v4
	v_mov_b32_e32 v4, s41
	v_add3_u32 v3, v3, v5, v6
	v_lshlrev_b64 v[2:3], 2, v[2:3]
	v_add_co_u32_e64 v2, s[10:11], s40, v2
	v_addc_co_u32_e64 v3, s[10:11], v4, v3, s[10:11]
	s_and_b64 s[10:11], s[2:3], s[8:9]
	s_and_saveexec_b64 s[12:13], s[10:11]
	s_cbranch_execz .LBB16_49
; %bb.48:                               ;   in Loop: Header=BB16_4 Depth=1
	v_add_co_u32_e64 v4, s[10:11], v2, v20
	v_addc_co_u32_e64 v5, s[10:11], v3, v21, s[10:11]
	global_load_dword v6, v[4:5], off
	s_waitcnt vmcnt(0)
	v_fmac_f32_e32 v6, s33, v60
	global_store_dword v[4:5], v6, off
.LBB16_49:                              ;   in Loop: Header=BB16_4 Depth=1
	s_or_b64 exec, exec, s[12:13]
	s_and_b64 s[8:9], s[4:5], s[8:9]
	s_and_saveexec_b64 s[10:11], s[8:9]
	s_cbranch_execz .LBB16_3
; %bb.50:                               ;   in Loop: Header=BB16_4 Depth=1
	v_add_co_u32_e64 v2, s[8:9], v2, v30
	v_addc_co_u32_e64 v3, s[8:9], v3, v31, s[8:9]
	global_load_dword v4, v[2:3], off
	s_waitcnt vmcnt(0)
	v_fmac_f32_e32 v4, s33, v29
	global_store_dword v[2:3], v4, off
	s_branch .LBB16_3
.LBB16_51:
	s_endpgm
	.section	.rodata,"a",@progbits
	.p2align	6, 0x0
	.amdhsa_kernel _ZL30rocblas_trmm_outofplace_kernelIfLi32ELi2ELb0ELb0ELb1ELb0EPKfS0_fEv17rocblas_diagonal_iiT6_lPT7_lllS5_lllPT8_llli
		.amdhsa_group_segment_fixed_size 8192
		.amdhsa_private_segment_fixed_size 24
		.amdhsa_kernarg_size 392
		.amdhsa_user_sgpr_count 6
		.amdhsa_user_sgpr_private_segment_buffer 1
		.amdhsa_user_sgpr_dispatch_ptr 0
		.amdhsa_user_sgpr_queue_ptr 0
		.amdhsa_user_sgpr_kernarg_segment_ptr 1
		.amdhsa_user_sgpr_dispatch_id 0
		.amdhsa_user_sgpr_flat_scratch_init 0
		.amdhsa_user_sgpr_private_segment_size 0
		.amdhsa_uses_dynamic_stack 0
		.amdhsa_system_sgpr_private_segment_wavefront_offset 1
		.amdhsa_system_sgpr_workgroup_id_x 1
		.amdhsa_system_sgpr_workgroup_id_y 1
		.amdhsa_system_sgpr_workgroup_id_z 1
		.amdhsa_system_sgpr_workgroup_info 0
		.amdhsa_system_vgpr_workitem_id 1
		.amdhsa_next_free_vgpr 64
		.amdhsa_next_free_sgpr 61
		.amdhsa_reserve_vcc 1
		.amdhsa_reserve_flat_scratch 0
		.amdhsa_float_round_mode_32 0
		.amdhsa_float_round_mode_16_64 0
		.amdhsa_float_denorm_mode_32 3
		.amdhsa_float_denorm_mode_16_64 3
		.amdhsa_dx10_clamp 1
		.amdhsa_ieee_mode 1
		.amdhsa_fp16_overflow 0
		.amdhsa_exception_fp_ieee_invalid_op 0
		.amdhsa_exception_fp_denorm_src 0
		.amdhsa_exception_fp_ieee_div_zero 0
		.amdhsa_exception_fp_ieee_overflow 0
		.amdhsa_exception_fp_ieee_underflow 0
		.amdhsa_exception_fp_ieee_inexact 0
		.amdhsa_exception_int_div_zero 0
	.end_amdhsa_kernel
	.section	.text._ZL30rocblas_trmm_outofplace_kernelIfLi32ELi2ELb0ELb0ELb1ELb0EPKfS0_fEv17rocblas_diagonal_iiT6_lPT7_lllS5_lllPT8_llli,"axG",@progbits,_ZL30rocblas_trmm_outofplace_kernelIfLi32ELi2ELb0ELb0ELb1ELb0EPKfS0_fEv17rocblas_diagonal_iiT6_lPT7_lllS5_lllPT8_llli,comdat
.Lfunc_end16:
	.size	_ZL30rocblas_trmm_outofplace_kernelIfLi32ELi2ELb0ELb0ELb1ELb0EPKfS0_fEv17rocblas_diagonal_iiT6_lPT7_lllS5_lllPT8_llli, .Lfunc_end16-_ZL30rocblas_trmm_outofplace_kernelIfLi32ELi2ELb0ELb0ELb1ELb0EPKfS0_fEv17rocblas_diagonal_iiT6_lPT7_lllS5_lllPT8_llli
                                        ; -- End function
	.set _ZL30rocblas_trmm_outofplace_kernelIfLi32ELi2ELb0ELb0ELb1ELb0EPKfS0_fEv17rocblas_diagonal_iiT6_lPT7_lllS5_lllPT8_llli.num_vgpr, 64
	.set _ZL30rocblas_trmm_outofplace_kernelIfLi32ELi2ELb0ELb0ELb1ELb0EPKfS0_fEv17rocblas_diagonal_iiT6_lPT7_lllS5_lllPT8_llli.num_agpr, 0
	.set _ZL30rocblas_trmm_outofplace_kernelIfLi32ELi2ELb0ELb0ELb1ELb0EPKfS0_fEv17rocblas_diagonal_iiT6_lPT7_lllS5_lllPT8_llli.numbered_sgpr, 56
	.set _ZL30rocblas_trmm_outofplace_kernelIfLi32ELi2ELb0ELb0ELb1ELb0EPKfS0_fEv17rocblas_diagonal_iiT6_lPT7_lllS5_lllPT8_llli.num_named_barrier, 0
	.set _ZL30rocblas_trmm_outofplace_kernelIfLi32ELi2ELb0ELb0ELb1ELb0EPKfS0_fEv17rocblas_diagonal_iiT6_lPT7_lllS5_lllPT8_llli.private_seg_size, 24
	.set _ZL30rocblas_trmm_outofplace_kernelIfLi32ELi2ELb0ELb0ELb1ELb0EPKfS0_fEv17rocblas_diagonal_iiT6_lPT7_lllS5_lllPT8_llli.uses_vcc, 1
	.set _ZL30rocblas_trmm_outofplace_kernelIfLi32ELi2ELb0ELb0ELb1ELb0EPKfS0_fEv17rocblas_diagonal_iiT6_lPT7_lllS5_lllPT8_llli.uses_flat_scratch, 0
	.set _ZL30rocblas_trmm_outofplace_kernelIfLi32ELi2ELb0ELb0ELb1ELb0EPKfS0_fEv17rocblas_diagonal_iiT6_lPT7_lllS5_lllPT8_llli.has_dyn_sized_stack, 0
	.set _ZL30rocblas_trmm_outofplace_kernelIfLi32ELi2ELb0ELb0ELb1ELb0EPKfS0_fEv17rocblas_diagonal_iiT6_lPT7_lllS5_lllPT8_llli.has_recursion, 0
	.set _ZL30rocblas_trmm_outofplace_kernelIfLi32ELi2ELb0ELb0ELb1ELb0EPKfS0_fEv17rocblas_diagonal_iiT6_lPT7_lllS5_lllPT8_llli.has_indirect_call, 0
	.section	.AMDGPU.csdata,"",@progbits
; Kernel info:
; codeLenInByte = 3172
; TotalNumSgprs: 60
; NumVgprs: 64
; ScratchSize: 24
; MemoryBound: 0
; FloatMode: 240
; IeeeMode: 1
; LDSByteSize: 8192 bytes/workgroup (compile time only)
; SGPRBlocks: 8
; VGPRBlocks: 15
; NumSGPRsForWavesPerEU: 65
; NumVGPRsForWavesPerEU: 64
; Occupancy: 4
; WaveLimiterHint : 0
; COMPUTE_PGM_RSRC2:SCRATCH_EN: 1
; COMPUTE_PGM_RSRC2:USER_SGPR: 6
; COMPUTE_PGM_RSRC2:TRAP_HANDLER: 0
; COMPUTE_PGM_RSRC2:TGID_X_EN: 1
; COMPUTE_PGM_RSRC2:TGID_Y_EN: 1
; COMPUTE_PGM_RSRC2:TGID_Z_EN: 1
; COMPUTE_PGM_RSRC2:TIDIG_COMP_CNT: 1
	.section	.text._ZL30rocblas_trmm_outofplace_kernelIfLi32ELi2ELb0ELb0ELb1ELb0EfKffEv17rocblas_diagonal_iiT6_lPT7_lllS4_lllPT8_llli,"axG",@progbits,_ZL30rocblas_trmm_outofplace_kernelIfLi32ELi2ELb0ELb0ELb1ELb0EfKffEv17rocblas_diagonal_iiT6_lPT7_lllS4_lllPT8_llli,comdat
	.globl	_ZL30rocblas_trmm_outofplace_kernelIfLi32ELi2ELb0ELb0ELb1ELb0EfKffEv17rocblas_diagonal_iiT6_lPT7_lllS4_lllPT8_llli ; -- Begin function _ZL30rocblas_trmm_outofplace_kernelIfLi32ELi2ELb0ELb0ELb1ELb0EfKffEv17rocblas_diagonal_iiT6_lPT7_lllS4_lllPT8_llli
	.p2align	8
	.type	_ZL30rocblas_trmm_outofplace_kernelIfLi32ELi2ELb0ELb0ELb1ELb0EfKffEv17rocblas_diagonal_iiT6_lPT7_lllS4_lllPT8_llli,@function
_ZL30rocblas_trmm_outofplace_kernelIfLi32ELi2ELb0ELb0ELb1ELb0EfKffEv17rocblas_diagonal_iiT6_lPT7_lllS4_lllPT8_llli: ; @_ZL30rocblas_trmm_outofplace_kernelIfLi32ELi2ELb0ELb0ELb1ELb0EfKffEv17rocblas_diagonal_iiT6_lPT7_lllS4_lllPT8_llli
; %bb.0:
	s_load_dwordx4 s[28:31], s[4:5], 0x0
	s_mov_b64 s[50:51], s[2:3]
	s_mov_b64 s[48:49], s[0:1]
	s_add_u32 s48, s48, s9
	s_addc_u32 s49, s49, 0
	s_waitcnt lgkmcnt(0)
	v_cmp_eq_f32_e64 s[0:1], s31, 0
	s_and_b64 vcc, exec, s[0:1]
	s_cbranch_vccnz .LBB17_51
; %bb.1:
	s_add_i32 s0, s30, -1
	s_ashr_i32 s1, s0, 31
	s_lshr_b32 s1, s1, 27
	s_add_i32 s0, s0, s1
	s_ashr_i32 s33, s0, 5
	s_cmp_gt_i32 s7, s33
	s_cbranch_scc1 .LBB17_51
; %bb.2:
	s_load_dwordx16 s[12:27], s[4:5], 0x18
	s_load_dwordx8 s[36:43], s[4:5], 0x58
	v_lshlrev_b32_e32 v51, 7, v1
	v_mov_b32_e32 v50, 0
	v_lshl_add_u32 v28, s7, 5, v1
	s_waitcnt lgkmcnt(0)
	s_mul_i32 s1, s19, s8
	s_mul_hi_u32 s2, s18, s8
	s_mul_i32 s0, s18, s8
	s_add_i32 s1, s2, s1
	s_lshl_b64 s[10:11], s[0:1], 2
	s_add_u32 s0, s12, s10
	s_addc_u32 s1, s13, s11
	s_lshl_b64 s[14:15], s[14:15], 2
	s_add_u32 s2, s0, s14
	s_addc_u32 s3, s1, s15
	s_mul_i32 s0, s27, s8
	s_mul_hi_u32 s1, s26, s8
	s_add_i32 s1, s1, s0
	s_mul_i32 s0, s26, s8
	s_lshl_b64 s[0:1], s[0:1], 2
	s_add_u32 s9, s20, s0
	s_addc_u32 s18, s21, s1
	s_lshl_b64 s[0:1], s[22:23], 2
	s_add_u32 s9, s9, s0
	s_addc_u32 s18, s18, s1
	s_mul_i32 s0, s43, s8
	s_mul_hi_u32 s1, s42, s8
	s_add_i32 s1, s1, s0
	s_mul_i32 s0, s42, s8
	s_lshl_b64 s[0:1], s[0:1], 2
	s_add_u32 s8, s36, s0
	s_addc_u32 s19, s37, s1
	v_mad_u64_u32 v[2:3], s[0:1], s16, v0, 0
	s_lshl_b64 s[0:1], s[38:39], 2
	s_add_u32 s44, s8, s0
	s_addc_u32 s45, s19, s1
	v_mad_u64_u32 v[3:4], s[0:1], s17, v0, v[3:4]
	v_lshl_add_u32 v4, s6, 5, v0
	v_ashrrev_i32_e32 v5, 31, v4
	v_lshlrev_b64 v[2:3], 2, v[2:3]
	v_mov_b32_e32 v6, s3
	v_add_co_u32_e32 v2, vcc, s2, v2
	v_addc_co_u32_e32 v3, vcc, v6, v3, vcc
	v_lshlrev_b64 v[20:21], 2, v[4:5]
	buffer_store_dword v2, off, s[48:51], 0 ; 4-byte Folded Spill
	s_nop 0
	buffer_store_dword v3, off, s[48:51], 0 offset:4 ; 4-byte Folded Spill
	v_mov_b32_e32 v2, s18
	v_add_co_u32_e32 v6, vcc, s9, v20
	v_addc_co_u32_e32 v7, vcc, v2, v21, vcc
	buffer_store_dword v6, off, s[48:51], 0 offset:8 ; 4-byte Folded Spill
	s_nop 0
	buffer_store_dword v7, off, s[48:51], 0 offset:12 ; 4-byte Folded Spill
	s_cmpk_eq_i32 s28, 0x84
	s_cselect_b64 s[22:23], -1, 0
	s_ashr_i32 s0, s29, 31
	v_mov_b32_e32 v3, s0
	v_sub_co_u32_e32 v2, vcc, s29, v4
	v_subb_co_u32_e32 v3, vcc, v3, v5, vcc
	s_load_dword s6, s[4:5], 0x84
	v_cmp_gt_i64_e32 vcc, 1, v[2:3]
	v_cmp_gt_i64_e64 s[0:1], 17, v[2:3]
	v_cmp_gt_i32_e64 s[2:3], s29, v4
	v_add_u32_e32 v2, 16, v4
	v_mad_u64_u32 v[4:5], s[4:5], s24, v1, 0
	s_ashr_i32 s27, s30, 31
	s_lshl_b64 s[34:35], s[16:17], 7
	s_lshl_b64 s[36:37], s[24:25], 7
	s_add_u32 s38, s30, -16
	s_addc_u32 s39, s27, -1
	s_waitcnt lgkmcnt(0)
	s_lshl_b32 s46, s6, 5
	v_lshlrev_b32_e32 v7, 2, v0
	v_add_u32_e32 v52, v51, v7
	v_or_b32_e32 v53, 0x1000, v7
	v_add_u32_e32 v8, 64, v7
	v_ashrrev_i32_e32 v3, 31, v2
	v_lshlrev_b64 v[30:31], 2, v[2:3]
	s_mov_b32 s26, s30
	v_add_u32_e32 v54, v53, v51
	v_cmp_gt_i32_e64 s[4:5], s29, v2
	v_mov_b32_e32 v59, 1.0
	v_mad_u64_u32 v[5:6], s[8:9], s25, v1, v[5:6]
	s_add_u32 s8, s12, s14
	s_addc_u32 s9, s13, s15
	s_add_u32 s8, s8, s10
	s_addc_u32 s9, s9, s11
	v_mov_b32_e32 v6, s8
	v_mov_b32_e32 v7, s9
	v_mad_u64_u32 v[18:19], s[8:9], s16, v8, v[6:7]
	v_sub_co_u32_e64 v63, s[8:9], 0, v0
	v_subb_co_u32_e64 v6, s[8:9], 0, 0, s[8:9]
	buffer_store_dword v6, off, s[48:51], 0 offset:16 ; 4-byte Folded Spill
	v_mov_b32_e32 v6, v19
	v_mad_u64_u32 v[6:7], s[8:9], s17, v8, v[6:7]
	v_lshl_add_u32 v7, v1, 2, 64
	v_mad_u64_u32 v[26:27], s[8:9], s24, v7, 0
	v_mov_b32_e32 v19, v6
	v_lshlrev_b64 v[4:5], 2, v[4:5]
	v_mov_b32_e32 v6, v27
	v_mad_u64_u32 v[6:7], s[8:9], s25, v7, v[6:7]
	v_add_co_u32_e64 v27, s[8:9], 64, v4
	v_addc_co_u32_e64 v57, s[8:9], 0, v5, s[8:9]
	v_mov_b32_e32 v58, v6
	s_branch .LBB17_4
.LBB17_3:                               ;   in Loop: Header=BB17_4 Depth=1
	s_or_b64 exec, exec, s[10:11]
	s_add_i32 s7, s6, s7
	s_cmp_le_i32 s7, s33
	v_add_u32_e32 v28, s46, v28
	s_cbranch_scc0 .LBB17_51
.LBB17_4:                               ; =>This Loop Header: Depth=1
                                        ;     Child Loop BB17_7 Depth 2
	s_lshl_b32 s47, s7, 5
	v_add_u32_e32 v32, s47, v1
	v_ashrrev_i32_e32 v33, 31, v32
	s_cmp_lt_i32 s7, 0
	v_mov_b32_e32 v62, 0
	v_mov_b32_e32 v61, 0
	;; [unrolled: 1-line block ×4, first 2 shown]
	s_cbranch_scc1 .LBB17_43
; %bb.5:                                ;   in Loop: Header=BB17_4 Depth=1
	buffer_load_dword v2, off, s[48:51], 0 offset:16 ; 4-byte Folded Reload
	buffer_load_dword v44, off, s[48:51], 0 ; 4-byte Folded Reload
	buffer_load_dword v45, off, s[48:51], 0 offset:4 ; 4-byte Folded Reload
	buffer_load_dword v48, off, s[48:51], 0 offset:8 ; 4-byte Folded Reload
	;; [unrolled: 1-line block ×3, first 2 shown]
	v_ashrrev_i32_e32 v29, 31, v28
	v_add_co_u32_e64 v34, s[8:9], v63, v28
	v_add_co_u32_e64 v40, s[10:11], 16, v34
	v_lshlrev_b64 v[36:37], 2, v[28:29]
	v_mov_b32_e32 v47, v19
	v_cmp_le_i32_e64 s[16:17], s30, v32
	s_mov_b64 s[24:25], 0
	v_mov_b32_e32 v60, 0
	v_mov_b32_e32 v61, 0
	;; [unrolled: 1-line block ×4, first 2 shown]
	s_waitcnt vmcnt(4)
	v_addc_co_u32_e64 v35, s[8:9], v2, v29, s[8:9]
	v_add_co_u32_e64 v38, s[8:9], 16, v32
	v_addc_co_u32_e64 v39, s[8:9], 0, v33, s[8:9]
	v_addc_co_u32_e64 v41, s[10:11], 0, v35, s[10:11]
	v_cmp_le_i64_e64 s[8:9], s[26:27], v[38:39]
	v_add_co_u32_e64 v42, s[10:11], -16, v34
	v_addc_co_u32_e64 v43, s[10:11], -1, v35, s[10:11]
	v_mov_b32_e32 v29, 0
	s_branch .LBB17_7
.LBB17_6:                               ;   in Loop: Header=BB17_7 Depth=2
	s_or_b64 exec, exec, s[10:11]
	s_waitcnt lgkmcnt(0)
	s_barrier
	ds_read_b128 v[14:17], v51
	ds_read_b128 v[10:13], v51 offset:16
	ds_read_b128 v[6:9], v51 offset:32
	;; [unrolled: 1-line block ×3, first 2 shown]
	ds_read2_b32 v[55:56], v53 offset1:16
	ds_read_b128 v[22:25], v51 offset:2048
	v_add_co_u32_e64 v48, s[10:11], s36, v48
	s_add_u32 s24, s24, 32
	s_waitcnt lgkmcnt(1)
	v_fmac_f32_e32 v62, v55, v14
	v_fmac_f32_e32 v61, v56, v14
	s_waitcnt lgkmcnt(0)
	v_fmac_f32_e32 v60, v55, v22
	v_fmac_f32_e32 v29, v56, v22
	ds_read2_b32 v[55:56], v53 offset0:32 offset1:48
	s_addc_u32 s25, s25, 0
	s_sub_i32 s12, s24, 32
	s_cmp_ge_i32 s12, s47
	s_waitcnt lgkmcnt(0)
	v_fmac_f32_e32 v62, v55, v15
	v_fmac_f32_e32 v61, v56, v15
	ds_read2_b32 v[14:15], v53 offset0:64 offset1:80
	v_fmac_f32_e32 v60, v55, v23
	v_fmac_f32_e32 v29, v56, v23
	ds_read2_b32 v[22:23], v53 offset0:128 offset1:144
	s_waitcnt lgkmcnt(1)
	v_fmac_f32_e32 v62, v14, v16
	v_fmac_f32_e32 v61, v15, v16
	;; [unrolled: 1-line block ×4, first 2 shown]
	ds_read2_b32 v[14:15], v53 offset0:96 offset1:112
	s_waitcnt lgkmcnt(0)
	v_fmac_f32_e32 v62, v14, v17
	v_fmac_f32_e32 v61, v15, v17
	;; [unrolled: 1-line block ×4, first 2 shown]
	ds_read_b128 v[14:17], v51 offset:2064
	v_fmac_f32_e32 v62, v22, v10
	v_fmac_f32_e32 v61, v23, v10
	s_waitcnt lgkmcnt(0)
	v_fmac_f32_e32 v60, v22, v14
	v_fmac_f32_e32 v29, v23, v14
	ds_read2_b32 v[22:23], v53 offset0:160 offset1:176
	s_waitcnt lgkmcnt(0)
	v_fmac_f32_e32 v62, v22, v11
	v_fmac_f32_e32 v61, v23, v11
	ds_read2_b32 v[10:11], v53 offset0:192 offset1:208
	v_fmac_f32_e32 v60, v22, v15
	v_fmac_f32_e32 v29, v23, v15
	s_waitcnt lgkmcnt(0)
	v_fmac_f32_e32 v62, v10, v12
	v_fmac_f32_e32 v61, v11, v12
	;; [unrolled: 1-line block ×4, first 2 shown]
	ds_read2_b32 v[10:11], v53 offset0:224 offset1:240
	s_waitcnt lgkmcnt(0)
	v_fmac_f32_e32 v62, v10, v13
	v_fmac_f32_e32 v60, v10, v17
	v_add_u32_e32 v10, 0x400, v53
	v_fmac_f32_e32 v61, v11, v13
	v_fmac_f32_e32 v29, v11, v17
	ds_read2_b32 v[15:16], v10 offset1:16
	ds_read_b128 v[11:14], v51 offset:2080
	s_waitcnt lgkmcnt(1)
	v_fmac_f32_e32 v62, v15, v6
	v_fmac_f32_e32 v61, v16, v6
	s_waitcnt lgkmcnt(0)
	v_fmac_f32_e32 v60, v15, v11
	v_fmac_f32_e32 v29, v16, v11
	ds_read2_b32 v[15:16], v10 offset0:32 offset1:48
	s_waitcnt lgkmcnt(0)
	v_fmac_f32_e32 v62, v15, v7
	v_fmac_f32_e32 v61, v16, v7
	ds_read2_b32 v[6:7], v10 offset0:64 offset1:80
	v_fmac_f32_e32 v60, v15, v12
	v_fmac_f32_e32 v29, v16, v12
	ds_read2_b32 v[11:12], v10 offset0:128 offset1:144
	s_waitcnt lgkmcnt(1)
	v_fmac_f32_e32 v62, v6, v8
	v_fmac_f32_e32 v61, v7, v8
	;; [unrolled: 1-line block ×4, first 2 shown]
	ds_read2_b32 v[6:7], v10 offset0:96 offset1:112
	s_waitcnt lgkmcnt(0)
	v_fmac_f32_e32 v62, v6, v9
	v_fmac_f32_e32 v61, v7, v9
	;; [unrolled: 1-line block ×4, first 2 shown]
	ds_read_b128 v[6:9], v51 offset:2096
	v_fmac_f32_e32 v62, v11, v2
	v_fmac_f32_e32 v61, v12, v2
	s_waitcnt lgkmcnt(0)
	v_fmac_f32_e32 v60, v11, v6
	v_fmac_f32_e32 v29, v12, v6
	ds_read2_b32 v[11:12], v10 offset0:160 offset1:176
	s_waitcnt lgkmcnt(0)
	v_fmac_f32_e32 v62, v11, v3
	v_fmac_f32_e32 v61, v12, v3
	ds_read2_b32 v[2:3], v10 offset0:192 offset1:208
	v_fmac_f32_e32 v60, v11, v7
	v_fmac_f32_e32 v29, v12, v7
	s_waitcnt lgkmcnt(0)
	v_fmac_f32_e32 v62, v2, v4
	v_fmac_f32_e32 v61, v3, v4
	v_fmac_f32_e32 v60, v2, v8
	v_fmac_f32_e32 v29, v3, v8
	ds_read2_b32 v[2:3], v10 offset0:224 offset1:240
	v_add_u32_e32 v10, 0x800, v53
	ds_read2_b32 v[11:12], v10 offset1:16
	s_waitcnt lgkmcnt(1)
	v_fmac_f32_e32 v62, v2, v5
	v_fmac_f32_e32 v61, v3, v5
	;; [unrolled: 1-line block ×4, first 2 shown]
	ds_read_b128 v[2:5], v51 offset:64
	ds_read_b128 v[6:9], v51 offset:2112
	s_waitcnt lgkmcnt(1)
	v_fmac_f32_e32 v62, v11, v2
	v_fmac_f32_e32 v61, v12, v2
	s_waitcnt lgkmcnt(0)
	v_fmac_f32_e32 v60, v11, v6
	v_fmac_f32_e32 v29, v12, v6
	ds_read2_b32 v[11:12], v10 offset0:32 offset1:48
	s_waitcnt lgkmcnt(0)
	v_fmac_f32_e32 v62, v11, v3
	v_fmac_f32_e32 v61, v12, v3
	ds_read2_b32 v[2:3], v10 offset0:64 offset1:80
	v_fmac_f32_e32 v60, v11, v7
	v_fmac_f32_e32 v29, v12, v7
	s_waitcnt lgkmcnt(0)
	v_fmac_f32_e32 v62, v2, v4
	v_fmac_f32_e32 v61, v3, v4
	;; [unrolled: 1-line block ×4, first 2 shown]
	ds_read2_b32 v[2:3], v10 offset0:96 offset1:112
	s_waitcnt lgkmcnt(0)
	v_fmac_f32_e32 v62, v2, v5
	v_fmac_f32_e32 v61, v3, v5
	;; [unrolled: 1-line block ×4, first 2 shown]
	ds_read_b128 v[2:5], v51 offset:80
	ds_read2_b32 v[11:12], v10 offset0:128 offset1:144
	ds_read_b128 v[6:9], v51 offset:2128
	s_waitcnt lgkmcnt(1)
	v_fmac_f32_e32 v62, v11, v2
	v_fmac_f32_e32 v61, v12, v2
	s_waitcnt lgkmcnt(0)
	v_fmac_f32_e32 v60, v11, v6
	v_fmac_f32_e32 v29, v12, v6
	ds_read2_b32 v[11:12], v10 offset0:160 offset1:176
	s_waitcnt lgkmcnt(0)
	v_fmac_f32_e32 v62, v11, v3
	v_fmac_f32_e32 v61, v12, v3
	ds_read2_b32 v[2:3], v10 offset0:192 offset1:208
	v_fmac_f32_e32 v60, v11, v7
	v_fmac_f32_e32 v29, v12, v7
	s_waitcnt lgkmcnt(0)
	v_fmac_f32_e32 v62, v2, v4
	v_fmac_f32_e32 v61, v3, v4
	v_fmac_f32_e32 v60, v2, v8
	v_fmac_f32_e32 v29, v3, v8
	ds_read2_b32 v[2:3], v10 offset0:224 offset1:240
	v_add_u32_e32 v10, 0xc00, v53
	ds_read2_b32 v[11:12], v10 offset1:16
	s_waitcnt lgkmcnt(1)
	v_fmac_f32_e32 v62, v2, v5
	v_fmac_f32_e32 v61, v3, v5
	;; [unrolled: 1-line block ×4, first 2 shown]
	ds_read_b128 v[2:5], v51 offset:96
	ds_read_b128 v[6:9], v51 offset:2144
	s_waitcnt lgkmcnt(1)
	v_fmac_f32_e32 v62, v11, v2
	v_fmac_f32_e32 v61, v12, v2
	s_waitcnt lgkmcnt(0)
	v_fmac_f32_e32 v60, v11, v6
	v_fmac_f32_e32 v29, v12, v6
	ds_read2_b32 v[11:12], v10 offset0:32 offset1:48
	s_waitcnt lgkmcnt(0)
	v_fmac_f32_e32 v62, v11, v3
	v_fmac_f32_e32 v61, v12, v3
	ds_read2_b32 v[2:3], v10 offset0:64 offset1:80
	v_fmac_f32_e32 v60, v11, v7
	v_fmac_f32_e32 v29, v12, v7
	s_waitcnt lgkmcnt(0)
	v_fmac_f32_e32 v62, v2, v4
	v_fmac_f32_e32 v61, v3, v4
	;; [unrolled: 1-line block ×4, first 2 shown]
	ds_read2_b32 v[2:3], v10 offset0:96 offset1:112
	s_waitcnt lgkmcnt(0)
	v_fmac_f32_e32 v62, v2, v5
	v_fmac_f32_e32 v61, v3, v5
	;; [unrolled: 1-line block ×4, first 2 shown]
	ds_read_b128 v[2:5], v51 offset:112
	ds_read2_b32 v[11:12], v10 offset0:128 offset1:144
	ds_read_b128 v[6:9], v51 offset:2160
	s_waitcnt lgkmcnt(1)
	v_fmac_f32_e32 v62, v11, v2
	v_fmac_f32_e32 v61, v12, v2
	s_waitcnt lgkmcnt(0)
	v_fmac_f32_e32 v60, v11, v6
	v_fmac_f32_e32 v29, v12, v6
	ds_read2_b32 v[11:12], v10 offset0:160 offset1:176
	s_waitcnt lgkmcnt(0)
	v_fmac_f32_e32 v62, v11, v3
	v_fmac_f32_e32 v61, v12, v3
	ds_read2_b32 v[2:3], v10 offset0:192 offset1:208
	v_fmac_f32_e32 v60, v11, v7
	v_fmac_f32_e32 v29, v12, v7
	s_waitcnt lgkmcnt(0)
	v_fmac_f32_e32 v62, v2, v4
	v_fmac_f32_e32 v61, v3, v4
	;; [unrolled: 1-line block ×4, first 2 shown]
	ds_read2_b32 v[2:3], v10 offset0:224 offset1:240
	s_waitcnt lgkmcnt(0)
	s_barrier
	v_fmac_f32_e32 v62, v2, v5
	v_fmac_f32_e32 v60, v2, v9
	v_mov_b32_e32 v2, s37
	v_addc_co_u32_e64 v49, s[10:11], v49, v2, s[10:11]
	v_add_co_u32_e64 v46, s[10:11], s34, v46
	v_mov_b32_e32 v2, s35
	v_addc_co_u32_e64 v47, s[10:11], v47, v2, s[10:11]
	v_add_co_u32_e64 v44, s[10:11], s34, v44
	v_fmac_f32_e32 v61, v3, v5
	v_fmac_f32_e32 v29, v3, v9
	v_addc_co_u32_e64 v45, s[10:11], v45, v2, s[10:11]
	s_cbranch_scc1 .LBB17_43
.LBB17_7:                               ;   Parent Loop BB17_4 Depth=1
                                        ; =>  This Inner Loop Header: Depth=2
	v_mov_b32_e32 v2, s25
	v_add_co_u32_e64 v4, s[10:11], s24, v0
	v_addc_co_u32_e64 v5, s[10:11], 0, v2, s[10:11]
	v_cmp_eq_u64_e64 s[10:11], s[24:25], v[34:35]
	s_waitcnt vmcnt(3)
	v_add_co_u32_e64 v2, s[12:13], v44, v36
	s_and_b64 s[28:29], s[22:23], s[10:11]
	v_cmp_gt_i64_e64 s[10:11], v[4:5], v[32:33]
	s_waitcnt vmcnt(2)
	v_addc_co_u32_e64 v3, s[12:13], v45, v37, s[12:13]
	v_cmp_le_i64_e64 s[12:13], s[26:27], v[4:5]
	s_or_b64 s[14:15], s[16:17], s[10:11]
	s_or_b64 s[14:15], s[14:15], s[28:29]
	s_nor_b64 s[14:15], s[12:13], s[14:15]
                                        ; implicit-def: $vgpr6
	s_and_saveexec_b64 s[18:19], s[14:15]
	s_xor_b64 s[14:15], exec, s[18:19]
	s_cbranch_execz .LBB17_9
; %bb.8:                                ;   in Loop: Header=BB17_7 Depth=2
	global_load_dword v6, v[2:3], off
.LBB17_9:                               ;   in Loop: Header=BB17_7 Depth=2
	s_andn2_saveexec_b64 s[14:15], s[14:15]
	s_cbranch_execz .LBB17_11
; %bb.10:                               ;   in Loop: Header=BB17_7 Depth=2
	s_waitcnt vmcnt(0)
	v_cndmask_b32_e64 v6, 0, 1.0, s[28:29]
.LBB17_11:                              ;   in Loop: Header=BB17_7 Depth=2
	s_or_b64 exec, exec, s[14:15]
	s_waitcnt vmcnt(0)
	ds_write_b32 v52, v6
	v_add_co_u32_e64 v6, s[18:19], 16, v4
	v_addc_co_u32_e64 v7, s[18:19], 0, v5, s[18:19]
	v_cmp_eq_u64_e64 s[14:15], s[24:25], v[42:43]
	v_cmp_gt_i64_e64 s[18:19], v[6:7], v[32:33]
	s_and_b64 s[20:21], s[22:23], s[14:15]
	v_cmp_le_i64_e64 s[14:15], s[26:27], v[6:7]
	s_or_b64 s[18:19], s[16:17], s[18:19]
	s_or_b64 s[18:19], s[18:19], s[20:21]
	s_nor_b64 s[18:19], s[14:15], s[18:19]
	s_and_saveexec_b64 s[42:43], s[18:19]
	s_xor_b64 s[42:43], exec, s[42:43]
	s_cbranch_execz .LBB17_13
; %bb.12:                               ;   in Loop: Header=BB17_7 Depth=2
	v_add_co_u32_e64 v6, s[18:19], v46, v36
	v_addc_co_u32_e64 v7, s[18:19], v47, v37, s[18:19]
	global_load_dword v6, v[6:7], off
	s_waitcnt vmcnt(0)
	ds_write_b32 v52, v6 offset:64
.LBB17_13:                              ;   in Loop: Header=BB17_7 Depth=2
	s_andn2_saveexec_b64 s[18:19], s[42:43]
	s_cbranch_execz .LBB17_19
; %bb.14:                               ;   in Loop: Header=BB17_7 Depth=2
	s_xor_b64 s[20:21], s[20:21], -1
	s_and_saveexec_b64 s[42:43], s[20:21]
	s_xor_b64 s[20:21], exec, s[42:43]
; %bb.15:                               ;   in Loop: Header=BB17_7 Depth=2
	ds_write_b32 v52, v50 offset:64
; %bb.16:                               ;   in Loop: Header=BB17_7 Depth=2
	s_andn2_saveexec_b64 s[20:21], s[20:21]
; %bb.17:                               ;   in Loop: Header=BB17_7 Depth=2
	ds_write_b32 v52, v59 offset:64
; %bb.18:                               ;   in Loop: Header=BB17_7 Depth=2
	s_or_b64 exec, exec, s[20:21]
.LBB17_19:                              ;   in Loop: Header=BB17_7 Depth=2
	s_or_b64 exec, exec, s[18:19]
	v_cmp_eq_u64_e64 s[18:19], s[24:25], v[40:41]
	v_cmp_gt_i64_e64 s[20:21], v[4:5], v[38:39]
	s_and_b64 s[18:19], s[22:23], s[18:19]
	s_or_b64 s[20:21], s[8:9], s[20:21]
	s_or_b64 s[20:21], s[20:21], s[18:19]
	s_nor_b64 s[12:13], s[12:13], s[20:21]
                                        ; implicit-def: $vgpr4
	s_and_saveexec_b64 s[20:21], s[12:13]
	s_xor_b64 s[12:13], exec, s[20:21]
	s_cbranch_execz .LBB17_21
; %bb.20:                               ;   in Loop: Header=BB17_7 Depth=2
	global_load_dword v4, v[2:3], off offset:64
.LBB17_21:                              ;   in Loop: Header=BB17_7 Depth=2
	s_andn2_saveexec_b64 s[12:13], s[12:13]
	s_cbranch_execz .LBB17_23
; %bb.22:                               ;   in Loop: Header=BB17_7 Depth=2
	s_waitcnt vmcnt(0)
	v_cndmask_b32_e64 v4, 0, 1.0, s[18:19]
.LBB17_23:                              ;   in Loop: Header=BB17_7 Depth=2
	s_or_b64 exec, exec, s[12:13]
	s_or_b64 s[10:11], s[8:9], s[10:11]
	s_or_b64 s[10:11], s[10:11], s[28:29]
	s_nor_b64 s[10:11], s[14:15], s[10:11]
	s_waitcnt vmcnt(0)
	ds_write_b32 v52, v4 offset:2048
	s_and_saveexec_b64 s[12:13], s[10:11]
	s_xor_b64 s[12:13], exec, s[12:13]
	s_cbranch_execz .LBB17_25
; %bb.24:                               ;   in Loop: Header=BB17_7 Depth=2
	v_add_co_u32_e64 v2, s[10:11], v46, v36
	v_addc_co_u32_e64 v3, s[10:11], v47, v37, s[10:11]
	global_load_dword v2, v[2:3], off offset:64
	s_waitcnt vmcnt(0)
	ds_write_b32 v52, v2 offset:2112
.LBB17_25:                              ;   in Loop: Header=BB17_7 Depth=2
	s_andn2_saveexec_b64 s[10:11], s[12:13]
	s_cbranch_execz .LBB17_31
; %bb.26:                               ;   in Loop: Header=BB17_7 Depth=2
	s_xor_b64 s[12:13], s[28:29], -1
	s_and_saveexec_b64 s[14:15], s[12:13]
	s_xor_b64 s[12:13], exec, s[14:15]
; %bb.27:                               ;   in Loop: Header=BB17_7 Depth=2
	ds_write_b32 v52, v50 offset:2112
; %bb.28:                               ;   in Loop: Header=BB17_7 Depth=2
	s_andn2_saveexec_b64 s[12:13], s[12:13]
; %bb.29:                               ;   in Loop: Header=BB17_7 Depth=2
	ds_write_b32 v52, v59 offset:2112
; %bb.30:                               ;   in Loop: Header=BB17_7 Depth=2
	s_or_b64 exec, exec, s[12:13]
.LBB17_31:                              ;   in Loop: Header=BB17_7 Depth=2
	s_or_b64 exec, exec, s[10:11]
	v_mov_b32_e32 v3, s25
	v_add_co_u32_e64 v2, s[10:11], s24, v1
	v_addc_co_u32_e64 v3, s[10:11], 0, v3, s[10:11]
	v_cmp_le_i64_e64 s[10:11], s[26:27], v[2:3]
	v_add_co_u32_e64 v4, s[12:13], v48, v27
	v_addc_co_u32_e64 v5, s[12:13], v49, v57, s[12:13]
	s_nor_b64 s[14:15], s[10:11], vcc
	v_mov_b32_e32 v6, 0
	s_and_saveexec_b64 s[12:13], s[14:15]
	s_cbranch_execz .LBB17_33
; %bb.32:                               ;   in Loop: Header=BB17_7 Depth=2
	global_load_dword v6, v[4:5], off offset:-64
.LBB17_33:                              ;   in Loop: Header=BB17_7 Depth=2
	s_or_b64 exec, exec, s[12:13]
	s_nor_b64 s[10:11], s[10:11], s[0:1]
	s_waitcnt vmcnt(0)
	ds_write_b32 v54, v6
	s_and_saveexec_b64 s[12:13], s[10:11]
	s_xor_b64 s[10:11], exec, s[12:13]
	s_cbranch_execz .LBB17_35
; %bb.34:                               ;   in Loop: Header=BB17_7 Depth=2
	global_load_dword v4, v[4:5], off
	s_waitcnt vmcnt(0)
	ds_write_b32 v54, v4 offset:64
.LBB17_35:                              ;   in Loop: Header=BB17_7 Depth=2
	s_andn2_saveexec_b64 s[10:11], s[10:11]
; %bb.36:                               ;   in Loop: Header=BB17_7 Depth=2
	ds_write_b32 v54, v50 offset:64
; %bb.37:                               ;   in Loop: Header=BB17_7 Depth=2
	s_or_b64 exec, exec, s[10:11]
	v_cmp_le_i64_e64 s[10:11], s[38:39], v[2:3]
	v_add_co_u32_e64 v2, s[12:13], v48, v26
	v_addc_co_u32_e64 v3, s[12:13], v49, v58, s[12:13]
	s_nor_b64 s[14:15], s[10:11], vcc
	v_mov_b32_e32 v4, 0
	s_and_saveexec_b64 s[12:13], s[14:15]
	s_cbranch_execz .LBB17_39
; %bb.38:                               ;   in Loop: Header=BB17_7 Depth=2
	global_load_dword v4, v[2:3], off
.LBB17_39:                              ;   in Loop: Header=BB17_7 Depth=2
	s_or_b64 exec, exec, s[12:13]
	s_nor_b64 s[10:11], s[10:11], s[0:1]
	s_waitcnt vmcnt(0)
	ds_write_b32 v54, v4 offset:2048
	s_and_saveexec_b64 s[12:13], s[10:11]
	s_xor_b64 s[10:11], exec, s[12:13]
	s_cbranch_execz .LBB17_41
; %bb.40:                               ;   in Loop: Header=BB17_7 Depth=2
	global_load_dword v2, v[2:3], off offset:64
	s_waitcnt vmcnt(0)
	ds_write_b32 v54, v2 offset:2112
.LBB17_41:                              ;   in Loop: Header=BB17_7 Depth=2
	s_andn2_saveexec_b64 s[10:11], s[10:11]
	s_cbranch_execz .LBB17_6
; %bb.42:                               ;   in Loop: Header=BB17_7 Depth=2
	ds_write_b32 v54, v50 offset:2112
	s_branch .LBB17_6
.LBB17_43:                              ;   in Loop: Header=BB17_4 Depth=1
	v_mul_lo_u32 v4, s41, v32
	v_mul_lo_u32 v5, s40, v33
	v_mad_u64_u32 v[2:3], s[8:9], s40, v32, 0
	v_cmp_gt_i32_e64 s[8:9], s30, v32
	v_add3_u32 v3, v3, v5, v4
	v_lshlrev_b64 v[2:3], 2, v[2:3]
	v_mov_b32_e32 v4, s45
	v_add_co_u32_e64 v2, s[10:11], s44, v2
	v_addc_co_u32_e64 v3, s[10:11], v4, v3, s[10:11]
	s_and_b64 s[10:11], s[2:3], s[8:9]
	s_and_saveexec_b64 s[12:13], s[10:11]
	s_cbranch_execz .LBB17_45
; %bb.44:                               ;   in Loop: Header=BB17_4 Depth=1
	v_add_co_u32_e64 v4, s[10:11], v2, v20
	v_addc_co_u32_e64 v5, s[10:11], v3, v21, s[10:11]
	global_load_dword v6, v[4:5], off
	s_waitcnt vmcnt(0)
	v_fmac_f32_e32 v6, s31, v62
	global_store_dword v[4:5], v6, off
.LBB17_45:                              ;   in Loop: Header=BB17_4 Depth=1
	s_or_b64 exec, exec, s[12:13]
	s_and_b64 s[8:9], s[4:5], s[8:9]
	s_and_saveexec_b64 s[10:11], s[8:9]
	s_cbranch_execz .LBB17_47
; %bb.46:                               ;   in Loop: Header=BB17_4 Depth=1
	v_add_co_u32_e64 v2, s[8:9], v2, v30
	v_addc_co_u32_e64 v3, s[8:9], v3, v31, s[8:9]
	global_load_dword v4, v[2:3], off
	s_waitcnt vmcnt(0)
	v_fmac_f32_e32 v4, s31, v61
	global_store_dword v[2:3], v4, off
.LBB17_47:                              ;   in Loop: Header=BB17_4 Depth=1
	s_or_b64 exec, exec, s[10:11]
	v_add_u32_e32 v4, 16, v32
	v_ashrrev_i32_e32 v2, 31, v4
	v_mul_lo_u32 v5, s40, v2
	v_mul_lo_u32 v6, s41, v4
	v_mad_u64_u32 v[2:3], s[8:9], s40, v4, 0
	v_cmp_gt_i32_e64 s[8:9], s30, v4
	v_mov_b32_e32 v4, s45
	v_add3_u32 v3, v3, v5, v6
	v_lshlrev_b64 v[2:3], 2, v[2:3]
	v_add_co_u32_e64 v2, s[10:11], s44, v2
	v_addc_co_u32_e64 v3, s[10:11], v4, v3, s[10:11]
	s_and_b64 s[10:11], s[2:3], s[8:9]
	s_and_saveexec_b64 s[12:13], s[10:11]
	s_cbranch_execz .LBB17_49
; %bb.48:                               ;   in Loop: Header=BB17_4 Depth=1
	v_add_co_u32_e64 v4, s[10:11], v2, v20
	v_addc_co_u32_e64 v5, s[10:11], v3, v21, s[10:11]
	global_load_dword v6, v[4:5], off
	s_waitcnt vmcnt(0)
	v_fmac_f32_e32 v6, s31, v60
	global_store_dword v[4:5], v6, off
.LBB17_49:                              ;   in Loop: Header=BB17_4 Depth=1
	s_or_b64 exec, exec, s[12:13]
	s_and_b64 s[8:9], s[4:5], s[8:9]
	s_and_saveexec_b64 s[10:11], s[8:9]
	s_cbranch_execz .LBB17_3
; %bb.50:                               ;   in Loop: Header=BB17_4 Depth=1
	v_add_co_u32_e64 v2, s[8:9], v2, v30
	v_addc_co_u32_e64 v3, s[8:9], v3, v31, s[8:9]
	global_load_dword v4, v[2:3], off
	s_waitcnt vmcnt(0)
	v_fmac_f32_e32 v4, s31, v29
	global_store_dword v[2:3], v4, off
	s_branch .LBB17_3
.LBB17_51:
	s_endpgm
	.section	.rodata,"a",@progbits
	.p2align	6, 0x0
	.amdhsa_kernel _ZL30rocblas_trmm_outofplace_kernelIfLi32ELi2ELb0ELb0ELb1ELb0EfKffEv17rocblas_diagonal_iiT6_lPT7_lllS4_lllPT8_llli
		.amdhsa_group_segment_fixed_size 8192
		.amdhsa_private_segment_fixed_size 24
		.amdhsa_kernarg_size 384
		.amdhsa_user_sgpr_count 6
		.amdhsa_user_sgpr_private_segment_buffer 1
		.amdhsa_user_sgpr_dispatch_ptr 0
		.amdhsa_user_sgpr_queue_ptr 0
		.amdhsa_user_sgpr_kernarg_segment_ptr 1
		.amdhsa_user_sgpr_dispatch_id 0
		.amdhsa_user_sgpr_flat_scratch_init 0
		.amdhsa_user_sgpr_private_segment_size 0
		.amdhsa_uses_dynamic_stack 0
		.amdhsa_system_sgpr_private_segment_wavefront_offset 1
		.amdhsa_system_sgpr_workgroup_id_x 1
		.amdhsa_system_sgpr_workgroup_id_y 1
		.amdhsa_system_sgpr_workgroup_id_z 1
		.amdhsa_system_sgpr_workgroup_info 0
		.amdhsa_system_vgpr_workitem_id 1
		.amdhsa_next_free_vgpr 64
		.amdhsa_next_free_sgpr 61
		.amdhsa_reserve_vcc 1
		.amdhsa_reserve_flat_scratch 0
		.amdhsa_float_round_mode_32 0
		.amdhsa_float_round_mode_16_64 0
		.amdhsa_float_denorm_mode_32 3
		.amdhsa_float_denorm_mode_16_64 3
		.amdhsa_dx10_clamp 1
		.amdhsa_ieee_mode 1
		.amdhsa_fp16_overflow 0
		.amdhsa_exception_fp_ieee_invalid_op 0
		.amdhsa_exception_fp_denorm_src 0
		.amdhsa_exception_fp_ieee_div_zero 0
		.amdhsa_exception_fp_ieee_overflow 0
		.amdhsa_exception_fp_ieee_underflow 0
		.amdhsa_exception_fp_ieee_inexact 0
		.amdhsa_exception_int_div_zero 0
	.end_amdhsa_kernel
	.section	.text._ZL30rocblas_trmm_outofplace_kernelIfLi32ELi2ELb0ELb0ELb1ELb0EfKffEv17rocblas_diagonal_iiT6_lPT7_lllS4_lllPT8_llli,"axG",@progbits,_ZL30rocblas_trmm_outofplace_kernelIfLi32ELi2ELb0ELb0ELb1ELb0EfKffEv17rocblas_diagonal_iiT6_lPT7_lllS4_lllPT8_llli,comdat
.Lfunc_end17:
	.size	_ZL30rocblas_trmm_outofplace_kernelIfLi32ELi2ELb0ELb0ELb1ELb0EfKffEv17rocblas_diagonal_iiT6_lPT7_lllS4_lllPT8_llli, .Lfunc_end17-_ZL30rocblas_trmm_outofplace_kernelIfLi32ELi2ELb0ELb0ELb1ELb0EfKffEv17rocblas_diagonal_iiT6_lPT7_lllS4_lllPT8_llli
                                        ; -- End function
	.set _ZL30rocblas_trmm_outofplace_kernelIfLi32ELi2ELb0ELb0ELb1ELb0EfKffEv17rocblas_diagonal_iiT6_lPT7_lllS4_lllPT8_llli.num_vgpr, 64
	.set _ZL30rocblas_trmm_outofplace_kernelIfLi32ELi2ELb0ELb0ELb1ELb0EfKffEv17rocblas_diagonal_iiT6_lPT7_lllS4_lllPT8_llli.num_agpr, 0
	.set _ZL30rocblas_trmm_outofplace_kernelIfLi32ELi2ELb0ELb0ELb1ELb0EfKffEv17rocblas_diagonal_iiT6_lPT7_lllS4_lllPT8_llli.numbered_sgpr, 52
	.set _ZL30rocblas_trmm_outofplace_kernelIfLi32ELi2ELb0ELb0ELb1ELb0EfKffEv17rocblas_diagonal_iiT6_lPT7_lllS4_lllPT8_llli.num_named_barrier, 0
	.set _ZL30rocblas_trmm_outofplace_kernelIfLi32ELi2ELb0ELb0ELb1ELb0EfKffEv17rocblas_diagonal_iiT6_lPT7_lllS4_lllPT8_llli.private_seg_size, 24
	.set _ZL30rocblas_trmm_outofplace_kernelIfLi32ELi2ELb0ELb0ELb1ELb0EfKffEv17rocblas_diagonal_iiT6_lPT7_lllS4_lllPT8_llli.uses_vcc, 1
	.set _ZL30rocblas_trmm_outofplace_kernelIfLi32ELi2ELb0ELb0ELb1ELb0EfKffEv17rocblas_diagonal_iiT6_lPT7_lllS4_lllPT8_llli.uses_flat_scratch, 0
	.set _ZL30rocblas_trmm_outofplace_kernelIfLi32ELi2ELb0ELb0ELb1ELb0EfKffEv17rocblas_diagonal_iiT6_lPT7_lllS4_lllPT8_llli.has_dyn_sized_stack, 0
	.set _ZL30rocblas_trmm_outofplace_kernelIfLi32ELi2ELb0ELb0ELb1ELb0EfKffEv17rocblas_diagonal_iiT6_lPT7_lllS4_lllPT8_llli.has_recursion, 0
	.set _ZL30rocblas_trmm_outofplace_kernelIfLi32ELi2ELb0ELb0ELb1ELb0EfKffEv17rocblas_diagonal_iiT6_lPT7_lllS4_lllPT8_llli.has_indirect_call, 0
	.section	.AMDGPU.csdata,"",@progbits
; Kernel info:
; codeLenInByte = 3124
; TotalNumSgprs: 56
; NumVgprs: 64
; ScratchSize: 24
; MemoryBound: 0
; FloatMode: 240
; IeeeMode: 1
; LDSByteSize: 8192 bytes/workgroup (compile time only)
; SGPRBlocks: 8
; VGPRBlocks: 15
; NumSGPRsForWavesPerEU: 65
; NumVGPRsForWavesPerEU: 64
; Occupancy: 4
; WaveLimiterHint : 0
; COMPUTE_PGM_RSRC2:SCRATCH_EN: 1
; COMPUTE_PGM_RSRC2:USER_SGPR: 6
; COMPUTE_PGM_RSRC2:TRAP_HANDLER: 0
; COMPUTE_PGM_RSRC2:TGID_X_EN: 1
; COMPUTE_PGM_RSRC2:TGID_Y_EN: 1
; COMPUTE_PGM_RSRC2:TGID_Z_EN: 1
; COMPUTE_PGM_RSRC2:TIDIG_COMP_CNT: 1
	.section	.text._ZL30rocblas_trmm_outofplace_kernelIfLi32ELi2ELb0ELb1ELb1ELb0EPKfS0_fEv17rocblas_diagonal_iiT6_lPT7_lllS5_lllPT8_llli,"axG",@progbits,_ZL30rocblas_trmm_outofplace_kernelIfLi32ELi2ELb0ELb1ELb1ELb0EPKfS0_fEv17rocblas_diagonal_iiT6_lPT7_lllS5_lllPT8_llli,comdat
	.globl	_ZL30rocblas_trmm_outofplace_kernelIfLi32ELi2ELb0ELb1ELb1ELb0EPKfS0_fEv17rocblas_diagonal_iiT6_lPT7_lllS5_lllPT8_llli ; -- Begin function _ZL30rocblas_trmm_outofplace_kernelIfLi32ELi2ELb0ELb1ELb1ELb0EPKfS0_fEv17rocblas_diagonal_iiT6_lPT7_lllS5_lllPT8_llli
	.p2align	8
	.type	_ZL30rocblas_trmm_outofplace_kernelIfLi32ELi2ELb0ELb1ELb1ELb0EPKfS0_fEv17rocblas_diagonal_iiT6_lPT7_lllS5_lllPT8_llli,@function
_ZL30rocblas_trmm_outofplace_kernelIfLi32ELi2ELb0ELb1ELb1ELb0EPKfS0_fEv17rocblas_diagonal_iiT6_lPT7_lllS5_lllPT8_llli: ; @_ZL30rocblas_trmm_outofplace_kernelIfLi32ELi2ELb0ELb1ELb1ELb0EPKfS0_fEv17rocblas_diagonal_iiT6_lPT7_lllS5_lllPT8_llli
; %bb.0:
	s_load_dwordx16 s[16:31], s[4:5], 0x10
	s_mov_b64 s[66:67], s[2:3]
	s_mov_b64 s[64:65], s[0:1]
	s_add_u32 s64, s64, s9
	s_addc_u32 s65, s65, 0
	s_waitcnt lgkmcnt(0)
	s_mul_i32 s0, s19, s8
	s_mul_hi_u32 s1, s18, s8
	s_add_i32 s1, s1, s0
	s_mul_i32 s0, s18, s8
	s_lshl_b64 s[0:1], s[0:1], 2
	s_add_u32 s0, s16, s0
	s_addc_u32 s1, s17, s1
	s_load_dword s33, s[0:1], 0x0
	s_waitcnt lgkmcnt(0)
	v_cmp_eq_f32_e64 s[0:1], s33, 0
	s_and_b64 vcc, exec, s[0:1]
	s_cbranch_vccnz .LBB18_51
; %bb.1:
	s_load_dwordx4 s[44:47], s[4:5], 0x0
	s_waitcnt lgkmcnt(0)
	s_add_i32 s0, s46, -1
	s_ashr_i32 s1, s0, 31
	s_lshr_b32 s1, s1, 27
	s_add_i32 s0, s0, s1
	s_ashr_i32 s56, s0, 5
	s_cmp_gt_i32 s7, s56
	s_cbranch_scc1 .LBB18_51
; %bb.2:
	s_load_dwordx4 s[48:51], s[4:5], 0x70
	s_load_dwordx8 s[36:43], s[4:5], 0x50
	s_load_dword s57, s[4:5], 0x8c
	v_lshl_add_u32 v2, s6, 5, v0
	v_add_u32_e32 v18, 16, v2
	s_waitcnt lgkmcnt(0)
	s_mul_i32 s1, s51, s8
	s_mul_hi_u32 s2, s50, s8
	s_mul_i32 s0, s50, s8
	s_add_i32 s1, s2, s1
	s_lshl_b64 s[0:1], s[0:1], 2
	s_add_u32 s2, s40, s0
	s_addc_u32 s3, s41, s1
	s_lshl_b64 s[0:1], s[42:43], 2
	s_add_u32 s58, s2, s0
	s_addc_u32 s59, s3, s1
	s_cmpk_eq_i32 s44, 0x84
	s_cselect_b64 s[34:35], -1, 0
	s_ashr_i32 s47, s46, 31
	s_ashr_i32 s0, s45, 31
	s_lshl_b64 s[40:41], s[24:25], 7
	s_lshl_b64 s[42:43], s[36:37], 7
	s_add_u32 s50, s46, -16
	s_addc_u32 s51, s47, -1
	s_lshl_b32 s9, s7, 5
	s_lshl_b32 s6, s57, 5
	v_add_u32_e32 v20, s9, v0
	v_add_u32_e32 v22, s9, v1
	s_add_u32 s44, s28, 64
	s_mul_i32 s9, s39, s8
	s_mul_hi_u32 s10, s38, s8
	v_sub_co_u32_e32 v4, vcc, s45, v2
	v_cmp_gt_i32_e64 s[2:3], s45, v2
	v_cmp_gt_i32_e64 s[4:5], s45, v18
	s_addc_u32 s45, s29, 0
	s_add_i32 s11, s10, s9
	s_mul_i32 s10, s38, s8
	v_ashrrev_i32_e32 v3, 31, v2
	s_lshl_b64 s[52:53], s[36:37], 2
	s_lshl_b64 s[10:11], s[10:11], 2
	;; [unrolled: 1-line block ×3, first 2 shown]
	s_add_u32 s9, s10, s12
	v_lshlrev_b64 v[24:25], 2, v[2:3]
	s_addc_u32 s10, s11, s13
	v_lshlrev_b32_e32 v6, 2, v0
	v_mov_b32_e32 v5, s0
	v_mov_b32_e32 v0, s10
	v_add_co_u32_e64 v2, s[10:11], s9, v24
	v_subb_co_u32_e32 v5, vcc, v5, v3, vcc
	v_addc_co_u32_e64 v3, s[10:11], v0, v25, s[10:11]
	s_mul_i32 s9, s27, s8
	s_mul_hi_u32 s10, s26, s8
	s_add_i32 s9, s10, s9
	s_mul_i32 s8, s26, s8
	s_lshl_b64 s[8:9], s[8:9], 2
	s_lshl_b64 s[10:11], s[22:23], 2
	s_add_u32 s8, s8, s10
	s_addc_u32 s9, s9, s11
	v_lshlrev_b32_e32 v50, 7, v1
	v_or_b32_e32 v52, 0x1000, v6
	v_cmp_gt_i64_e32 vcc, 1, v[4:5]
	v_cmp_gt_i64_e64 s[0:1], 17, v[4:5]
	s_add_u32 s22, s20, s8
	v_add_u32_e32 v51, v50, v6
	v_add_u32_e32 v53, v52, v50
	v_ashrrev_i32_e32 v19, 31, v18
	s_addc_u32 s23, s21, s9
	s_lshl_b64 s[26:27], s[24:25], 2
	v_mov_b32_e32 v0, 0
	v_mov_b32_e32 v54, 1.0
	buffer_store_dword v2, off, s[64:67], 0 ; 4-byte Folded Spill
	s_nop 0
	buffer_store_dword v3, off, s[64:67], 0 offset:4 ; 4-byte Folded Spill
	s_branch .LBB18_4
.LBB18_3:                               ;   in Loop: Header=BB18_4 Depth=1
	s_or_b64 exec, exec, s[10:11]
	s_add_i32 s7, s57, s7
	v_add_u32_e32 v20, s6, v20
	s_cmp_le_i32 s7, s56
	v_add_u32_e32 v22, s6, v22
	s_cbranch_scc0 .LBB18_51
.LBB18_4:                               ; =>This Loop Header: Depth=1
                                        ;     Child Loop BB18_7 Depth 2
	s_lshl_b32 s8, s7, 5
	v_add_u32_e32 v28, s8, v1
	s_sub_i32 s60, s46, s8
	v_ashrrev_i32_e32 v21, 31, v20
	v_ashrrev_i32_e32 v23, 31, v22
	;; [unrolled: 1-line block ×3, first 2 shown]
	s_cmp_lt_i32 s60, 1
	v_mov_b32_e32 v58, 0
	v_mov_b32_e32 v57, 0
	;; [unrolled: 1-line block ×4, first 2 shown]
	s_cbranch_scc1 .LBB18_43
; %bb.5:                                ;   in Loop: Header=BB18_4 Depth=1
	buffer_load_dword v48, off, s[64:67], 0 ; 4-byte Folded Reload
	buffer_load_dword v49, off, s[64:67], 0 offset:4 ; 4-byte Folded Reload
	v_mov_b32_e32 v2, s44
	v_sub_co_u32_e64 v30, s[8:9], v22, v20
	v_mov_b32_e32 v3, s45
	v_subb_co_u32_e64 v31, s[8:9], v23, v21, s[8:9]
	v_mad_u64_u32 v[32:33], s[8:9], s52, v22, v[2:3]
	v_lshlrev_b64 v[2:3], 2, v[20:21]
	v_lshlrev_b64 v[34:35], 2, v[22:23]
	v_add_co_u32_e64 v6, s[8:9], 64, v2
	v_addc_co_u32_e64 v2, s[8:9], 0, v3, s[8:9]
	v_mul_lo_u32 v7, s24, v2
	v_mov_b32_e32 v2, s22
	v_mov_b32_e32 v3, s23
	v_mad_u64_u32 v[36:37], s[8:9], s24, v6, v[2:3]
	v_mad_u64_u32 v[38:39], s[8:9], s26, v20, v[2:3]
	v_add_co_u32_e64 v10, s[8:9], 64, v34
	v_addc_co_u32_e64 v2, s[8:9], 0, v35, s[8:9]
	v_mul_lo_u32 v11, s36, v2
	v_mov_b32_e32 v2, s28
	v_mov_b32_e32 v3, s29
	v_mul_lo_u32 v4, s52, v23
	v_mul_lo_u32 v5, s53, v22
	;; [unrolled: 1-line block ×5, first 2 shown]
	v_mad_u64_u32 v[40:41], s[8:9], s36, v10, v[2:3]
	v_mul_lo_u32 v2, s37, v10
	v_add_co_u32_e64 v42, s[8:9], 16, v28
	v_add_co_u32_e64 v44, s[10:11], 16, v30
	v_addc_co_u32_e64 v43, s[8:9], 0, v29, s[8:9]
	v_addc_co_u32_e64 v45, s[10:11], 0, v31, s[10:11]
	v_cmp_le_i64_e64 s[8:9], s[46:47], v[42:43]
	v_add_co_u32_e64 v46, s[10:11], -16, v30
	v_add3_u32 v33, v5, v33, v4
	v_add3_u32 v37, v8, v37, v7
	;; [unrolled: 1-line block ×4, first 2 shown]
	v_cmp_le_i32_e64 s[16:17], s46, v28
	v_addc_co_u32_e64 v47, s[10:11], -1, v31, s[10:11]
	v_mov_b32_e32 v55, 0
	s_mov_b64 s[30:31], 0
	v_mov_b32_e32 v56, 0
	v_mov_b32_e32 v57, 0
	;; [unrolled: 1-line block ×3, first 2 shown]
	s_branch .LBB18_7
.LBB18_6:                               ;   in Loop: Header=BB18_7 Depth=2
	s_or_b64 exec, exec, s[10:11]
	s_waitcnt lgkmcnt(0)
	s_barrier
	ds_read_b128 v[14:17], v50
	ds_read_b128 v[10:13], v50 offset:16
	ds_read_b128 v[6:9], v50 offset:32
	;; [unrolled: 1-line block ×3, first 2 shown]
	ds_read2_b32 v[26:27], v52 offset1:16
	ds_read_b128 v[59:62], v50 offset:2048
	v_add_co_u32_e64 v48, s[10:11], s42, v48
	s_add_u32 s30, s30, 32
	s_waitcnt lgkmcnt(1)
	v_fmac_f32_e32 v58, v26, v14
	v_fmac_f32_e32 v57, v27, v14
	s_waitcnt lgkmcnt(0)
	v_fmac_f32_e32 v56, v26, v59
	v_fmac_f32_e32 v55, v27, v59
	ds_read2_b32 v[26:27], v52 offset0:32 offset1:48
	s_addc_u32 s31, s31, 0
	s_cmp_ge_i32 s30, s60
	s_waitcnt lgkmcnt(0)
	v_fmac_f32_e32 v58, v26, v15
	v_fmac_f32_e32 v57, v27, v15
	ds_read2_b32 v[14:15], v52 offset0:64 offset1:80
	v_fmac_f32_e32 v56, v26, v60
	v_fmac_f32_e32 v55, v27, v60
	ds_read2_b32 v[26:27], v52 offset0:128 offset1:144
	s_waitcnt lgkmcnt(1)
	v_fmac_f32_e32 v58, v14, v16
	v_fmac_f32_e32 v57, v15, v16
	v_fmac_f32_e32 v56, v14, v61
	v_fmac_f32_e32 v55, v15, v61
	ds_read2_b32 v[14:15], v52 offset0:96 offset1:112
	s_waitcnt lgkmcnt(0)
	v_fmac_f32_e32 v58, v14, v17
	v_fmac_f32_e32 v57, v15, v17
	;; [unrolled: 1-line block ×4, first 2 shown]
	ds_read_b128 v[14:17], v50 offset:2064
	v_fmac_f32_e32 v58, v26, v10
	v_fmac_f32_e32 v57, v27, v10
	s_waitcnt lgkmcnt(0)
	v_fmac_f32_e32 v56, v26, v14
	v_fmac_f32_e32 v55, v27, v14
	ds_read2_b32 v[26:27], v52 offset0:160 offset1:176
	s_waitcnt lgkmcnt(0)
	v_fmac_f32_e32 v58, v26, v11
	v_fmac_f32_e32 v57, v27, v11
	ds_read2_b32 v[10:11], v52 offset0:192 offset1:208
	v_fmac_f32_e32 v56, v26, v15
	v_fmac_f32_e32 v55, v27, v15
	s_waitcnt lgkmcnt(0)
	v_fmac_f32_e32 v58, v10, v12
	v_fmac_f32_e32 v57, v11, v12
	;; [unrolled: 1-line block ×4, first 2 shown]
	ds_read2_b32 v[10:11], v52 offset0:224 offset1:240
	s_waitcnt lgkmcnt(0)
	v_fmac_f32_e32 v58, v10, v13
	v_fmac_f32_e32 v56, v10, v17
	v_add_u32_e32 v10, 0x400, v52
	v_fmac_f32_e32 v57, v11, v13
	v_fmac_f32_e32 v55, v11, v17
	ds_read2_b32 v[15:16], v10 offset1:16
	ds_read_b128 v[11:14], v50 offset:2080
	s_waitcnt lgkmcnt(1)
	v_fmac_f32_e32 v58, v15, v6
	v_fmac_f32_e32 v57, v16, v6
	s_waitcnt lgkmcnt(0)
	v_fmac_f32_e32 v56, v15, v11
	v_fmac_f32_e32 v55, v16, v11
	ds_read2_b32 v[15:16], v10 offset0:32 offset1:48
	s_waitcnt lgkmcnt(0)
	v_fmac_f32_e32 v58, v15, v7
	v_fmac_f32_e32 v57, v16, v7
	ds_read2_b32 v[6:7], v10 offset0:64 offset1:80
	v_fmac_f32_e32 v56, v15, v12
	v_fmac_f32_e32 v55, v16, v12
	ds_read2_b32 v[11:12], v10 offset0:128 offset1:144
	s_waitcnt lgkmcnt(1)
	v_fmac_f32_e32 v58, v6, v8
	v_fmac_f32_e32 v57, v7, v8
	;; [unrolled: 1-line block ×4, first 2 shown]
	ds_read2_b32 v[6:7], v10 offset0:96 offset1:112
	s_waitcnt lgkmcnt(0)
	v_fmac_f32_e32 v58, v6, v9
	v_fmac_f32_e32 v57, v7, v9
	;; [unrolled: 1-line block ×4, first 2 shown]
	ds_read_b128 v[6:9], v50 offset:2096
	v_fmac_f32_e32 v58, v11, v2
	v_fmac_f32_e32 v57, v12, v2
	s_waitcnt lgkmcnt(0)
	v_fmac_f32_e32 v56, v11, v6
	v_fmac_f32_e32 v55, v12, v6
	ds_read2_b32 v[11:12], v10 offset0:160 offset1:176
	s_waitcnt lgkmcnt(0)
	v_fmac_f32_e32 v58, v11, v3
	v_fmac_f32_e32 v57, v12, v3
	ds_read2_b32 v[2:3], v10 offset0:192 offset1:208
	v_fmac_f32_e32 v56, v11, v7
	v_fmac_f32_e32 v55, v12, v7
	s_waitcnt lgkmcnt(0)
	v_fmac_f32_e32 v58, v2, v4
	v_fmac_f32_e32 v57, v3, v4
	;; [unrolled: 1-line block ×4, first 2 shown]
	ds_read2_b32 v[2:3], v10 offset0:224 offset1:240
	v_add_u32_e32 v10, 0x800, v52
	ds_read2_b32 v[11:12], v10 offset1:16
	s_waitcnt lgkmcnt(1)
	v_fmac_f32_e32 v58, v2, v5
	v_fmac_f32_e32 v57, v3, v5
	;; [unrolled: 1-line block ×4, first 2 shown]
	ds_read_b128 v[2:5], v50 offset:64
	ds_read_b128 v[6:9], v50 offset:2112
	s_waitcnt lgkmcnt(1)
	v_fmac_f32_e32 v58, v11, v2
	v_fmac_f32_e32 v57, v12, v2
	s_waitcnt lgkmcnt(0)
	v_fmac_f32_e32 v56, v11, v6
	v_fmac_f32_e32 v55, v12, v6
	ds_read2_b32 v[11:12], v10 offset0:32 offset1:48
	s_waitcnt lgkmcnt(0)
	v_fmac_f32_e32 v58, v11, v3
	v_fmac_f32_e32 v57, v12, v3
	ds_read2_b32 v[2:3], v10 offset0:64 offset1:80
	v_fmac_f32_e32 v56, v11, v7
	v_fmac_f32_e32 v55, v12, v7
	s_waitcnt lgkmcnt(0)
	v_fmac_f32_e32 v58, v2, v4
	v_fmac_f32_e32 v57, v3, v4
	v_fmac_f32_e32 v56, v2, v8
	v_fmac_f32_e32 v55, v3, v8
	ds_read2_b32 v[2:3], v10 offset0:96 offset1:112
	s_waitcnt lgkmcnt(0)
	v_fmac_f32_e32 v58, v2, v5
	v_fmac_f32_e32 v57, v3, v5
	;; [unrolled: 1-line block ×4, first 2 shown]
	ds_read_b128 v[2:5], v50 offset:80
	ds_read2_b32 v[11:12], v10 offset0:128 offset1:144
	ds_read_b128 v[6:9], v50 offset:2128
	s_waitcnt lgkmcnt(1)
	v_fmac_f32_e32 v58, v11, v2
	v_fmac_f32_e32 v57, v12, v2
	s_waitcnt lgkmcnt(0)
	v_fmac_f32_e32 v56, v11, v6
	v_fmac_f32_e32 v55, v12, v6
	ds_read2_b32 v[11:12], v10 offset0:160 offset1:176
	s_waitcnt lgkmcnt(0)
	v_fmac_f32_e32 v58, v11, v3
	v_fmac_f32_e32 v57, v12, v3
	ds_read2_b32 v[2:3], v10 offset0:192 offset1:208
	v_fmac_f32_e32 v56, v11, v7
	v_fmac_f32_e32 v55, v12, v7
	s_waitcnt lgkmcnt(0)
	v_fmac_f32_e32 v58, v2, v4
	v_fmac_f32_e32 v57, v3, v4
	;; [unrolled: 1-line block ×4, first 2 shown]
	ds_read2_b32 v[2:3], v10 offset0:224 offset1:240
	v_add_u32_e32 v10, 0xc00, v52
	ds_read2_b32 v[11:12], v10 offset1:16
	s_waitcnt lgkmcnt(1)
	v_fmac_f32_e32 v58, v2, v5
	v_fmac_f32_e32 v57, v3, v5
	;; [unrolled: 1-line block ×4, first 2 shown]
	ds_read_b128 v[2:5], v50 offset:96
	ds_read_b128 v[6:9], v50 offset:2144
	s_waitcnt lgkmcnt(1)
	v_fmac_f32_e32 v58, v11, v2
	v_fmac_f32_e32 v57, v12, v2
	s_waitcnt lgkmcnt(0)
	v_fmac_f32_e32 v56, v11, v6
	v_fmac_f32_e32 v55, v12, v6
	ds_read2_b32 v[11:12], v10 offset0:32 offset1:48
	s_waitcnt lgkmcnt(0)
	v_fmac_f32_e32 v58, v11, v3
	v_fmac_f32_e32 v57, v12, v3
	ds_read2_b32 v[2:3], v10 offset0:64 offset1:80
	v_fmac_f32_e32 v56, v11, v7
	v_fmac_f32_e32 v55, v12, v7
	s_waitcnt lgkmcnt(0)
	v_fmac_f32_e32 v58, v2, v4
	v_fmac_f32_e32 v57, v3, v4
	;; [unrolled: 1-line block ×4, first 2 shown]
	ds_read2_b32 v[2:3], v10 offset0:96 offset1:112
	s_waitcnt lgkmcnt(0)
	v_fmac_f32_e32 v58, v2, v5
	v_fmac_f32_e32 v57, v3, v5
	v_fmac_f32_e32 v56, v2, v9
	v_fmac_f32_e32 v55, v3, v9
	ds_read_b128 v[2:5], v50 offset:112
	ds_read2_b32 v[11:12], v10 offset0:128 offset1:144
	ds_read_b128 v[6:9], v50 offset:2160
	s_waitcnt lgkmcnt(1)
	v_fmac_f32_e32 v58, v11, v2
	v_fmac_f32_e32 v57, v12, v2
	s_waitcnt lgkmcnt(0)
	v_fmac_f32_e32 v56, v11, v6
	v_fmac_f32_e32 v55, v12, v6
	ds_read2_b32 v[11:12], v10 offset0:160 offset1:176
	s_waitcnt lgkmcnt(0)
	v_fmac_f32_e32 v58, v11, v3
	v_fmac_f32_e32 v57, v12, v3
	ds_read2_b32 v[2:3], v10 offset0:192 offset1:208
	v_fmac_f32_e32 v56, v11, v7
	v_fmac_f32_e32 v55, v12, v7
	s_waitcnt lgkmcnt(0)
	v_fmac_f32_e32 v58, v2, v4
	v_fmac_f32_e32 v57, v3, v4
	;; [unrolled: 1-line block ×4, first 2 shown]
	ds_read2_b32 v[2:3], v10 offset0:224 offset1:240
	s_waitcnt lgkmcnt(0)
	s_barrier
	v_fmac_f32_e32 v58, v2, v5
	v_fmac_f32_e32 v56, v2, v9
	v_mov_b32_e32 v2, s43
	v_addc_co_u32_e64 v49, s[10:11], v49, v2, s[10:11]
	v_add_co_u32_e64 v36, s[10:11], s40, v36
	v_mov_b32_e32 v2, s41
	v_addc_co_u32_e64 v37, s[10:11], v37, v2, s[10:11]
	v_add_co_u32_e64 v38, s[10:11], s40, v38
	v_fmac_f32_e32 v57, v3, v5
	v_fmac_f32_e32 v55, v3, v9
	v_addc_co_u32_e64 v39, s[10:11], v39, v2, s[10:11]
	s_cbranch_scc1 .LBB18_43
.LBB18_7:                               ;   Parent Loop BB18_4 Depth=1
                                        ; =>  This Inner Loop Header: Depth=2
	v_mov_b32_e32 v2, s31
	v_add_co_u32_e64 v4, s[10:11], s30, v20
	v_addc_co_u32_e64 v5, s[10:11], v21, v2, s[10:11]
	v_cmp_eq_u64_e64 s[10:11], s[30:31], v[30:31]
	v_add_co_u32_e64 v2, s[12:13], v38, v34
	v_addc_co_u32_e64 v3, s[12:13], v39, v35, s[12:13]
	s_and_b64 s[38:39], s[34:35], s[10:11]
	v_cmp_lt_i64_e64 s[10:11], v[4:5], v[28:29]
	v_cmp_le_i64_e64 s[12:13], s[46:47], v[4:5]
	s_or_b64 s[14:15], s[16:17], s[10:11]
	s_or_b64 s[14:15], s[12:13], s[14:15]
	s_nor_b64 s[14:15], s[14:15], s[38:39]
                                        ; implicit-def: $vgpr6
	s_and_saveexec_b64 s[18:19], s[14:15]
	s_xor_b64 s[14:15], exec, s[18:19]
	s_cbranch_execz .LBB18_9
; %bb.8:                                ;   in Loop: Header=BB18_7 Depth=2
	global_load_dword v6, v[2:3], off
.LBB18_9:                               ;   in Loop: Header=BB18_7 Depth=2
	s_andn2_saveexec_b64 s[14:15], s[14:15]
	s_cbranch_execz .LBB18_11
; %bb.10:                               ;   in Loop: Header=BB18_7 Depth=2
	s_waitcnt vmcnt(0)
	v_cndmask_b32_e64 v6, 0, 1.0, s[38:39]
.LBB18_11:                              ;   in Loop: Header=BB18_7 Depth=2
	s_or_b64 exec, exec, s[14:15]
	s_waitcnt vmcnt(0)
	ds_write_b32 v51, v6
	v_add_co_u32_e64 v6, s[18:19], 16, v4
	v_cmp_eq_u64_e64 s[14:15], s[30:31], v[46:47]
	v_addc_co_u32_e64 v7, s[18:19], 0, v5, s[18:19]
	v_cmp_lt_i64_e64 s[18:19], v[6:7], v[28:29]
	s_and_b64 s[20:21], s[34:35], s[14:15]
	v_cmp_le_i64_e64 s[14:15], s[46:47], v[6:7]
	s_or_b64 s[18:19], s[16:17], s[18:19]
	s_or_b64 s[18:19], s[14:15], s[18:19]
	s_nor_b64 s[18:19], s[18:19], s[20:21]
	s_and_saveexec_b64 s[54:55], s[18:19]
	s_xor_b64 s[54:55], exec, s[54:55]
	s_cbranch_execz .LBB18_13
; %bb.12:                               ;   in Loop: Header=BB18_7 Depth=2
	v_add_co_u32_e64 v6, s[18:19], v36, v34
	v_addc_co_u32_e64 v7, s[18:19], v37, v35, s[18:19]
	global_load_dword v6, v[6:7], off
	s_waitcnt vmcnt(0)
	ds_write_b32 v51, v6 offset:64
.LBB18_13:                              ;   in Loop: Header=BB18_7 Depth=2
	s_andn2_saveexec_b64 s[18:19], s[54:55]
	s_cbranch_execz .LBB18_19
; %bb.14:                               ;   in Loop: Header=BB18_7 Depth=2
	s_xor_b64 s[20:21], s[20:21], -1
	s_and_saveexec_b64 s[54:55], s[20:21]
	s_xor_b64 s[20:21], exec, s[54:55]
; %bb.15:                               ;   in Loop: Header=BB18_7 Depth=2
	ds_write_b32 v51, v0 offset:64
; %bb.16:                               ;   in Loop: Header=BB18_7 Depth=2
	s_andn2_saveexec_b64 s[20:21], s[20:21]
; %bb.17:                               ;   in Loop: Header=BB18_7 Depth=2
	ds_write_b32 v51, v54 offset:64
; %bb.18:                               ;   in Loop: Header=BB18_7 Depth=2
	s_or_b64 exec, exec, s[20:21]
.LBB18_19:                              ;   in Loop: Header=BB18_7 Depth=2
	s_or_b64 exec, exec, s[18:19]
	v_cmp_eq_u64_e64 s[18:19], s[30:31], v[44:45]
	v_cmp_lt_i64_e64 s[20:21], v[4:5], v[42:43]
	s_and_b64 s[18:19], s[34:35], s[18:19]
	s_or_b64 s[20:21], s[8:9], s[20:21]
	s_or_b64 s[20:21], s[20:21], s[18:19]
	s_nor_b64 s[12:13], s[12:13], s[20:21]
                                        ; implicit-def: $vgpr4
	s_and_saveexec_b64 s[20:21], s[12:13]
	s_xor_b64 s[12:13], exec, s[20:21]
	s_cbranch_execz .LBB18_21
; %bb.20:                               ;   in Loop: Header=BB18_7 Depth=2
	global_load_dword v4, v[2:3], off offset:64
.LBB18_21:                              ;   in Loop: Header=BB18_7 Depth=2
	s_andn2_saveexec_b64 s[12:13], s[12:13]
	s_cbranch_execz .LBB18_23
; %bb.22:                               ;   in Loop: Header=BB18_7 Depth=2
	s_waitcnt vmcnt(0)
	v_cndmask_b32_e64 v4, 0, 1.0, s[18:19]
.LBB18_23:                              ;   in Loop: Header=BB18_7 Depth=2
	s_or_b64 exec, exec, s[12:13]
	s_or_b64 s[10:11], s[8:9], s[10:11]
	s_or_b64 s[10:11], s[14:15], s[10:11]
	s_nor_b64 s[10:11], s[10:11], s[38:39]
	s_waitcnt vmcnt(0)
	ds_write_b32 v51, v4 offset:2048
	s_and_saveexec_b64 s[12:13], s[10:11]
	s_xor_b64 s[12:13], exec, s[12:13]
	s_cbranch_execz .LBB18_25
; %bb.24:                               ;   in Loop: Header=BB18_7 Depth=2
	v_add_co_u32_e64 v2, s[10:11], v36, v34
	v_addc_co_u32_e64 v3, s[10:11], v37, v35, s[10:11]
	global_load_dword v2, v[2:3], off offset:64
	s_waitcnt vmcnt(0)
	ds_write_b32 v51, v2 offset:2112
.LBB18_25:                              ;   in Loop: Header=BB18_7 Depth=2
	s_andn2_saveexec_b64 s[10:11], s[12:13]
	s_cbranch_execz .LBB18_31
; %bb.26:                               ;   in Loop: Header=BB18_7 Depth=2
	s_xor_b64 s[12:13], s[38:39], -1
	s_and_saveexec_b64 s[14:15], s[12:13]
	s_xor_b64 s[12:13], exec, s[14:15]
; %bb.27:                               ;   in Loop: Header=BB18_7 Depth=2
	ds_write_b32 v51, v0 offset:2112
; %bb.28:                               ;   in Loop: Header=BB18_7 Depth=2
	s_andn2_saveexec_b64 s[12:13], s[12:13]
; %bb.29:                               ;   in Loop: Header=BB18_7 Depth=2
	ds_write_b32 v51, v54 offset:2112
; %bb.30:                               ;   in Loop: Header=BB18_7 Depth=2
	s_or_b64 exec, exec, s[12:13]
.LBB18_31:                              ;   in Loop: Header=BB18_7 Depth=2
	s_or_b64 exec, exec, s[10:11]
	v_mov_b32_e32 v3, s31
	v_add_co_u32_e64 v2, s[10:11], s30, v22
	v_addc_co_u32_e64 v3, s[10:11], v23, v3, s[10:11]
	v_cmp_le_i64_e64 s[10:11], s[46:47], v[2:3]
	v_add_co_u32_e64 v4, s[12:13], v32, v48
	v_addc_co_u32_e64 v5, s[12:13], v33, v49, s[12:13]
	s_nor_b64 s[14:15], s[10:11], vcc
	v_mov_b32_e32 v6, 0
	s_and_saveexec_b64 s[12:13], s[14:15]
	s_cbranch_execz .LBB18_33
; %bb.32:                               ;   in Loop: Header=BB18_7 Depth=2
	global_load_dword v6, v[4:5], off offset:-64
.LBB18_33:                              ;   in Loop: Header=BB18_7 Depth=2
	s_or_b64 exec, exec, s[12:13]
	s_nor_b64 s[10:11], s[10:11], s[0:1]
	s_waitcnt vmcnt(0)
	ds_write_b32 v53, v6
	s_and_saveexec_b64 s[12:13], s[10:11]
	s_xor_b64 s[10:11], exec, s[12:13]
	s_cbranch_execz .LBB18_35
; %bb.34:                               ;   in Loop: Header=BB18_7 Depth=2
	global_load_dword v4, v[4:5], off
	s_waitcnt vmcnt(0)
	ds_write_b32 v53, v4 offset:64
.LBB18_35:                              ;   in Loop: Header=BB18_7 Depth=2
	s_andn2_saveexec_b64 s[10:11], s[10:11]
; %bb.36:                               ;   in Loop: Header=BB18_7 Depth=2
	ds_write_b32 v53, v0 offset:64
; %bb.37:                               ;   in Loop: Header=BB18_7 Depth=2
	s_or_b64 exec, exec, s[10:11]
	v_cmp_le_i64_e64 s[10:11], s[50:51], v[2:3]
	v_add_co_u32_e64 v2, s[12:13], v40, v48
	v_addc_co_u32_e64 v3, s[12:13], v41, v49, s[12:13]
	s_nor_b64 s[14:15], s[10:11], vcc
	v_mov_b32_e32 v4, 0
	s_and_saveexec_b64 s[12:13], s[14:15]
	s_cbranch_execz .LBB18_39
; %bb.38:                               ;   in Loop: Header=BB18_7 Depth=2
	global_load_dword v4, v[2:3], off
.LBB18_39:                              ;   in Loop: Header=BB18_7 Depth=2
	s_or_b64 exec, exec, s[12:13]
	s_nor_b64 s[10:11], s[10:11], s[0:1]
	s_waitcnt vmcnt(0)
	ds_write_b32 v53, v4 offset:2048
	s_and_saveexec_b64 s[12:13], s[10:11]
	s_xor_b64 s[10:11], exec, s[12:13]
	s_cbranch_execz .LBB18_41
; %bb.40:                               ;   in Loop: Header=BB18_7 Depth=2
	global_load_dword v2, v[2:3], off offset:64
	s_waitcnt vmcnt(0)
	ds_write_b32 v53, v2 offset:2112
.LBB18_41:                              ;   in Loop: Header=BB18_7 Depth=2
	s_andn2_saveexec_b64 s[10:11], s[10:11]
	s_cbranch_execz .LBB18_6
; %bb.42:                               ;   in Loop: Header=BB18_7 Depth=2
	ds_write_b32 v53, v0 offset:2112
	s_branch .LBB18_6
.LBB18_43:                              ;   in Loop: Header=BB18_4 Depth=1
	v_mul_lo_u32 v4, s49, v28
	v_mul_lo_u32 v5, s48, v29
	v_mad_u64_u32 v[2:3], s[8:9], s48, v28, 0
	v_cmp_gt_i32_e64 s[8:9], s46, v28
	v_add3_u32 v3, v3, v5, v4
	v_lshlrev_b64 v[2:3], 2, v[2:3]
	v_mov_b32_e32 v4, s59
	v_add_co_u32_e64 v2, s[10:11], s58, v2
	v_addc_co_u32_e64 v3, s[10:11], v4, v3, s[10:11]
	s_and_b64 s[10:11], s[2:3], s[8:9]
	s_and_saveexec_b64 s[12:13], s[10:11]
	s_cbranch_execz .LBB18_45
; %bb.44:                               ;   in Loop: Header=BB18_4 Depth=1
	v_add_co_u32_e64 v4, s[10:11], v2, v24
	v_addc_co_u32_e64 v5, s[10:11], v3, v25, s[10:11]
	global_load_dword v6, v[4:5], off
	s_waitcnt vmcnt(0)
	v_fmac_f32_e32 v6, s33, v58
	global_store_dword v[4:5], v6, off
.LBB18_45:                              ;   in Loop: Header=BB18_4 Depth=1
	s_or_b64 exec, exec, s[12:13]
	s_and_b64 s[8:9], s[4:5], s[8:9]
	s_and_saveexec_b64 s[10:11], s[8:9]
	s_cbranch_execz .LBB18_47
; %bb.46:                               ;   in Loop: Header=BB18_4 Depth=1
	v_lshlrev_b64 v[4:5], 2, v[18:19]
	v_add_co_u32_e64 v2, s[8:9], v2, v4
	v_addc_co_u32_e64 v3, s[8:9], v3, v5, s[8:9]
	global_load_dword v4, v[2:3], off
	s_waitcnt vmcnt(0)
	v_fmac_f32_e32 v4, s33, v57
	global_store_dword v[2:3], v4, off
.LBB18_47:                              ;   in Loop: Header=BB18_4 Depth=1
	s_or_b64 exec, exec, s[10:11]
	v_add_u32_e32 v4, 16, v28
	v_ashrrev_i32_e32 v2, 31, v4
	v_mul_lo_u32 v5, s48, v2
	v_mul_lo_u32 v6, s49, v4
	v_mad_u64_u32 v[2:3], s[8:9], s48, v4, 0
	v_cmp_gt_i32_e64 s[8:9], s46, v4
	v_mov_b32_e32 v4, s59
	v_add3_u32 v3, v3, v5, v6
	v_lshlrev_b64 v[2:3], 2, v[2:3]
	v_add_co_u32_e64 v2, s[10:11], s58, v2
	v_addc_co_u32_e64 v3, s[10:11], v4, v3, s[10:11]
	s_and_b64 s[10:11], s[2:3], s[8:9]
	s_and_saveexec_b64 s[12:13], s[10:11]
	s_cbranch_execz .LBB18_49
; %bb.48:                               ;   in Loop: Header=BB18_4 Depth=1
	v_add_co_u32_e64 v4, s[10:11], v2, v24
	v_addc_co_u32_e64 v5, s[10:11], v3, v25, s[10:11]
	global_load_dword v6, v[4:5], off
	s_waitcnt vmcnt(0)
	v_fmac_f32_e32 v6, s33, v56
	global_store_dword v[4:5], v6, off
.LBB18_49:                              ;   in Loop: Header=BB18_4 Depth=1
	s_or_b64 exec, exec, s[12:13]
	s_and_b64 s[8:9], s[4:5], s[8:9]
	s_and_saveexec_b64 s[10:11], s[8:9]
	s_cbranch_execz .LBB18_3
; %bb.50:                               ;   in Loop: Header=BB18_4 Depth=1
	v_lshlrev_b64 v[4:5], 2, v[18:19]
	v_add_co_u32_e64 v2, s[8:9], v2, v4
	v_addc_co_u32_e64 v3, s[8:9], v3, v5, s[8:9]
	global_load_dword v4, v[2:3], off
	s_waitcnt vmcnt(0)
	v_fmac_f32_e32 v4, s33, v55
	global_store_dword v[2:3], v4, off
	s_branch .LBB18_3
.LBB18_51:
	s_endpgm
	.section	.rodata,"a",@progbits
	.p2align	6, 0x0
	.amdhsa_kernel _ZL30rocblas_trmm_outofplace_kernelIfLi32ELi2ELb0ELb1ELb1ELb0EPKfS0_fEv17rocblas_diagonal_iiT6_lPT7_lllS5_lllPT8_llli
		.amdhsa_group_segment_fixed_size 8192
		.amdhsa_private_segment_fixed_size 12
		.amdhsa_kernarg_size 392
		.amdhsa_user_sgpr_count 6
		.amdhsa_user_sgpr_private_segment_buffer 1
		.amdhsa_user_sgpr_dispatch_ptr 0
		.amdhsa_user_sgpr_queue_ptr 0
		.amdhsa_user_sgpr_kernarg_segment_ptr 1
		.amdhsa_user_sgpr_dispatch_id 0
		.amdhsa_user_sgpr_flat_scratch_init 0
		.amdhsa_user_sgpr_private_segment_size 0
		.amdhsa_uses_dynamic_stack 0
		.amdhsa_system_sgpr_private_segment_wavefront_offset 1
		.amdhsa_system_sgpr_workgroup_id_x 1
		.amdhsa_system_sgpr_workgroup_id_y 1
		.amdhsa_system_sgpr_workgroup_id_z 1
		.amdhsa_system_sgpr_workgroup_info 0
		.amdhsa_system_vgpr_workitem_id 1
		.amdhsa_next_free_vgpr 63
		.amdhsa_next_free_sgpr 68
		.amdhsa_reserve_vcc 1
		.amdhsa_reserve_flat_scratch 0
		.amdhsa_float_round_mode_32 0
		.amdhsa_float_round_mode_16_64 0
		.amdhsa_float_denorm_mode_32 3
		.amdhsa_float_denorm_mode_16_64 3
		.amdhsa_dx10_clamp 1
		.amdhsa_ieee_mode 1
		.amdhsa_fp16_overflow 0
		.amdhsa_exception_fp_ieee_invalid_op 0
		.amdhsa_exception_fp_denorm_src 0
		.amdhsa_exception_fp_ieee_div_zero 0
		.amdhsa_exception_fp_ieee_overflow 0
		.amdhsa_exception_fp_ieee_underflow 0
		.amdhsa_exception_fp_ieee_inexact 0
		.amdhsa_exception_int_div_zero 0
	.end_amdhsa_kernel
	.section	.text._ZL30rocblas_trmm_outofplace_kernelIfLi32ELi2ELb0ELb1ELb1ELb0EPKfS0_fEv17rocblas_diagonal_iiT6_lPT7_lllS5_lllPT8_llli,"axG",@progbits,_ZL30rocblas_trmm_outofplace_kernelIfLi32ELi2ELb0ELb1ELb1ELb0EPKfS0_fEv17rocblas_diagonal_iiT6_lPT7_lllS5_lllPT8_llli,comdat
.Lfunc_end18:
	.size	_ZL30rocblas_trmm_outofplace_kernelIfLi32ELi2ELb0ELb1ELb1ELb0EPKfS0_fEv17rocblas_diagonal_iiT6_lPT7_lllS5_lllPT8_llli, .Lfunc_end18-_ZL30rocblas_trmm_outofplace_kernelIfLi32ELi2ELb0ELb1ELb1ELb0EPKfS0_fEv17rocblas_diagonal_iiT6_lPT7_lllS5_lllPT8_llli
                                        ; -- End function
	.set _ZL30rocblas_trmm_outofplace_kernelIfLi32ELi2ELb0ELb1ELb1ELb0EPKfS0_fEv17rocblas_diagonal_iiT6_lPT7_lllS5_lllPT8_llli.num_vgpr, 63
	.set _ZL30rocblas_trmm_outofplace_kernelIfLi32ELi2ELb0ELb1ELb1ELb0EPKfS0_fEv17rocblas_diagonal_iiT6_lPT7_lllS5_lllPT8_llli.num_agpr, 0
	.set _ZL30rocblas_trmm_outofplace_kernelIfLi32ELi2ELb0ELb1ELb1ELb0EPKfS0_fEv17rocblas_diagonal_iiT6_lPT7_lllS5_lllPT8_llli.numbered_sgpr, 68
	.set _ZL30rocblas_trmm_outofplace_kernelIfLi32ELi2ELb0ELb1ELb1ELb0EPKfS0_fEv17rocblas_diagonal_iiT6_lPT7_lllS5_lllPT8_llli.num_named_barrier, 0
	.set _ZL30rocblas_trmm_outofplace_kernelIfLi32ELi2ELb0ELb1ELb1ELb0EPKfS0_fEv17rocblas_diagonal_iiT6_lPT7_lllS5_lllPT8_llli.private_seg_size, 12
	.set _ZL30rocblas_trmm_outofplace_kernelIfLi32ELi2ELb0ELb1ELb1ELb0EPKfS0_fEv17rocblas_diagonal_iiT6_lPT7_lllS5_lllPT8_llli.uses_vcc, 1
	.set _ZL30rocblas_trmm_outofplace_kernelIfLi32ELi2ELb0ELb1ELb1ELb0EPKfS0_fEv17rocblas_diagonal_iiT6_lPT7_lllS5_lllPT8_llli.uses_flat_scratch, 0
	.set _ZL30rocblas_trmm_outofplace_kernelIfLi32ELi2ELb0ELb1ELb1ELb0EPKfS0_fEv17rocblas_diagonal_iiT6_lPT7_lllS5_lllPT8_llli.has_dyn_sized_stack, 0
	.set _ZL30rocblas_trmm_outofplace_kernelIfLi32ELi2ELb0ELb1ELb1ELb0EPKfS0_fEv17rocblas_diagonal_iiT6_lPT7_lllS5_lllPT8_llli.has_recursion, 0
	.set _ZL30rocblas_trmm_outofplace_kernelIfLi32ELi2ELb0ELb1ELb1ELb0EPKfS0_fEv17rocblas_diagonal_iiT6_lPT7_lllS5_lllPT8_llli.has_indirect_call, 0
	.section	.AMDGPU.csdata,"",@progbits
; Kernel info:
; codeLenInByte = 3148
; TotalNumSgprs: 72
; NumVgprs: 63
; ScratchSize: 12
; MemoryBound: 0
; FloatMode: 240
; IeeeMode: 1
; LDSByteSize: 8192 bytes/workgroup (compile time only)
; SGPRBlocks: 8
; VGPRBlocks: 15
; NumSGPRsForWavesPerEU: 72
; NumVGPRsForWavesPerEU: 63
; Occupancy: 4
; WaveLimiterHint : 0
; COMPUTE_PGM_RSRC2:SCRATCH_EN: 1
; COMPUTE_PGM_RSRC2:USER_SGPR: 6
; COMPUTE_PGM_RSRC2:TRAP_HANDLER: 0
; COMPUTE_PGM_RSRC2:TGID_X_EN: 1
; COMPUTE_PGM_RSRC2:TGID_Y_EN: 1
; COMPUTE_PGM_RSRC2:TGID_Z_EN: 1
; COMPUTE_PGM_RSRC2:TIDIG_COMP_CNT: 1
	.section	.text._ZL30rocblas_trmm_outofplace_kernelIfLi32ELi2ELb0ELb1ELb1ELb0EfKffEv17rocblas_diagonal_iiT6_lPT7_lllS4_lllPT8_llli,"axG",@progbits,_ZL30rocblas_trmm_outofplace_kernelIfLi32ELi2ELb0ELb1ELb1ELb0EfKffEv17rocblas_diagonal_iiT6_lPT7_lllS4_lllPT8_llli,comdat
	.globl	_ZL30rocblas_trmm_outofplace_kernelIfLi32ELi2ELb0ELb1ELb1ELb0EfKffEv17rocblas_diagonal_iiT6_lPT7_lllS4_lllPT8_llli ; -- Begin function _ZL30rocblas_trmm_outofplace_kernelIfLi32ELi2ELb0ELb1ELb1ELb0EfKffEv17rocblas_diagonal_iiT6_lPT7_lllS4_lllPT8_llli
	.p2align	8
	.type	_ZL30rocblas_trmm_outofplace_kernelIfLi32ELi2ELb0ELb1ELb1ELb0EfKffEv17rocblas_diagonal_iiT6_lPT7_lllS4_lllPT8_llli,@function
_ZL30rocblas_trmm_outofplace_kernelIfLi32ELi2ELb0ELb1ELb1ELb0EfKffEv17rocblas_diagonal_iiT6_lPT7_lllS4_lllPT8_llli: ; @_ZL30rocblas_trmm_outofplace_kernelIfLi32ELi2ELb0ELb1ELb1ELb0EfKffEv17rocblas_diagonal_iiT6_lPT7_lllS4_lllPT8_llli
; %bb.0:
	s_load_dwordx4 s[28:31], s[4:5], 0x0
	s_mov_b64 s[66:67], s[2:3]
	s_mov_b64 s[64:65], s[0:1]
	s_add_u32 s64, s64, s9
	s_addc_u32 s65, s65, 0
	s_waitcnt lgkmcnt(0)
	v_cmp_eq_f32_e64 s[0:1], s31, 0
	s_and_b64 vcc, exec, s[0:1]
	s_cbranch_vccnz .LBB19_51
; %bb.1:
	s_add_i32 s0, s30, -1
	s_ashr_i32 s1, s0, 31
	s_lshr_b32 s1, s1, 27
	s_add_i32 s0, s0, s1
	s_ashr_i32 s33, s0, 5
	s_cmp_gt_i32 s7, s33
	s_cbranch_scc1 .LBB19_51
; %bb.2:
	s_load_dwordx8 s[20:27], s[4:5], 0x58
	s_load_dwordx16 s[36:51], s[4:5], 0x18
	v_lshl_add_u32 v2, s6, 5, v0
	s_load_dword s6, s[4:5], 0x84
	v_add_u32_e32 v18, 16, v2
	s_waitcnt lgkmcnt(0)
	s_mul_i32 s1, s27, s8
	s_mul_hi_u32 s2, s26, s8
	s_mul_i32 s0, s26, s8
	s_add_i32 s1, s2, s1
	s_lshl_b64 s[0:1], s[0:1], 2
	s_add_u32 s2, s20, s0
	s_addc_u32 s3, s21, s1
	s_lshl_b64 s[0:1], s[22:23], 2
	s_add_u32 s58, s2, s0
	s_addc_u32 s59, s3, s1
	s_cmpk_eq_i32 s28, 0x84
	s_cselect_b64 s[22:23], -1, 0
	s_ashr_i32 s27, s30, 31
	s_ashr_i32 s0, s29, 31
	s_lshl_b64 s[34:35], s[40:41], 7
	s_lshl_b64 s[52:53], s[48:49], 7
	s_add_u32 s54, s30, -16
	s_addc_u32 s55, s27, -1
	s_lshl_b32 s9, s7, 5
	s_lshl_b32 s60, s6, 5
	v_add_u32_e32 v20, s9, v0
	v_add_u32_e32 v22, s9, v1
	s_add_u32 s28, s44, 64
	s_mul_i32 s9, s51, s8
	s_mul_hi_u32 s10, s50, s8
	v_sub_co_u32_e32 v4, vcc, s29, v2
	v_cmp_gt_i32_e64 s[2:3], s29, v2
	v_cmp_gt_i32_e64 s[4:5], s29, v18
	s_addc_u32 s29, s45, 0
	s_add_i32 s11, s10, s9
	s_mul_i32 s10, s50, s8
	v_ashrrev_i32_e32 v3, 31, v2
	s_lshl_b64 s[56:57], s[48:49], 2
	s_lshl_b64 s[10:11], s[10:11], 2
	;; [unrolled: 1-line block ×3, first 2 shown]
	s_add_u32 s9, s10, s12
	v_lshlrev_b64 v[24:25], 2, v[2:3]
	s_addc_u32 s10, s11, s13
	v_lshlrev_b32_e32 v6, 2, v0
	v_mov_b32_e32 v5, s0
	v_mov_b32_e32 v0, s10
	v_add_co_u32_e64 v2, s[10:11], s9, v24
	v_subb_co_u32_e32 v5, vcc, v5, v3, vcc
	v_addc_co_u32_e64 v3, s[10:11], v0, v25, s[10:11]
	s_mul_i32 s9, s43, s8
	s_mul_hi_u32 s10, s42, s8
	s_add_i32 s9, s10, s9
	s_mul_i32 s8, s42, s8
	s_lshl_b64 s[8:9], s[8:9], 2
	s_lshl_b64 s[10:11], s[38:39], 2
	s_add_u32 s8, s8, s10
	s_addc_u32 s9, s9, s11
	v_lshlrev_b32_e32 v50, 7, v1
	v_or_b32_e32 v52, 0x1000, v6
	v_cmp_gt_i64_e32 vcc, 1, v[4:5]
	v_cmp_gt_i64_e64 s[0:1], 17, v[4:5]
	s_add_u32 s36, s36, s8
	s_mov_b32 s26, s30
	v_add_u32_e32 v51, v50, v6
	v_add_u32_e32 v53, v52, v50
	v_ashrrev_i32_e32 v19, 31, v18
	s_addc_u32 s37, s37, s9
	s_lshl_b64 s[38:39], s[40:41], 2
	v_mov_b32_e32 v0, 0
	v_mov_b32_e32 v54, 1.0
	buffer_store_dword v2, off, s[64:67], 0 ; 4-byte Folded Spill
	s_nop 0
	buffer_store_dword v3, off, s[64:67], 0 offset:4 ; 4-byte Folded Spill
	s_branch .LBB19_4
.LBB19_3:                               ;   in Loop: Header=BB19_4 Depth=1
	s_or_b64 exec, exec, s[10:11]
	s_add_i32 s7, s6, s7
	v_add_u32_e32 v20, s60, v20
	s_cmp_le_i32 s7, s33
	v_add_u32_e32 v22, s60, v22
	s_cbranch_scc0 .LBB19_51
.LBB19_4:                               ; =>This Loop Header: Depth=1
                                        ;     Child Loop BB19_7 Depth 2
	s_lshl_b32 s8, s7, 5
	v_add_u32_e32 v28, s8, v1
	s_sub_i32 s61, s30, s8
	v_ashrrev_i32_e32 v21, 31, v20
	v_ashrrev_i32_e32 v23, 31, v22
	;; [unrolled: 1-line block ×3, first 2 shown]
	s_cmp_lt_i32 s61, 1
	v_mov_b32_e32 v58, 0
	v_mov_b32_e32 v57, 0
	;; [unrolled: 1-line block ×4, first 2 shown]
	s_cbranch_scc1 .LBB19_43
; %bb.5:                                ;   in Loop: Header=BB19_4 Depth=1
	buffer_load_dword v48, off, s[64:67], 0 ; 4-byte Folded Reload
	buffer_load_dword v49, off, s[64:67], 0 offset:4 ; 4-byte Folded Reload
	v_mov_b32_e32 v2, s28
	v_sub_co_u32_e64 v30, s[8:9], v22, v20
	v_mov_b32_e32 v3, s29
	v_subb_co_u32_e64 v31, s[8:9], v23, v21, s[8:9]
	v_mad_u64_u32 v[32:33], s[8:9], s56, v22, v[2:3]
	v_lshlrev_b64 v[2:3], 2, v[20:21]
	v_lshlrev_b64 v[34:35], 2, v[22:23]
	v_add_co_u32_e64 v6, s[8:9], 64, v2
	v_addc_co_u32_e64 v2, s[8:9], 0, v3, s[8:9]
	v_mul_lo_u32 v7, s40, v2
	v_mov_b32_e32 v2, s36
	v_mov_b32_e32 v3, s37
	v_mad_u64_u32 v[36:37], s[8:9], s40, v6, v[2:3]
	v_mad_u64_u32 v[38:39], s[8:9], s38, v20, v[2:3]
	v_add_co_u32_e64 v10, s[8:9], 64, v34
	v_addc_co_u32_e64 v2, s[8:9], 0, v35, s[8:9]
	v_mul_lo_u32 v11, s48, v2
	v_mov_b32_e32 v2, s44
	v_mov_b32_e32 v3, s45
	v_mul_lo_u32 v4, s56, v23
	v_mul_lo_u32 v5, s57, v22
	v_mul_lo_u32 v8, s41, v6
	v_mul_lo_u32 v6, s38, v21
	v_mul_lo_u32 v9, s39, v20
	v_mad_u64_u32 v[40:41], s[8:9], s48, v10, v[2:3]
	v_mul_lo_u32 v2, s49, v10
	v_add_co_u32_e64 v42, s[8:9], 16, v28
	v_add_co_u32_e64 v44, s[10:11], 16, v30
	v_addc_co_u32_e64 v43, s[8:9], 0, v29, s[8:9]
	v_addc_co_u32_e64 v45, s[10:11], 0, v31, s[10:11]
	v_cmp_le_i64_e64 s[8:9], s[26:27], v[42:43]
	v_add_co_u32_e64 v46, s[10:11], -16, v30
	v_add3_u32 v33, v5, v33, v4
	v_add3_u32 v37, v8, v37, v7
	;; [unrolled: 1-line block ×4, first 2 shown]
	v_cmp_le_i32_e64 s[16:17], s30, v28
	v_addc_co_u32_e64 v47, s[10:11], -1, v31, s[10:11]
	v_mov_b32_e32 v55, 0
	s_mov_b64 s[42:43], 0
	v_mov_b32_e32 v56, 0
	v_mov_b32_e32 v57, 0
	;; [unrolled: 1-line block ×3, first 2 shown]
	s_branch .LBB19_7
.LBB19_6:                               ;   in Loop: Header=BB19_7 Depth=2
	s_or_b64 exec, exec, s[10:11]
	s_waitcnt lgkmcnt(0)
	s_barrier
	ds_read_b128 v[14:17], v50
	ds_read_b128 v[10:13], v50 offset:16
	ds_read_b128 v[6:9], v50 offset:32
	;; [unrolled: 1-line block ×3, first 2 shown]
	ds_read2_b32 v[26:27], v52 offset1:16
	ds_read_b128 v[59:62], v50 offset:2048
	v_add_co_u32_e64 v48, s[10:11], s52, v48
	s_add_u32 s42, s42, 32
	s_waitcnt lgkmcnt(1)
	v_fmac_f32_e32 v58, v26, v14
	v_fmac_f32_e32 v57, v27, v14
	s_waitcnt lgkmcnt(0)
	v_fmac_f32_e32 v56, v26, v59
	v_fmac_f32_e32 v55, v27, v59
	ds_read2_b32 v[26:27], v52 offset0:32 offset1:48
	s_addc_u32 s43, s43, 0
	s_cmp_ge_i32 s42, s61
	s_waitcnt lgkmcnt(0)
	v_fmac_f32_e32 v58, v26, v15
	v_fmac_f32_e32 v57, v27, v15
	ds_read2_b32 v[14:15], v52 offset0:64 offset1:80
	v_fmac_f32_e32 v56, v26, v60
	v_fmac_f32_e32 v55, v27, v60
	ds_read2_b32 v[26:27], v52 offset0:128 offset1:144
	s_waitcnt lgkmcnt(1)
	v_fmac_f32_e32 v58, v14, v16
	v_fmac_f32_e32 v57, v15, v16
	;; [unrolled: 1-line block ×4, first 2 shown]
	ds_read2_b32 v[14:15], v52 offset0:96 offset1:112
	s_waitcnt lgkmcnt(0)
	v_fmac_f32_e32 v58, v14, v17
	v_fmac_f32_e32 v57, v15, v17
	;; [unrolled: 1-line block ×4, first 2 shown]
	ds_read_b128 v[14:17], v50 offset:2064
	v_fmac_f32_e32 v58, v26, v10
	v_fmac_f32_e32 v57, v27, v10
	s_waitcnt lgkmcnt(0)
	v_fmac_f32_e32 v56, v26, v14
	v_fmac_f32_e32 v55, v27, v14
	ds_read2_b32 v[26:27], v52 offset0:160 offset1:176
	s_waitcnt lgkmcnt(0)
	v_fmac_f32_e32 v58, v26, v11
	v_fmac_f32_e32 v57, v27, v11
	ds_read2_b32 v[10:11], v52 offset0:192 offset1:208
	v_fmac_f32_e32 v56, v26, v15
	v_fmac_f32_e32 v55, v27, v15
	s_waitcnt lgkmcnt(0)
	v_fmac_f32_e32 v58, v10, v12
	v_fmac_f32_e32 v57, v11, v12
	;; [unrolled: 1-line block ×4, first 2 shown]
	ds_read2_b32 v[10:11], v52 offset0:224 offset1:240
	s_waitcnt lgkmcnt(0)
	v_fmac_f32_e32 v58, v10, v13
	v_fmac_f32_e32 v56, v10, v17
	v_add_u32_e32 v10, 0x400, v52
	v_fmac_f32_e32 v57, v11, v13
	v_fmac_f32_e32 v55, v11, v17
	ds_read2_b32 v[15:16], v10 offset1:16
	ds_read_b128 v[11:14], v50 offset:2080
	s_waitcnt lgkmcnt(1)
	v_fmac_f32_e32 v58, v15, v6
	v_fmac_f32_e32 v57, v16, v6
	s_waitcnt lgkmcnt(0)
	v_fmac_f32_e32 v56, v15, v11
	v_fmac_f32_e32 v55, v16, v11
	ds_read2_b32 v[15:16], v10 offset0:32 offset1:48
	s_waitcnt lgkmcnt(0)
	v_fmac_f32_e32 v58, v15, v7
	v_fmac_f32_e32 v57, v16, v7
	ds_read2_b32 v[6:7], v10 offset0:64 offset1:80
	v_fmac_f32_e32 v56, v15, v12
	v_fmac_f32_e32 v55, v16, v12
	ds_read2_b32 v[11:12], v10 offset0:128 offset1:144
	s_waitcnt lgkmcnt(1)
	v_fmac_f32_e32 v58, v6, v8
	v_fmac_f32_e32 v57, v7, v8
	v_fmac_f32_e32 v56, v6, v13
	v_fmac_f32_e32 v55, v7, v13
	ds_read2_b32 v[6:7], v10 offset0:96 offset1:112
	s_waitcnt lgkmcnt(0)
	v_fmac_f32_e32 v58, v6, v9
	v_fmac_f32_e32 v57, v7, v9
	;; [unrolled: 1-line block ×4, first 2 shown]
	ds_read_b128 v[6:9], v50 offset:2096
	v_fmac_f32_e32 v58, v11, v2
	v_fmac_f32_e32 v57, v12, v2
	s_waitcnt lgkmcnt(0)
	v_fmac_f32_e32 v56, v11, v6
	v_fmac_f32_e32 v55, v12, v6
	ds_read2_b32 v[11:12], v10 offset0:160 offset1:176
	s_waitcnt lgkmcnt(0)
	v_fmac_f32_e32 v58, v11, v3
	v_fmac_f32_e32 v57, v12, v3
	ds_read2_b32 v[2:3], v10 offset0:192 offset1:208
	v_fmac_f32_e32 v56, v11, v7
	v_fmac_f32_e32 v55, v12, v7
	s_waitcnt lgkmcnt(0)
	v_fmac_f32_e32 v58, v2, v4
	v_fmac_f32_e32 v57, v3, v4
	;; [unrolled: 1-line block ×4, first 2 shown]
	ds_read2_b32 v[2:3], v10 offset0:224 offset1:240
	v_add_u32_e32 v10, 0x800, v52
	ds_read2_b32 v[11:12], v10 offset1:16
	s_waitcnt lgkmcnt(1)
	v_fmac_f32_e32 v58, v2, v5
	v_fmac_f32_e32 v57, v3, v5
	;; [unrolled: 1-line block ×4, first 2 shown]
	ds_read_b128 v[2:5], v50 offset:64
	ds_read_b128 v[6:9], v50 offset:2112
	s_waitcnt lgkmcnt(1)
	v_fmac_f32_e32 v58, v11, v2
	v_fmac_f32_e32 v57, v12, v2
	s_waitcnt lgkmcnt(0)
	v_fmac_f32_e32 v56, v11, v6
	v_fmac_f32_e32 v55, v12, v6
	ds_read2_b32 v[11:12], v10 offset0:32 offset1:48
	s_waitcnt lgkmcnt(0)
	v_fmac_f32_e32 v58, v11, v3
	v_fmac_f32_e32 v57, v12, v3
	ds_read2_b32 v[2:3], v10 offset0:64 offset1:80
	v_fmac_f32_e32 v56, v11, v7
	v_fmac_f32_e32 v55, v12, v7
	s_waitcnt lgkmcnt(0)
	v_fmac_f32_e32 v58, v2, v4
	v_fmac_f32_e32 v57, v3, v4
	v_fmac_f32_e32 v56, v2, v8
	v_fmac_f32_e32 v55, v3, v8
	ds_read2_b32 v[2:3], v10 offset0:96 offset1:112
	s_waitcnt lgkmcnt(0)
	v_fmac_f32_e32 v58, v2, v5
	v_fmac_f32_e32 v57, v3, v5
	;; [unrolled: 1-line block ×4, first 2 shown]
	ds_read_b128 v[2:5], v50 offset:80
	ds_read2_b32 v[11:12], v10 offset0:128 offset1:144
	ds_read_b128 v[6:9], v50 offset:2128
	s_waitcnt lgkmcnt(1)
	v_fmac_f32_e32 v58, v11, v2
	v_fmac_f32_e32 v57, v12, v2
	s_waitcnt lgkmcnt(0)
	v_fmac_f32_e32 v56, v11, v6
	v_fmac_f32_e32 v55, v12, v6
	ds_read2_b32 v[11:12], v10 offset0:160 offset1:176
	s_waitcnt lgkmcnt(0)
	v_fmac_f32_e32 v58, v11, v3
	v_fmac_f32_e32 v57, v12, v3
	ds_read2_b32 v[2:3], v10 offset0:192 offset1:208
	v_fmac_f32_e32 v56, v11, v7
	v_fmac_f32_e32 v55, v12, v7
	s_waitcnt lgkmcnt(0)
	v_fmac_f32_e32 v58, v2, v4
	v_fmac_f32_e32 v57, v3, v4
	;; [unrolled: 1-line block ×4, first 2 shown]
	ds_read2_b32 v[2:3], v10 offset0:224 offset1:240
	v_add_u32_e32 v10, 0xc00, v52
	ds_read2_b32 v[11:12], v10 offset1:16
	s_waitcnt lgkmcnt(1)
	v_fmac_f32_e32 v58, v2, v5
	v_fmac_f32_e32 v57, v3, v5
	;; [unrolled: 1-line block ×4, first 2 shown]
	ds_read_b128 v[2:5], v50 offset:96
	ds_read_b128 v[6:9], v50 offset:2144
	s_waitcnt lgkmcnt(1)
	v_fmac_f32_e32 v58, v11, v2
	v_fmac_f32_e32 v57, v12, v2
	s_waitcnt lgkmcnt(0)
	v_fmac_f32_e32 v56, v11, v6
	v_fmac_f32_e32 v55, v12, v6
	ds_read2_b32 v[11:12], v10 offset0:32 offset1:48
	s_waitcnt lgkmcnt(0)
	v_fmac_f32_e32 v58, v11, v3
	v_fmac_f32_e32 v57, v12, v3
	ds_read2_b32 v[2:3], v10 offset0:64 offset1:80
	v_fmac_f32_e32 v56, v11, v7
	v_fmac_f32_e32 v55, v12, v7
	s_waitcnt lgkmcnt(0)
	v_fmac_f32_e32 v58, v2, v4
	v_fmac_f32_e32 v57, v3, v4
	;; [unrolled: 1-line block ×4, first 2 shown]
	ds_read2_b32 v[2:3], v10 offset0:96 offset1:112
	s_waitcnt lgkmcnt(0)
	v_fmac_f32_e32 v58, v2, v5
	v_fmac_f32_e32 v57, v3, v5
	;; [unrolled: 1-line block ×4, first 2 shown]
	ds_read_b128 v[2:5], v50 offset:112
	ds_read2_b32 v[11:12], v10 offset0:128 offset1:144
	ds_read_b128 v[6:9], v50 offset:2160
	s_waitcnt lgkmcnt(1)
	v_fmac_f32_e32 v58, v11, v2
	v_fmac_f32_e32 v57, v12, v2
	s_waitcnt lgkmcnt(0)
	v_fmac_f32_e32 v56, v11, v6
	v_fmac_f32_e32 v55, v12, v6
	ds_read2_b32 v[11:12], v10 offset0:160 offset1:176
	s_waitcnt lgkmcnt(0)
	v_fmac_f32_e32 v58, v11, v3
	v_fmac_f32_e32 v57, v12, v3
	ds_read2_b32 v[2:3], v10 offset0:192 offset1:208
	v_fmac_f32_e32 v56, v11, v7
	v_fmac_f32_e32 v55, v12, v7
	s_waitcnt lgkmcnt(0)
	v_fmac_f32_e32 v58, v2, v4
	v_fmac_f32_e32 v57, v3, v4
	;; [unrolled: 1-line block ×4, first 2 shown]
	ds_read2_b32 v[2:3], v10 offset0:224 offset1:240
	s_waitcnt lgkmcnt(0)
	s_barrier
	v_fmac_f32_e32 v58, v2, v5
	v_fmac_f32_e32 v56, v2, v9
	v_mov_b32_e32 v2, s53
	v_addc_co_u32_e64 v49, s[10:11], v49, v2, s[10:11]
	v_add_co_u32_e64 v36, s[10:11], s34, v36
	v_mov_b32_e32 v2, s35
	v_addc_co_u32_e64 v37, s[10:11], v37, v2, s[10:11]
	v_add_co_u32_e64 v38, s[10:11], s34, v38
	v_fmac_f32_e32 v57, v3, v5
	v_fmac_f32_e32 v55, v3, v9
	v_addc_co_u32_e64 v39, s[10:11], v39, v2, s[10:11]
	s_cbranch_scc1 .LBB19_43
.LBB19_7:                               ;   Parent Loop BB19_4 Depth=1
                                        ; =>  This Inner Loop Header: Depth=2
	v_mov_b32_e32 v2, s43
	v_add_co_u32_e64 v4, s[10:11], s42, v20
	v_addc_co_u32_e64 v5, s[10:11], v21, v2, s[10:11]
	v_cmp_eq_u64_e64 s[10:11], s[42:43], v[30:31]
	v_add_co_u32_e64 v2, s[12:13], v38, v34
	v_addc_co_u32_e64 v3, s[12:13], v39, v35, s[12:13]
	s_and_b64 s[46:47], s[22:23], s[10:11]
	v_cmp_lt_i64_e64 s[10:11], v[4:5], v[28:29]
	v_cmp_le_i64_e64 s[12:13], s[26:27], v[4:5]
	s_or_b64 s[14:15], s[16:17], s[10:11]
	s_or_b64 s[14:15], s[12:13], s[14:15]
	s_nor_b64 s[14:15], s[14:15], s[46:47]
                                        ; implicit-def: $vgpr6
	s_and_saveexec_b64 s[18:19], s[14:15]
	s_xor_b64 s[14:15], exec, s[18:19]
	s_cbranch_execz .LBB19_9
; %bb.8:                                ;   in Loop: Header=BB19_7 Depth=2
	global_load_dword v6, v[2:3], off
.LBB19_9:                               ;   in Loop: Header=BB19_7 Depth=2
	s_andn2_saveexec_b64 s[14:15], s[14:15]
	s_cbranch_execz .LBB19_11
; %bb.10:                               ;   in Loop: Header=BB19_7 Depth=2
	s_waitcnt vmcnt(0)
	v_cndmask_b32_e64 v6, 0, 1.0, s[46:47]
.LBB19_11:                              ;   in Loop: Header=BB19_7 Depth=2
	s_or_b64 exec, exec, s[14:15]
	s_waitcnt vmcnt(0)
	ds_write_b32 v51, v6
	v_add_co_u32_e64 v6, s[18:19], 16, v4
	v_cmp_eq_u64_e64 s[14:15], s[42:43], v[46:47]
	v_addc_co_u32_e64 v7, s[18:19], 0, v5, s[18:19]
	v_cmp_lt_i64_e64 s[18:19], v[6:7], v[28:29]
	s_and_b64 s[20:21], s[22:23], s[14:15]
	v_cmp_le_i64_e64 s[14:15], s[26:27], v[6:7]
	s_or_b64 s[18:19], s[16:17], s[18:19]
	s_or_b64 s[18:19], s[14:15], s[18:19]
	s_nor_b64 s[18:19], s[18:19], s[20:21]
	s_and_saveexec_b64 s[50:51], s[18:19]
	s_xor_b64 s[50:51], exec, s[50:51]
	s_cbranch_execz .LBB19_13
; %bb.12:                               ;   in Loop: Header=BB19_7 Depth=2
	v_add_co_u32_e64 v6, s[18:19], v36, v34
	v_addc_co_u32_e64 v7, s[18:19], v37, v35, s[18:19]
	global_load_dword v6, v[6:7], off
	s_waitcnt vmcnt(0)
	ds_write_b32 v51, v6 offset:64
.LBB19_13:                              ;   in Loop: Header=BB19_7 Depth=2
	s_andn2_saveexec_b64 s[18:19], s[50:51]
	s_cbranch_execz .LBB19_19
; %bb.14:                               ;   in Loop: Header=BB19_7 Depth=2
	s_xor_b64 s[20:21], s[20:21], -1
	s_and_saveexec_b64 s[50:51], s[20:21]
	s_xor_b64 s[20:21], exec, s[50:51]
; %bb.15:                               ;   in Loop: Header=BB19_7 Depth=2
	ds_write_b32 v51, v0 offset:64
; %bb.16:                               ;   in Loop: Header=BB19_7 Depth=2
	s_andn2_saveexec_b64 s[20:21], s[20:21]
; %bb.17:                               ;   in Loop: Header=BB19_7 Depth=2
	ds_write_b32 v51, v54 offset:64
; %bb.18:                               ;   in Loop: Header=BB19_7 Depth=2
	s_or_b64 exec, exec, s[20:21]
.LBB19_19:                              ;   in Loop: Header=BB19_7 Depth=2
	s_or_b64 exec, exec, s[18:19]
	v_cmp_eq_u64_e64 s[18:19], s[42:43], v[44:45]
	v_cmp_lt_i64_e64 s[20:21], v[4:5], v[42:43]
	s_and_b64 s[18:19], s[22:23], s[18:19]
	s_or_b64 s[20:21], s[8:9], s[20:21]
	s_or_b64 s[20:21], s[20:21], s[18:19]
	s_nor_b64 s[12:13], s[12:13], s[20:21]
                                        ; implicit-def: $vgpr4
	s_and_saveexec_b64 s[20:21], s[12:13]
	s_xor_b64 s[12:13], exec, s[20:21]
	s_cbranch_execz .LBB19_21
; %bb.20:                               ;   in Loop: Header=BB19_7 Depth=2
	global_load_dword v4, v[2:3], off offset:64
.LBB19_21:                              ;   in Loop: Header=BB19_7 Depth=2
	s_andn2_saveexec_b64 s[12:13], s[12:13]
	s_cbranch_execz .LBB19_23
; %bb.22:                               ;   in Loop: Header=BB19_7 Depth=2
	s_waitcnt vmcnt(0)
	v_cndmask_b32_e64 v4, 0, 1.0, s[18:19]
.LBB19_23:                              ;   in Loop: Header=BB19_7 Depth=2
	s_or_b64 exec, exec, s[12:13]
	s_or_b64 s[10:11], s[8:9], s[10:11]
	s_or_b64 s[10:11], s[14:15], s[10:11]
	s_nor_b64 s[10:11], s[10:11], s[46:47]
	s_waitcnt vmcnt(0)
	ds_write_b32 v51, v4 offset:2048
	s_and_saveexec_b64 s[12:13], s[10:11]
	s_xor_b64 s[12:13], exec, s[12:13]
	s_cbranch_execz .LBB19_25
; %bb.24:                               ;   in Loop: Header=BB19_7 Depth=2
	v_add_co_u32_e64 v2, s[10:11], v36, v34
	v_addc_co_u32_e64 v3, s[10:11], v37, v35, s[10:11]
	global_load_dword v2, v[2:3], off offset:64
	s_waitcnt vmcnt(0)
	ds_write_b32 v51, v2 offset:2112
.LBB19_25:                              ;   in Loop: Header=BB19_7 Depth=2
	s_andn2_saveexec_b64 s[10:11], s[12:13]
	s_cbranch_execz .LBB19_31
; %bb.26:                               ;   in Loop: Header=BB19_7 Depth=2
	s_xor_b64 s[12:13], s[46:47], -1
	s_and_saveexec_b64 s[14:15], s[12:13]
	s_xor_b64 s[12:13], exec, s[14:15]
; %bb.27:                               ;   in Loop: Header=BB19_7 Depth=2
	ds_write_b32 v51, v0 offset:2112
; %bb.28:                               ;   in Loop: Header=BB19_7 Depth=2
	s_andn2_saveexec_b64 s[12:13], s[12:13]
; %bb.29:                               ;   in Loop: Header=BB19_7 Depth=2
	ds_write_b32 v51, v54 offset:2112
; %bb.30:                               ;   in Loop: Header=BB19_7 Depth=2
	s_or_b64 exec, exec, s[12:13]
.LBB19_31:                              ;   in Loop: Header=BB19_7 Depth=2
	s_or_b64 exec, exec, s[10:11]
	v_mov_b32_e32 v3, s43
	v_add_co_u32_e64 v2, s[10:11], s42, v22
	v_addc_co_u32_e64 v3, s[10:11], v23, v3, s[10:11]
	v_cmp_le_i64_e64 s[10:11], s[26:27], v[2:3]
	v_add_co_u32_e64 v4, s[12:13], v32, v48
	v_addc_co_u32_e64 v5, s[12:13], v33, v49, s[12:13]
	s_nor_b64 s[14:15], s[10:11], vcc
	v_mov_b32_e32 v6, 0
	s_and_saveexec_b64 s[12:13], s[14:15]
	s_cbranch_execz .LBB19_33
; %bb.32:                               ;   in Loop: Header=BB19_7 Depth=2
	global_load_dword v6, v[4:5], off offset:-64
.LBB19_33:                              ;   in Loop: Header=BB19_7 Depth=2
	s_or_b64 exec, exec, s[12:13]
	s_nor_b64 s[10:11], s[10:11], s[0:1]
	s_waitcnt vmcnt(0)
	ds_write_b32 v53, v6
	s_and_saveexec_b64 s[12:13], s[10:11]
	s_xor_b64 s[10:11], exec, s[12:13]
	s_cbranch_execz .LBB19_35
; %bb.34:                               ;   in Loop: Header=BB19_7 Depth=2
	global_load_dword v4, v[4:5], off
	s_waitcnt vmcnt(0)
	ds_write_b32 v53, v4 offset:64
.LBB19_35:                              ;   in Loop: Header=BB19_7 Depth=2
	s_andn2_saveexec_b64 s[10:11], s[10:11]
; %bb.36:                               ;   in Loop: Header=BB19_7 Depth=2
	ds_write_b32 v53, v0 offset:64
; %bb.37:                               ;   in Loop: Header=BB19_7 Depth=2
	s_or_b64 exec, exec, s[10:11]
	v_cmp_le_i64_e64 s[10:11], s[54:55], v[2:3]
	v_add_co_u32_e64 v2, s[12:13], v40, v48
	v_addc_co_u32_e64 v3, s[12:13], v41, v49, s[12:13]
	s_nor_b64 s[14:15], s[10:11], vcc
	v_mov_b32_e32 v4, 0
	s_and_saveexec_b64 s[12:13], s[14:15]
	s_cbranch_execz .LBB19_39
; %bb.38:                               ;   in Loop: Header=BB19_7 Depth=2
	global_load_dword v4, v[2:3], off
.LBB19_39:                              ;   in Loop: Header=BB19_7 Depth=2
	s_or_b64 exec, exec, s[12:13]
	s_nor_b64 s[10:11], s[10:11], s[0:1]
	s_waitcnt vmcnt(0)
	ds_write_b32 v53, v4 offset:2048
	s_and_saveexec_b64 s[12:13], s[10:11]
	s_xor_b64 s[10:11], exec, s[12:13]
	s_cbranch_execz .LBB19_41
; %bb.40:                               ;   in Loop: Header=BB19_7 Depth=2
	global_load_dword v2, v[2:3], off offset:64
	s_waitcnt vmcnt(0)
	ds_write_b32 v53, v2 offset:2112
.LBB19_41:                              ;   in Loop: Header=BB19_7 Depth=2
	s_andn2_saveexec_b64 s[10:11], s[10:11]
	s_cbranch_execz .LBB19_6
; %bb.42:                               ;   in Loop: Header=BB19_7 Depth=2
	ds_write_b32 v53, v0 offset:2112
	s_branch .LBB19_6
.LBB19_43:                              ;   in Loop: Header=BB19_4 Depth=1
	v_mul_lo_u32 v4, s25, v28
	v_mul_lo_u32 v5, s24, v29
	v_mad_u64_u32 v[2:3], s[8:9], s24, v28, 0
	v_cmp_gt_i32_e64 s[8:9], s30, v28
	v_add3_u32 v3, v3, v5, v4
	v_lshlrev_b64 v[2:3], 2, v[2:3]
	v_mov_b32_e32 v4, s59
	v_add_co_u32_e64 v2, s[10:11], s58, v2
	v_addc_co_u32_e64 v3, s[10:11], v4, v3, s[10:11]
	s_and_b64 s[10:11], s[2:3], s[8:9]
	s_and_saveexec_b64 s[12:13], s[10:11]
	s_cbranch_execz .LBB19_45
; %bb.44:                               ;   in Loop: Header=BB19_4 Depth=1
	v_add_co_u32_e64 v4, s[10:11], v2, v24
	v_addc_co_u32_e64 v5, s[10:11], v3, v25, s[10:11]
	global_load_dword v6, v[4:5], off
	s_waitcnt vmcnt(0)
	v_fmac_f32_e32 v6, s31, v58
	global_store_dword v[4:5], v6, off
.LBB19_45:                              ;   in Loop: Header=BB19_4 Depth=1
	s_or_b64 exec, exec, s[12:13]
	s_and_b64 s[8:9], s[4:5], s[8:9]
	s_and_saveexec_b64 s[10:11], s[8:9]
	s_cbranch_execz .LBB19_47
; %bb.46:                               ;   in Loop: Header=BB19_4 Depth=1
	v_lshlrev_b64 v[4:5], 2, v[18:19]
	v_add_co_u32_e64 v2, s[8:9], v2, v4
	v_addc_co_u32_e64 v3, s[8:9], v3, v5, s[8:9]
	global_load_dword v4, v[2:3], off
	s_waitcnt vmcnt(0)
	v_fmac_f32_e32 v4, s31, v57
	global_store_dword v[2:3], v4, off
.LBB19_47:                              ;   in Loop: Header=BB19_4 Depth=1
	s_or_b64 exec, exec, s[10:11]
	v_add_u32_e32 v4, 16, v28
	v_ashrrev_i32_e32 v2, 31, v4
	v_mul_lo_u32 v5, s24, v2
	v_mul_lo_u32 v6, s25, v4
	v_mad_u64_u32 v[2:3], s[8:9], s24, v4, 0
	v_cmp_gt_i32_e64 s[8:9], s30, v4
	v_mov_b32_e32 v4, s59
	v_add3_u32 v3, v3, v5, v6
	v_lshlrev_b64 v[2:3], 2, v[2:3]
	v_add_co_u32_e64 v2, s[10:11], s58, v2
	v_addc_co_u32_e64 v3, s[10:11], v4, v3, s[10:11]
	s_and_b64 s[10:11], s[2:3], s[8:9]
	s_and_saveexec_b64 s[12:13], s[10:11]
	s_cbranch_execz .LBB19_49
; %bb.48:                               ;   in Loop: Header=BB19_4 Depth=1
	v_add_co_u32_e64 v4, s[10:11], v2, v24
	v_addc_co_u32_e64 v5, s[10:11], v3, v25, s[10:11]
	global_load_dword v6, v[4:5], off
	s_waitcnt vmcnt(0)
	v_fmac_f32_e32 v6, s31, v56
	global_store_dword v[4:5], v6, off
.LBB19_49:                              ;   in Loop: Header=BB19_4 Depth=1
	s_or_b64 exec, exec, s[12:13]
	s_and_b64 s[8:9], s[4:5], s[8:9]
	s_and_saveexec_b64 s[10:11], s[8:9]
	s_cbranch_execz .LBB19_3
; %bb.50:                               ;   in Loop: Header=BB19_4 Depth=1
	v_lshlrev_b64 v[4:5], 2, v[18:19]
	v_add_co_u32_e64 v2, s[8:9], v2, v4
	v_addc_co_u32_e64 v3, s[8:9], v3, v5, s[8:9]
	global_load_dword v4, v[2:3], off
	s_waitcnt vmcnt(0)
	v_fmac_f32_e32 v4, s31, v55
	global_store_dword v[2:3], v4, off
	s_branch .LBB19_3
.LBB19_51:
	s_endpgm
	.section	.rodata,"a",@progbits
	.p2align	6, 0x0
	.amdhsa_kernel _ZL30rocblas_trmm_outofplace_kernelIfLi32ELi2ELb0ELb1ELb1ELb0EfKffEv17rocblas_diagonal_iiT6_lPT7_lllS4_lllPT8_llli
		.amdhsa_group_segment_fixed_size 8192
		.amdhsa_private_segment_fixed_size 12
		.amdhsa_kernarg_size 384
		.amdhsa_user_sgpr_count 6
		.amdhsa_user_sgpr_private_segment_buffer 1
		.amdhsa_user_sgpr_dispatch_ptr 0
		.amdhsa_user_sgpr_queue_ptr 0
		.amdhsa_user_sgpr_kernarg_segment_ptr 1
		.amdhsa_user_sgpr_dispatch_id 0
		.amdhsa_user_sgpr_flat_scratch_init 0
		.amdhsa_user_sgpr_private_segment_size 0
		.amdhsa_uses_dynamic_stack 0
		.amdhsa_system_sgpr_private_segment_wavefront_offset 1
		.amdhsa_system_sgpr_workgroup_id_x 1
		.amdhsa_system_sgpr_workgroup_id_y 1
		.amdhsa_system_sgpr_workgroup_id_z 1
		.amdhsa_system_sgpr_workgroup_info 0
		.amdhsa_system_vgpr_workitem_id 1
		.amdhsa_next_free_vgpr 63
		.amdhsa_next_free_sgpr 68
		.amdhsa_reserve_vcc 1
		.amdhsa_reserve_flat_scratch 0
		.amdhsa_float_round_mode_32 0
		.amdhsa_float_round_mode_16_64 0
		.amdhsa_float_denorm_mode_32 3
		.amdhsa_float_denorm_mode_16_64 3
		.amdhsa_dx10_clamp 1
		.amdhsa_ieee_mode 1
		.amdhsa_fp16_overflow 0
		.amdhsa_exception_fp_ieee_invalid_op 0
		.amdhsa_exception_fp_denorm_src 0
		.amdhsa_exception_fp_ieee_div_zero 0
		.amdhsa_exception_fp_ieee_overflow 0
		.amdhsa_exception_fp_ieee_underflow 0
		.amdhsa_exception_fp_ieee_inexact 0
		.amdhsa_exception_int_div_zero 0
	.end_amdhsa_kernel
	.section	.text._ZL30rocblas_trmm_outofplace_kernelIfLi32ELi2ELb0ELb1ELb1ELb0EfKffEv17rocblas_diagonal_iiT6_lPT7_lllS4_lllPT8_llli,"axG",@progbits,_ZL30rocblas_trmm_outofplace_kernelIfLi32ELi2ELb0ELb1ELb1ELb0EfKffEv17rocblas_diagonal_iiT6_lPT7_lllS4_lllPT8_llli,comdat
.Lfunc_end19:
	.size	_ZL30rocblas_trmm_outofplace_kernelIfLi32ELi2ELb0ELb1ELb1ELb0EfKffEv17rocblas_diagonal_iiT6_lPT7_lllS4_lllPT8_llli, .Lfunc_end19-_ZL30rocblas_trmm_outofplace_kernelIfLi32ELi2ELb0ELb1ELb1ELb0EfKffEv17rocblas_diagonal_iiT6_lPT7_lllS4_lllPT8_llli
                                        ; -- End function
	.set _ZL30rocblas_trmm_outofplace_kernelIfLi32ELi2ELb0ELb1ELb1ELb0EfKffEv17rocblas_diagonal_iiT6_lPT7_lllS4_lllPT8_llli.num_vgpr, 63
	.set _ZL30rocblas_trmm_outofplace_kernelIfLi32ELi2ELb0ELb1ELb1ELb0EfKffEv17rocblas_diagonal_iiT6_lPT7_lllS4_lllPT8_llli.num_agpr, 0
	.set _ZL30rocblas_trmm_outofplace_kernelIfLi32ELi2ELb0ELb1ELb1ELb0EfKffEv17rocblas_diagonal_iiT6_lPT7_lllS4_lllPT8_llli.numbered_sgpr, 68
	.set _ZL30rocblas_trmm_outofplace_kernelIfLi32ELi2ELb0ELb1ELb1ELb0EfKffEv17rocblas_diagonal_iiT6_lPT7_lllS4_lllPT8_llli.num_named_barrier, 0
	.set _ZL30rocblas_trmm_outofplace_kernelIfLi32ELi2ELb0ELb1ELb1ELb0EfKffEv17rocblas_diagonal_iiT6_lPT7_lllS4_lllPT8_llli.private_seg_size, 12
	.set _ZL30rocblas_trmm_outofplace_kernelIfLi32ELi2ELb0ELb1ELb1ELb0EfKffEv17rocblas_diagonal_iiT6_lPT7_lllS4_lllPT8_llli.uses_vcc, 1
	.set _ZL30rocblas_trmm_outofplace_kernelIfLi32ELi2ELb0ELb1ELb1ELb0EfKffEv17rocblas_diagonal_iiT6_lPT7_lllS4_lllPT8_llli.uses_flat_scratch, 0
	.set _ZL30rocblas_trmm_outofplace_kernelIfLi32ELi2ELb0ELb1ELb1ELb0EfKffEv17rocblas_diagonal_iiT6_lPT7_lllS4_lllPT8_llli.has_dyn_sized_stack, 0
	.set _ZL30rocblas_trmm_outofplace_kernelIfLi32ELi2ELb0ELb1ELb1ELb0EfKffEv17rocblas_diagonal_iiT6_lPT7_lllS4_lllPT8_llli.has_recursion, 0
	.set _ZL30rocblas_trmm_outofplace_kernelIfLi32ELi2ELb0ELb1ELb1ELb0EfKffEv17rocblas_diagonal_iiT6_lPT7_lllS4_lllPT8_llli.has_indirect_call, 0
	.section	.AMDGPU.csdata,"",@progbits
; Kernel info:
; codeLenInByte = 3100
; TotalNumSgprs: 72
; NumVgprs: 63
; ScratchSize: 12
; MemoryBound: 0
; FloatMode: 240
; IeeeMode: 1
; LDSByteSize: 8192 bytes/workgroup (compile time only)
; SGPRBlocks: 8
; VGPRBlocks: 15
; NumSGPRsForWavesPerEU: 72
; NumVGPRsForWavesPerEU: 63
; Occupancy: 4
; WaveLimiterHint : 0
; COMPUTE_PGM_RSRC2:SCRATCH_EN: 1
; COMPUTE_PGM_RSRC2:USER_SGPR: 6
; COMPUTE_PGM_RSRC2:TRAP_HANDLER: 0
; COMPUTE_PGM_RSRC2:TGID_X_EN: 1
; COMPUTE_PGM_RSRC2:TGID_Y_EN: 1
; COMPUTE_PGM_RSRC2:TGID_Z_EN: 1
; COMPUTE_PGM_RSRC2:TIDIG_COMP_CNT: 1
	.section	.text._ZL30rocblas_trmm_outofplace_kernelIfLi32ELi2ELb0ELb0ELb1ELb1EPKfS0_fEv17rocblas_diagonal_iiT6_lPT7_lllS5_lllPT8_llli,"axG",@progbits,_ZL30rocblas_trmm_outofplace_kernelIfLi32ELi2ELb0ELb0ELb1ELb1EPKfS0_fEv17rocblas_diagonal_iiT6_lPT7_lllS5_lllPT8_llli,comdat
	.globl	_ZL30rocblas_trmm_outofplace_kernelIfLi32ELi2ELb0ELb0ELb1ELb1EPKfS0_fEv17rocblas_diagonal_iiT6_lPT7_lllS5_lllPT8_llli ; -- Begin function _ZL30rocblas_trmm_outofplace_kernelIfLi32ELi2ELb0ELb0ELb1ELb1EPKfS0_fEv17rocblas_diagonal_iiT6_lPT7_lllS5_lllPT8_llli
	.p2align	8
	.type	_ZL30rocblas_trmm_outofplace_kernelIfLi32ELi2ELb0ELb0ELb1ELb1EPKfS0_fEv17rocblas_diagonal_iiT6_lPT7_lllS5_lllPT8_llli,@function
_ZL30rocblas_trmm_outofplace_kernelIfLi32ELi2ELb0ELb0ELb1ELb1EPKfS0_fEv17rocblas_diagonal_iiT6_lPT7_lllS5_lllPT8_llli: ; @_ZL30rocblas_trmm_outofplace_kernelIfLi32ELi2ELb0ELb0ELb1ELb1EPKfS0_fEv17rocblas_diagonal_iiT6_lPT7_lllS5_lllPT8_llli
; %bb.0:
	s_load_dwordx16 s[12:27], s[4:5], 0x10
	s_mov_b64 s[54:55], s[2:3]
	s_mov_b64 s[52:53], s[0:1]
	s_add_u32 s52, s52, s9
	s_addc_u32 s53, s53, 0
	s_waitcnt lgkmcnt(0)
	s_mul_i32 s0, s15, s8
	s_mul_hi_u32 s1, s14, s8
	s_add_i32 s1, s1, s0
	s_mul_i32 s0, s14, s8
	s_lshl_b64 s[0:1], s[0:1], 2
	s_add_u32 s0, s12, s0
	s_addc_u32 s1, s13, s1
	s_load_dword s33, s[0:1], 0x0
	s_waitcnt lgkmcnt(0)
	v_cmp_eq_f32_e64 s[0:1], s33, 0
	s_and_b64 vcc, exec, s[0:1]
	s_cbranch_vccnz .LBB20_51
; %bb.1:
	s_load_dwordx4 s[28:31], s[4:5], 0x0
	s_waitcnt lgkmcnt(0)
	s_add_i32 s0, s30, -1
	s_ashr_i32 s1, s0, 31
	s_lshr_b32 s1, s1, 27
	s_add_i32 s0, s0, s1
	s_ashr_i32 s48, s0, 5
	s_cmp_gt_i32 s7, s48
	s_cbranch_scc1 .LBB20_51
; %bb.2:
	s_mul_i32 s0, s23, s8
	s_mul_hi_u32 s1, s22, s8
	s_add_i32 s1, s1, s0
	s_mul_i32 s0, s22, s8
	s_load_dwordx8 s[36:43], s[4:5], 0x50
	s_load_dwordx4 s[44:47], s[4:5], 0x70
	s_lshl_b64 s[10:11], s[0:1], 2
	s_add_u32 s0, s16, s10
	s_addc_u32 s1, s17, s11
	s_lshl_b64 s[12:13], s[18:19], 2
	s_add_u32 s2, s0, s12
	s_addc_u32 s3, s1, s13
	s_waitcnt lgkmcnt(0)
	s_mul_i32 s0, s39, s8
	s_mul_hi_u32 s1, s38, s8
	s_add_i32 s1, s1, s0
	s_mul_i32 s0, s38, s8
	s_lshl_b64 s[0:1], s[0:1], 2
	s_add_u32 s9, s24, s0
	s_addc_u32 s14, s25, s1
	s_lshl_b64 s[0:1], s[26:27], 2
	s_add_u32 s9, s9, s0
	s_addc_u32 s14, s14, s1
	s_mul_i32 s0, s47, s8
	s_mul_hi_u32 s1, s46, s8
	s_add_i32 s1, s1, s0
	s_mul_i32 s0, s46, s8
	s_lshl_b64 s[0:1], s[0:1], 2
	s_load_dword s49, s[4:5], 0x8c
	s_add_u32 s4, s40, s0
	s_addc_u32 s5, s41, s1
	v_mad_u64_u32 v[2:3], s[0:1], s20, v0, 0
	s_lshl_b64 s[0:1], s[42:43], 2
	s_add_u32 s40, s4, s0
	s_addc_u32 s41, s5, s1
	v_mad_u64_u32 v[3:4], s[0:1], s21, v0, v[3:4]
	v_lshl_add_u32 v4, s6, 5, v0
	v_ashrrev_i32_e32 v5, 31, v4
	v_lshlrev_b64 v[2:3], 2, v[2:3]
	v_mov_b32_e32 v6, s3
	v_add_co_u32_e32 v2, vcc, s2, v2
	v_addc_co_u32_e32 v3, vcc, v6, v3, vcc
	v_lshlrev_b64 v[20:21], 2, v[4:5]
	buffer_store_dword v2, off, s[52:55], 0 ; 4-byte Folded Spill
	s_nop 0
	buffer_store_dword v3, off, s[52:55], 0 offset:4 ; 4-byte Folded Spill
	v_mov_b32_e32 v2, s14
	v_add_co_u32_e32 v6, vcc, s9, v20
	v_addc_co_u32_e32 v7, vcc, v2, v21, vcc
	buffer_store_dword v6, off, s[52:55], 0 offset:8 ; 4-byte Folded Spill
	s_nop 0
	buffer_store_dword v7, off, s[52:55], 0 offset:12 ; 4-byte Folded Spill
	s_cmpk_eq_i32 s28, 0x84
	s_cselect_b64 s[22:23], -1, 0
	s_ashr_i32 s0, s29, 31
	v_mov_b32_e32 v3, s0
	v_sub_co_u32_e32 v2, vcc, s29, v4
	v_subb_co_u32_e32 v3, vcc, v3, v5, vcc
	v_cmp_gt_i64_e32 vcc, 1, v[2:3]
	v_cmp_gt_i64_e64 s[0:1], 17, v[2:3]
	v_cmp_gt_i32_e64 s[2:3], s29, v4
	v_add_u32_e32 v2, 16, v4
	v_mad_u64_u32 v[4:5], s[4:5], s36, v1, 0
	s_ashr_i32 s31, s30, 31
	s_lshl_b64 s[24:25], s[20:21], 7
	s_lshl_b64 s[26:27], s[36:37], 7
	s_add_u32 s34, s30, -16
	s_addc_u32 s35, s31, -1
	s_waitcnt lgkmcnt(0)
	s_lshl_b32 s6, s49, 5
	v_lshlrev_b32_e32 v51, 7, v1
	v_lshlrev_b32_e32 v7, 2, v0
	v_add_u32_e32 v52, v51, v7
	v_or_b32_e32 v53, 0x1000, v7
	v_add_u32_e32 v8, 64, v7
	v_ashrrev_i32_e32 v3, 31, v2
	v_lshlrev_b64 v[30:31], 2, v[2:3]
	v_mov_b32_e32 v50, 0
	v_add_u32_e32 v54, v53, v51
	v_cmp_gt_i32_e64 s[4:5], s29, v2
	v_lshl_add_u32 v28, s7, 5, v1
	v_mov_b32_e32 v59, 1.0
	v_mad_u64_u32 v[5:6], s[8:9], s37, v1, v[5:6]
	s_add_u32 s8, s16, s12
	s_addc_u32 s9, s17, s13
	s_add_u32 s8, s8, s10
	s_addc_u32 s9, s9, s11
	v_mov_b32_e32 v6, s8
	v_mov_b32_e32 v7, s9
	v_mad_u64_u32 v[18:19], s[8:9], s20, v8, v[6:7]
	v_sub_co_u32_e64 v63, s[8:9], 0, v0
	v_subb_co_u32_e64 v6, s[8:9], 0, 0, s[8:9]
	buffer_store_dword v6, off, s[52:55], 0 offset:16 ; 4-byte Folded Spill
	v_mov_b32_e32 v6, v19
	v_mad_u64_u32 v[6:7], s[8:9], s21, v8, v[6:7]
	v_lshl_add_u32 v7, v1, 2, 64
	v_mad_u64_u32 v[26:27], s[8:9], s36, v7, 0
	v_mov_b32_e32 v19, v6
	v_lshlrev_b64 v[4:5], 2, v[4:5]
	v_mov_b32_e32 v6, v27
	v_mad_u64_u32 v[6:7], s[8:9], s37, v7, v[6:7]
	v_add_co_u32_e64 v27, s[8:9], 64, v4
	v_addc_co_u32_e64 v57, s[8:9], 0, v5, s[8:9]
	v_mov_b32_e32 v58, v6
	s_branch .LBB20_4
.LBB20_3:                               ;   in Loop: Header=BB20_4 Depth=1
	s_or_b64 exec, exec, s[10:11]
	s_add_i32 s7, s49, s7
	s_cmp_le_i32 s7, s48
	v_add_u32_e32 v28, s6, v28
	s_cbranch_scc0 .LBB20_51
.LBB20_4:                               ; =>This Loop Header: Depth=1
                                        ;     Child Loop BB20_7 Depth 2
	s_lshl_b32 s42, s7, 5
	v_add_u32_e32 v32, s42, v1
	v_ashrrev_i32_e32 v33, 31, v32
	s_cmp_lt_i32 s7, 0
	v_mov_b32_e32 v62, 0
	v_mov_b32_e32 v61, 0
	;; [unrolled: 1-line block ×4, first 2 shown]
	s_cbranch_scc1 .LBB20_43
; %bb.5:                                ;   in Loop: Header=BB20_4 Depth=1
	buffer_load_dword v2, off, s[52:55], 0 offset:16 ; 4-byte Folded Reload
	buffer_load_dword v44, off, s[52:55], 0 ; 4-byte Folded Reload
	buffer_load_dword v45, off, s[52:55], 0 offset:4 ; 4-byte Folded Reload
	buffer_load_dword v48, off, s[52:55], 0 offset:8 ; 4-byte Folded Reload
	;; [unrolled: 1-line block ×3, first 2 shown]
	v_ashrrev_i32_e32 v29, 31, v28
	v_add_co_u32_e64 v34, s[8:9], v63, v28
	v_add_co_u32_e64 v40, s[10:11], 16, v34
	v_lshlrev_b64 v[36:37], 2, v[28:29]
	v_mov_b32_e32 v47, v19
	v_cmp_le_i32_e64 s[16:17], s30, v32
	s_mov_b64 s[28:29], 0
	v_mov_b32_e32 v60, 0
	v_mov_b32_e32 v61, 0
	;; [unrolled: 1-line block ×4, first 2 shown]
	s_waitcnt vmcnt(4)
	v_addc_co_u32_e64 v35, s[8:9], v2, v29, s[8:9]
	v_add_co_u32_e64 v38, s[8:9], 16, v32
	v_addc_co_u32_e64 v39, s[8:9], 0, v33, s[8:9]
	v_addc_co_u32_e64 v41, s[10:11], 0, v35, s[10:11]
	v_cmp_le_i64_e64 s[8:9], s[30:31], v[38:39]
	v_add_co_u32_e64 v42, s[10:11], -16, v34
	v_addc_co_u32_e64 v43, s[10:11], -1, v35, s[10:11]
	v_mov_b32_e32 v29, 0
	s_branch .LBB20_7
.LBB20_6:                               ;   in Loop: Header=BB20_7 Depth=2
	s_or_b64 exec, exec, s[10:11]
	s_waitcnt lgkmcnt(0)
	s_barrier
	ds_read_b128 v[14:17], v51
	ds_read_b128 v[10:13], v51 offset:16
	ds_read_b128 v[6:9], v51 offset:32
	;; [unrolled: 1-line block ×3, first 2 shown]
	ds_read2_b32 v[55:56], v53 offset1:16
	ds_read_b128 v[22:25], v51 offset:2048
	v_add_co_u32_e64 v48, s[10:11], s26, v48
	s_add_u32 s28, s28, 32
	s_waitcnt lgkmcnt(1)
	v_fmac_f32_e32 v62, v55, v14
	v_fmac_f32_e32 v61, v56, v14
	s_waitcnt lgkmcnt(0)
	v_fmac_f32_e32 v60, v55, v22
	v_fmac_f32_e32 v29, v56, v22
	ds_read2_b32 v[55:56], v53 offset0:32 offset1:48
	s_addc_u32 s29, s29, 0
	s_sub_i32 s12, s28, 32
	s_cmp_ge_i32 s12, s42
	s_waitcnt lgkmcnt(0)
	v_fmac_f32_e32 v62, v55, v15
	v_fmac_f32_e32 v61, v56, v15
	ds_read2_b32 v[14:15], v53 offset0:64 offset1:80
	v_fmac_f32_e32 v60, v55, v23
	v_fmac_f32_e32 v29, v56, v23
	ds_read2_b32 v[22:23], v53 offset0:128 offset1:144
	s_waitcnt lgkmcnt(1)
	v_fmac_f32_e32 v62, v14, v16
	v_fmac_f32_e32 v61, v15, v16
	v_fmac_f32_e32 v60, v14, v24
	v_fmac_f32_e32 v29, v15, v24
	ds_read2_b32 v[14:15], v53 offset0:96 offset1:112
	s_waitcnt lgkmcnt(0)
	v_fmac_f32_e32 v62, v14, v17
	v_fmac_f32_e32 v61, v15, v17
	;; [unrolled: 1-line block ×4, first 2 shown]
	ds_read_b128 v[14:17], v51 offset:2064
	v_fmac_f32_e32 v62, v22, v10
	v_fmac_f32_e32 v61, v23, v10
	s_waitcnt lgkmcnt(0)
	v_fmac_f32_e32 v60, v22, v14
	v_fmac_f32_e32 v29, v23, v14
	ds_read2_b32 v[22:23], v53 offset0:160 offset1:176
	s_waitcnt lgkmcnt(0)
	v_fmac_f32_e32 v62, v22, v11
	v_fmac_f32_e32 v61, v23, v11
	ds_read2_b32 v[10:11], v53 offset0:192 offset1:208
	v_fmac_f32_e32 v60, v22, v15
	v_fmac_f32_e32 v29, v23, v15
	s_waitcnt lgkmcnt(0)
	v_fmac_f32_e32 v62, v10, v12
	v_fmac_f32_e32 v61, v11, v12
	;; [unrolled: 1-line block ×4, first 2 shown]
	ds_read2_b32 v[10:11], v53 offset0:224 offset1:240
	s_waitcnt lgkmcnt(0)
	v_fmac_f32_e32 v62, v10, v13
	v_fmac_f32_e32 v60, v10, v17
	v_add_u32_e32 v10, 0x400, v53
	v_fmac_f32_e32 v61, v11, v13
	v_fmac_f32_e32 v29, v11, v17
	ds_read2_b32 v[15:16], v10 offset1:16
	ds_read_b128 v[11:14], v51 offset:2080
	s_waitcnt lgkmcnt(1)
	v_fmac_f32_e32 v62, v15, v6
	v_fmac_f32_e32 v61, v16, v6
	s_waitcnt lgkmcnt(0)
	v_fmac_f32_e32 v60, v15, v11
	v_fmac_f32_e32 v29, v16, v11
	ds_read2_b32 v[15:16], v10 offset0:32 offset1:48
	s_waitcnt lgkmcnt(0)
	v_fmac_f32_e32 v62, v15, v7
	v_fmac_f32_e32 v61, v16, v7
	ds_read2_b32 v[6:7], v10 offset0:64 offset1:80
	v_fmac_f32_e32 v60, v15, v12
	v_fmac_f32_e32 v29, v16, v12
	ds_read2_b32 v[11:12], v10 offset0:128 offset1:144
	s_waitcnt lgkmcnt(1)
	v_fmac_f32_e32 v62, v6, v8
	v_fmac_f32_e32 v61, v7, v8
	;; [unrolled: 1-line block ×4, first 2 shown]
	ds_read2_b32 v[6:7], v10 offset0:96 offset1:112
	s_waitcnt lgkmcnt(0)
	v_fmac_f32_e32 v62, v6, v9
	v_fmac_f32_e32 v61, v7, v9
	;; [unrolled: 1-line block ×4, first 2 shown]
	ds_read_b128 v[6:9], v51 offset:2096
	v_fmac_f32_e32 v62, v11, v2
	v_fmac_f32_e32 v61, v12, v2
	s_waitcnt lgkmcnt(0)
	v_fmac_f32_e32 v60, v11, v6
	v_fmac_f32_e32 v29, v12, v6
	ds_read2_b32 v[11:12], v10 offset0:160 offset1:176
	s_waitcnt lgkmcnt(0)
	v_fmac_f32_e32 v62, v11, v3
	v_fmac_f32_e32 v61, v12, v3
	ds_read2_b32 v[2:3], v10 offset0:192 offset1:208
	v_fmac_f32_e32 v60, v11, v7
	v_fmac_f32_e32 v29, v12, v7
	s_waitcnt lgkmcnt(0)
	v_fmac_f32_e32 v62, v2, v4
	v_fmac_f32_e32 v61, v3, v4
	v_fmac_f32_e32 v60, v2, v8
	v_fmac_f32_e32 v29, v3, v8
	ds_read2_b32 v[2:3], v10 offset0:224 offset1:240
	v_add_u32_e32 v10, 0x800, v53
	ds_read2_b32 v[11:12], v10 offset1:16
	s_waitcnt lgkmcnt(1)
	v_fmac_f32_e32 v62, v2, v5
	v_fmac_f32_e32 v61, v3, v5
	v_fmac_f32_e32 v60, v2, v9
	v_fmac_f32_e32 v29, v3, v9
	ds_read_b128 v[2:5], v51 offset:64
	ds_read_b128 v[6:9], v51 offset:2112
	s_waitcnt lgkmcnt(1)
	v_fmac_f32_e32 v62, v11, v2
	v_fmac_f32_e32 v61, v12, v2
	s_waitcnt lgkmcnt(0)
	v_fmac_f32_e32 v60, v11, v6
	v_fmac_f32_e32 v29, v12, v6
	ds_read2_b32 v[11:12], v10 offset0:32 offset1:48
	s_waitcnt lgkmcnt(0)
	v_fmac_f32_e32 v62, v11, v3
	v_fmac_f32_e32 v61, v12, v3
	ds_read2_b32 v[2:3], v10 offset0:64 offset1:80
	v_fmac_f32_e32 v60, v11, v7
	v_fmac_f32_e32 v29, v12, v7
	s_waitcnt lgkmcnt(0)
	v_fmac_f32_e32 v62, v2, v4
	v_fmac_f32_e32 v61, v3, v4
	;; [unrolled: 1-line block ×4, first 2 shown]
	ds_read2_b32 v[2:3], v10 offset0:96 offset1:112
	s_waitcnt lgkmcnt(0)
	v_fmac_f32_e32 v62, v2, v5
	v_fmac_f32_e32 v61, v3, v5
	;; [unrolled: 1-line block ×4, first 2 shown]
	ds_read_b128 v[2:5], v51 offset:80
	ds_read2_b32 v[11:12], v10 offset0:128 offset1:144
	ds_read_b128 v[6:9], v51 offset:2128
	s_waitcnt lgkmcnt(1)
	v_fmac_f32_e32 v62, v11, v2
	v_fmac_f32_e32 v61, v12, v2
	s_waitcnt lgkmcnt(0)
	v_fmac_f32_e32 v60, v11, v6
	v_fmac_f32_e32 v29, v12, v6
	ds_read2_b32 v[11:12], v10 offset0:160 offset1:176
	s_waitcnt lgkmcnt(0)
	v_fmac_f32_e32 v62, v11, v3
	v_fmac_f32_e32 v61, v12, v3
	ds_read2_b32 v[2:3], v10 offset0:192 offset1:208
	v_fmac_f32_e32 v60, v11, v7
	v_fmac_f32_e32 v29, v12, v7
	s_waitcnt lgkmcnt(0)
	v_fmac_f32_e32 v62, v2, v4
	v_fmac_f32_e32 v61, v3, v4
	;; [unrolled: 1-line block ×4, first 2 shown]
	ds_read2_b32 v[2:3], v10 offset0:224 offset1:240
	v_add_u32_e32 v10, 0xc00, v53
	ds_read2_b32 v[11:12], v10 offset1:16
	s_waitcnt lgkmcnt(1)
	v_fmac_f32_e32 v62, v2, v5
	v_fmac_f32_e32 v61, v3, v5
	;; [unrolled: 1-line block ×4, first 2 shown]
	ds_read_b128 v[2:5], v51 offset:96
	ds_read_b128 v[6:9], v51 offset:2144
	s_waitcnt lgkmcnt(1)
	v_fmac_f32_e32 v62, v11, v2
	v_fmac_f32_e32 v61, v12, v2
	s_waitcnt lgkmcnt(0)
	v_fmac_f32_e32 v60, v11, v6
	v_fmac_f32_e32 v29, v12, v6
	ds_read2_b32 v[11:12], v10 offset0:32 offset1:48
	s_waitcnt lgkmcnt(0)
	v_fmac_f32_e32 v62, v11, v3
	v_fmac_f32_e32 v61, v12, v3
	ds_read2_b32 v[2:3], v10 offset0:64 offset1:80
	v_fmac_f32_e32 v60, v11, v7
	v_fmac_f32_e32 v29, v12, v7
	s_waitcnt lgkmcnt(0)
	v_fmac_f32_e32 v62, v2, v4
	v_fmac_f32_e32 v61, v3, v4
	;; [unrolled: 1-line block ×4, first 2 shown]
	ds_read2_b32 v[2:3], v10 offset0:96 offset1:112
	s_waitcnt lgkmcnt(0)
	v_fmac_f32_e32 v62, v2, v5
	v_fmac_f32_e32 v61, v3, v5
	;; [unrolled: 1-line block ×4, first 2 shown]
	ds_read_b128 v[2:5], v51 offset:112
	ds_read2_b32 v[11:12], v10 offset0:128 offset1:144
	ds_read_b128 v[6:9], v51 offset:2160
	s_waitcnt lgkmcnt(1)
	v_fmac_f32_e32 v62, v11, v2
	v_fmac_f32_e32 v61, v12, v2
	s_waitcnt lgkmcnt(0)
	v_fmac_f32_e32 v60, v11, v6
	v_fmac_f32_e32 v29, v12, v6
	ds_read2_b32 v[11:12], v10 offset0:160 offset1:176
	s_waitcnt lgkmcnt(0)
	v_fmac_f32_e32 v62, v11, v3
	v_fmac_f32_e32 v61, v12, v3
	ds_read2_b32 v[2:3], v10 offset0:192 offset1:208
	v_fmac_f32_e32 v60, v11, v7
	v_fmac_f32_e32 v29, v12, v7
	s_waitcnt lgkmcnt(0)
	v_fmac_f32_e32 v62, v2, v4
	v_fmac_f32_e32 v61, v3, v4
	;; [unrolled: 1-line block ×4, first 2 shown]
	ds_read2_b32 v[2:3], v10 offset0:224 offset1:240
	s_waitcnt lgkmcnt(0)
	s_barrier
	v_fmac_f32_e32 v62, v2, v5
	v_fmac_f32_e32 v60, v2, v9
	v_mov_b32_e32 v2, s27
	v_addc_co_u32_e64 v49, s[10:11], v49, v2, s[10:11]
	v_add_co_u32_e64 v46, s[10:11], s24, v46
	v_mov_b32_e32 v2, s25
	v_addc_co_u32_e64 v47, s[10:11], v47, v2, s[10:11]
	v_add_co_u32_e64 v44, s[10:11], s24, v44
	v_fmac_f32_e32 v61, v3, v5
	v_fmac_f32_e32 v29, v3, v9
	v_addc_co_u32_e64 v45, s[10:11], v45, v2, s[10:11]
	s_cbranch_scc1 .LBB20_43
.LBB20_7:                               ;   Parent Loop BB20_4 Depth=1
                                        ; =>  This Inner Loop Header: Depth=2
	v_mov_b32_e32 v2, s29
	v_add_co_u32_e64 v4, s[10:11], s28, v0
	v_addc_co_u32_e64 v5, s[10:11], 0, v2, s[10:11]
	v_cmp_eq_u64_e64 s[10:11], s[28:29], v[34:35]
	s_waitcnt vmcnt(3)
	v_add_co_u32_e64 v2, s[12:13], v44, v36
	s_and_b64 s[36:37], s[22:23], s[10:11]
	v_cmp_gt_i64_e64 s[10:11], v[4:5], v[32:33]
	s_waitcnt vmcnt(2)
	v_addc_co_u32_e64 v3, s[12:13], v45, v37, s[12:13]
	v_cmp_le_i64_e64 s[12:13], s[30:31], v[4:5]
	s_or_b64 s[14:15], s[16:17], s[10:11]
	s_or_b64 s[14:15], s[14:15], s[36:37]
	s_nor_b64 s[14:15], s[12:13], s[14:15]
                                        ; implicit-def: $vgpr6
	s_and_saveexec_b64 s[18:19], s[14:15]
	s_xor_b64 s[14:15], exec, s[18:19]
	s_cbranch_execz .LBB20_9
; %bb.8:                                ;   in Loop: Header=BB20_7 Depth=2
	global_load_dword v6, v[2:3], off
.LBB20_9:                               ;   in Loop: Header=BB20_7 Depth=2
	s_andn2_saveexec_b64 s[14:15], s[14:15]
	s_cbranch_execz .LBB20_11
; %bb.10:                               ;   in Loop: Header=BB20_7 Depth=2
	s_waitcnt vmcnt(0)
	v_cndmask_b32_e64 v6, 0, 1.0, s[36:37]
.LBB20_11:                              ;   in Loop: Header=BB20_7 Depth=2
	s_or_b64 exec, exec, s[14:15]
	s_waitcnt vmcnt(0)
	ds_write_b32 v52, v6
	v_add_co_u32_e64 v6, s[18:19], 16, v4
	v_addc_co_u32_e64 v7, s[18:19], 0, v5, s[18:19]
	v_cmp_eq_u64_e64 s[14:15], s[28:29], v[42:43]
	v_cmp_gt_i64_e64 s[18:19], v[6:7], v[32:33]
	s_and_b64 s[20:21], s[22:23], s[14:15]
	v_cmp_le_i64_e64 s[14:15], s[30:31], v[6:7]
	s_or_b64 s[18:19], s[16:17], s[18:19]
	s_or_b64 s[18:19], s[18:19], s[20:21]
	s_nor_b64 s[18:19], s[14:15], s[18:19]
	s_and_saveexec_b64 s[38:39], s[18:19]
	s_xor_b64 s[38:39], exec, s[38:39]
	s_cbranch_execz .LBB20_13
; %bb.12:                               ;   in Loop: Header=BB20_7 Depth=2
	v_add_co_u32_e64 v6, s[18:19], v46, v36
	v_addc_co_u32_e64 v7, s[18:19], v47, v37, s[18:19]
	global_load_dword v6, v[6:7], off
	s_waitcnt vmcnt(0)
	ds_write_b32 v52, v6 offset:64
.LBB20_13:                              ;   in Loop: Header=BB20_7 Depth=2
	s_andn2_saveexec_b64 s[18:19], s[38:39]
	s_cbranch_execz .LBB20_19
; %bb.14:                               ;   in Loop: Header=BB20_7 Depth=2
	s_xor_b64 s[20:21], s[20:21], -1
	s_and_saveexec_b64 s[38:39], s[20:21]
	s_xor_b64 s[20:21], exec, s[38:39]
; %bb.15:                               ;   in Loop: Header=BB20_7 Depth=2
	ds_write_b32 v52, v50 offset:64
; %bb.16:                               ;   in Loop: Header=BB20_7 Depth=2
	s_andn2_saveexec_b64 s[20:21], s[20:21]
; %bb.17:                               ;   in Loop: Header=BB20_7 Depth=2
	ds_write_b32 v52, v59 offset:64
; %bb.18:                               ;   in Loop: Header=BB20_7 Depth=2
	s_or_b64 exec, exec, s[20:21]
.LBB20_19:                              ;   in Loop: Header=BB20_7 Depth=2
	s_or_b64 exec, exec, s[18:19]
	v_cmp_eq_u64_e64 s[18:19], s[28:29], v[40:41]
	v_cmp_gt_i64_e64 s[20:21], v[4:5], v[38:39]
	s_and_b64 s[18:19], s[22:23], s[18:19]
	s_or_b64 s[20:21], s[8:9], s[20:21]
	s_or_b64 s[20:21], s[20:21], s[18:19]
	s_nor_b64 s[12:13], s[12:13], s[20:21]
                                        ; implicit-def: $vgpr4
	s_and_saveexec_b64 s[20:21], s[12:13]
	s_xor_b64 s[12:13], exec, s[20:21]
	s_cbranch_execz .LBB20_21
; %bb.20:                               ;   in Loop: Header=BB20_7 Depth=2
	global_load_dword v4, v[2:3], off offset:64
.LBB20_21:                              ;   in Loop: Header=BB20_7 Depth=2
	s_andn2_saveexec_b64 s[12:13], s[12:13]
	s_cbranch_execz .LBB20_23
; %bb.22:                               ;   in Loop: Header=BB20_7 Depth=2
	s_waitcnt vmcnt(0)
	v_cndmask_b32_e64 v4, 0, 1.0, s[18:19]
.LBB20_23:                              ;   in Loop: Header=BB20_7 Depth=2
	s_or_b64 exec, exec, s[12:13]
	s_or_b64 s[10:11], s[8:9], s[10:11]
	s_or_b64 s[10:11], s[10:11], s[36:37]
	s_nor_b64 s[10:11], s[14:15], s[10:11]
	s_waitcnt vmcnt(0)
	ds_write_b32 v52, v4 offset:2048
	s_and_saveexec_b64 s[12:13], s[10:11]
	s_xor_b64 s[12:13], exec, s[12:13]
	s_cbranch_execz .LBB20_25
; %bb.24:                               ;   in Loop: Header=BB20_7 Depth=2
	v_add_co_u32_e64 v2, s[10:11], v46, v36
	v_addc_co_u32_e64 v3, s[10:11], v47, v37, s[10:11]
	global_load_dword v2, v[2:3], off offset:64
	s_waitcnt vmcnt(0)
	ds_write_b32 v52, v2 offset:2112
.LBB20_25:                              ;   in Loop: Header=BB20_7 Depth=2
	s_andn2_saveexec_b64 s[10:11], s[12:13]
	s_cbranch_execz .LBB20_31
; %bb.26:                               ;   in Loop: Header=BB20_7 Depth=2
	s_xor_b64 s[12:13], s[36:37], -1
	s_and_saveexec_b64 s[14:15], s[12:13]
	s_xor_b64 s[12:13], exec, s[14:15]
; %bb.27:                               ;   in Loop: Header=BB20_7 Depth=2
	ds_write_b32 v52, v50 offset:2112
; %bb.28:                               ;   in Loop: Header=BB20_7 Depth=2
	s_andn2_saveexec_b64 s[12:13], s[12:13]
; %bb.29:                               ;   in Loop: Header=BB20_7 Depth=2
	ds_write_b32 v52, v59 offset:2112
; %bb.30:                               ;   in Loop: Header=BB20_7 Depth=2
	s_or_b64 exec, exec, s[12:13]
.LBB20_31:                              ;   in Loop: Header=BB20_7 Depth=2
	s_or_b64 exec, exec, s[10:11]
	v_mov_b32_e32 v3, s29
	v_add_co_u32_e64 v2, s[10:11], s28, v1
	v_addc_co_u32_e64 v3, s[10:11], 0, v3, s[10:11]
	v_cmp_le_i64_e64 s[10:11], s[30:31], v[2:3]
	v_add_co_u32_e64 v4, s[12:13], v48, v27
	v_addc_co_u32_e64 v5, s[12:13], v49, v57, s[12:13]
	s_nor_b64 s[14:15], s[10:11], vcc
	v_mov_b32_e32 v6, 0
	s_and_saveexec_b64 s[12:13], s[14:15]
	s_cbranch_execz .LBB20_33
; %bb.32:                               ;   in Loop: Header=BB20_7 Depth=2
	global_load_dword v6, v[4:5], off offset:-64
.LBB20_33:                              ;   in Loop: Header=BB20_7 Depth=2
	s_or_b64 exec, exec, s[12:13]
	s_nor_b64 s[10:11], s[10:11], s[0:1]
	s_waitcnt vmcnt(0)
	ds_write_b32 v54, v6
	s_and_saveexec_b64 s[12:13], s[10:11]
	s_xor_b64 s[10:11], exec, s[12:13]
	s_cbranch_execz .LBB20_35
; %bb.34:                               ;   in Loop: Header=BB20_7 Depth=2
	global_load_dword v4, v[4:5], off
	s_waitcnt vmcnt(0)
	ds_write_b32 v54, v4 offset:64
.LBB20_35:                              ;   in Loop: Header=BB20_7 Depth=2
	s_andn2_saveexec_b64 s[10:11], s[10:11]
; %bb.36:                               ;   in Loop: Header=BB20_7 Depth=2
	ds_write_b32 v54, v50 offset:64
; %bb.37:                               ;   in Loop: Header=BB20_7 Depth=2
	s_or_b64 exec, exec, s[10:11]
	v_cmp_le_i64_e64 s[10:11], s[34:35], v[2:3]
	v_add_co_u32_e64 v2, s[12:13], v48, v26
	v_addc_co_u32_e64 v3, s[12:13], v49, v58, s[12:13]
	s_nor_b64 s[14:15], s[10:11], vcc
	v_mov_b32_e32 v4, 0
	s_and_saveexec_b64 s[12:13], s[14:15]
	s_cbranch_execz .LBB20_39
; %bb.38:                               ;   in Loop: Header=BB20_7 Depth=2
	global_load_dword v4, v[2:3], off
.LBB20_39:                              ;   in Loop: Header=BB20_7 Depth=2
	s_or_b64 exec, exec, s[12:13]
	s_nor_b64 s[10:11], s[10:11], s[0:1]
	s_waitcnt vmcnt(0)
	ds_write_b32 v54, v4 offset:2048
	s_and_saveexec_b64 s[12:13], s[10:11]
	s_xor_b64 s[10:11], exec, s[12:13]
	s_cbranch_execz .LBB20_41
; %bb.40:                               ;   in Loop: Header=BB20_7 Depth=2
	global_load_dword v2, v[2:3], off offset:64
	s_waitcnt vmcnt(0)
	ds_write_b32 v54, v2 offset:2112
.LBB20_41:                              ;   in Loop: Header=BB20_7 Depth=2
	s_andn2_saveexec_b64 s[10:11], s[10:11]
	s_cbranch_execz .LBB20_6
; %bb.42:                               ;   in Loop: Header=BB20_7 Depth=2
	ds_write_b32 v54, v50 offset:2112
	s_branch .LBB20_6
.LBB20_43:                              ;   in Loop: Header=BB20_4 Depth=1
	v_mul_lo_u32 v4, s45, v32
	v_mul_lo_u32 v5, s44, v33
	v_mad_u64_u32 v[2:3], s[8:9], s44, v32, 0
	v_cmp_gt_i32_e64 s[8:9], s30, v32
	v_add3_u32 v3, v3, v5, v4
	v_lshlrev_b64 v[2:3], 2, v[2:3]
	v_mov_b32_e32 v4, s41
	v_add_co_u32_e64 v2, s[10:11], s40, v2
	v_addc_co_u32_e64 v3, s[10:11], v4, v3, s[10:11]
	s_and_b64 s[10:11], s[2:3], s[8:9]
	s_and_saveexec_b64 s[12:13], s[10:11]
	s_cbranch_execz .LBB20_45
; %bb.44:                               ;   in Loop: Header=BB20_4 Depth=1
	v_add_co_u32_e64 v4, s[10:11], v2, v20
	v_addc_co_u32_e64 v5, s[10:11], v3, v21, s[10:11]
	global_load_dword v6, v[4:5], off
	s_waitcnt vmcnt(0)
	v_fmac_f32_e32 v6, s33, v62
	global_store_dword v[4:5], v6, off
.LBB20_45:                              ;   in Loop: Header=BB20_4 Depth=1
	s_or_b64 exec, exec, s[12:13]
	s_and_b64 s[8:9], s[4:5], s[8:9]
	s_and_saveexec_b64 s[10:11], s[8:9]
	s_cbranch_execz .LBB20_47
; %bb.46:                               ;   in Loop: Header=BB20_4 Depth=1
	v_add_co_u32_e64 v2, s[8:9], v2, v30
	v_addc_co_u32_e64 v3, s[8:9], v3, v31, s[8:9]
	global_load_dword v4, v[2:3], off
	s_waitcnt vmcnt(0)
	v_fmac_f32_e32 v4, s33, v61
	global_store_dword v[2:3], v4, off
.LBB20_47:                              ;   in Loop: Header=BB20_4 Depth=1
	s_or_b64 exec, exec, s[10:11]
	v_add_u32_e32 v4, 16, v32
	v_ashrrev_i32_e32 v2, 31, v4
	v_mul_lo_u32 v5, s44, v2
	v_mul_lo_u32 v6, s45, v4
	v_mad_u64_u32 v[2:3], s[8:9], s44, v4, 0
	v_cmp_gt_i32_e64 s[8:9], s30, v4
	v_mov_b32_e32 v4, s41
	v_add3_u32 v3, v3, v5, v6
	v_lshlrev_b64 v[2:3], 2, v[2:3]
	v_add_co_u32_e64 v2, s[10:11], s40, v2
	v_addc_co_u32_e64 v3, s[10:11], v4, v3, s[10:11]
	s_and_b64 s[10:11], s[2:3], s[8:9]
	s_and_saveexec_b64 s[12:13], s[10:11]
	s_cbranch_execz .LBB20_49
; %bb.48:                               ;   in Loop: Header=BB20_4 Depth=1
	v_add_co_u32_e64 v4, s[10:11], v2, v20
	v_addc_co_u32_e64 v5, s[10:11], v3, v21, s[10:11]
	global_load_dword v6, v[4:5], off
	s_waitcnt vmcnt(0)
	v_fmac_f32_e32 v6, s33, v60
	global_store_dword v[4:5], v6, off
.LBB20_49:                              ;   in Loop: Header=BB20_4 Depth=1
	s_or_b64 exec, exec, s[12:13]
	s_and_b64 s[8:9], s[4:5], s[8:9]
	s_and_saveexec_b64 s[10:11], s[8:9]
	s_cbranch_execz .LBB20_3
; %bb.50:                               ;   in Loop: Header=BB20_4 Depth=1
	v_add_co_u32_e64 v2, s[8:9], v2, v30
	v_addc_co_u32_e64 v3, s[8:9], v3, v31, s[8:9]
	global_load_dword v4, v[2:3], off
	s_waitcnt vmcnt(0)
	v_fmac_f32_e32 v4, s33, v29
	global_store_dword v[2:3], v4, off
	s_branch .LBB20_3
.LBB20_51:
	s_endpgm
	.section	.rodata,"a",@progbits
	.p2align	6, 0x0
	.amdhsa_kernel _ZL30rocblas_trmm_outofplace_kernelIfLi32ELi2ELb0ELb0ELb1ELb1EPKfS0_fEv17rocblas_diagonal_iiT6_lPT7_lllS5_lllPT8_llli
		.amdhsa_group_segment_fixed_size 8192
		.amdhsa_private_segment_fixed_size 24
		.amdhsa_kernarg_size 392
		.amdhsa_user_sgpr_count 6
		.amdhsa_user_sgpr_private_segment_buffer 1
		.amdhsa_user_sgpr_dispatch_ptr 0
		.amdhsa_user_sgpr_queue_ptr 0
		.amdhsa_user_sgpr_kernarg_segment_ptr 1
		.amdhsa_user_sgpr_dispatch_id 0
		.amdhsa_user_sgpr_flat_scratch_init 0
		.amdhsa_user_sgpr_private_segment_size 0
		.amdhsa_uses_dynamic_stack 0
		.amdhsa_system_sgpr_private_segment_wavefront_offset 1
		.amdhsa_system_sgpr_workgroup_id_x 1
		.amdhsa_system_sgpr_workgroup_id_y 1
		.amdhsa_system_sgpr_workgroup_id_z 1
		.amdhsa_system_sgpr_workgroup_info 0
		.amdhsa_system_vgpr_workitem_id 1
		.amdhsa_next_free_vgpr 64
		.amdhsa_next_free_sgpr 61
		.amdhsa_reserve_vcc 1
		.amdhsa_reserve_flat_scratch 0
		.amdhsa_float_round_mode_32 0
		.amdhsa_float_round_mode_16_64 0
		.amdhsa_float_denorm_mode_32 3
		.amdhsa_float_denorm_mode_16_64 3
		.amdhsa_dx10_clamp 1
		.amdhsa_ieee_mode 1
		.amdhsa_fp16_overflow 0
		.amdhsa_exception_fp_ieee_invalid_op 0
		.amdhsa_exception_fp_denorm_src 0
		.amdhsa_exception_fp_ieee_div_zero 0
		.amdhsa_exception_fp_ieee_overflow 0
		.amdhsa_exception_fp_ieee_underflow 0
		.amdhsa_exception_fp_ieee_inexact 0
		.amdhsa_exception_int_div_zero 0
	.end_amdhsa_kernel
	.section	.text._ZL30rocblas_trmm_outofplace_kernelIfLi32ELi2ELb0ELb0ELb1ELb1EPKfS0_fEv17rocblas_diagonal_iiT6_lPT7_lllS5_lllPT8_llli,"axG",@progbits,_ZL30rocblas_trmm_outofplace_kernelIfLi32ELi2ELb0ELb0ELb1ELb1EPKfS0_fEv17rocblas_diagonal_iiT6_lPT7_lllS5_lllPT8_llli,comdat
.Lfunc_end20:
	.size	_ZL30rocblas_trmm_outofplace_kernelIfLi32ELi2ELb0ELb0ELb1ELb1EPKfS0_fEv17rocblas_diagonal_iiT6_lPT7_lllS5_lllPT8_llli, .Lfunc_end20-_ZL30rocblas_trmm_outofplace_kernelIfLi32ELi2ELb0ELb0ELb1ELb1EPKfS0_fEv17rocblas_diagonal_iiT6_lPT7_lllS5_lllPT8_llli
                                        ; -- End function
	.set _ZL30rocblas_trmm_outofplace_kernelIfLi32ELi2ELb0ELb0ELb1ELb1EPKfS0_fEv17rocblas_diagonal_iiT6_lPT7_lllS5_lllPT8_llli.num_vgpr, 64
	.set _ZL30rocblas_trmm_outofplace_kernelIfLi32ELi2ELb0ELb0ELb1ELb1EPKfS0_fEv17rocblas_diagonal_iiT6_lPT7_lllS5_lllPT8_llli.num_agpr, 0
	.set _ZL30rocblas_trmm_outofplace_kernelIfLi32ELi2ELb0ELb0ELb1ELb1EPKfS0_fEv17rocblas_diagonal_iiT6_lPT7_lllS5_lllPT8_llli.numbered_sgpr, 56
	.set _ZL30rocblas_trmm_outofplace_kernelIfLi32ELi2ELb0ELb0ELb1ELb1EPKfS0_fEv17rocblas_diagonal_iiT6_lPT7_lllS5_lllPT8_llli.num_named_barrier, 0
	.set _ZL30rocblas_trmm_outofplace_kernelIfLi32ELi2ELb0ELb0ELb1ELb1EPKfS0_fEv17rocblas_diagonal_iiT6_lPT7_lllS5_lllPT8_llli.private_seg_size, 24
	.set _ZL30rocblas_trmm_outofplace_kernelIfLi32ELi2ELb0ELb0ELb1ELb1EPKfS0_fEv17rocblas_diagonal_iiT6_lPT7_lllS5_lllPT8_llli.uses_vcc, 1
	.set _ZL30rocblas_trmm_outofplace_kernelIfLi32ELi2ELb0ELb0ELb1ELb1EPKfS0_fEv17rocblas_diagonal_iiT6_lPT7_lllS5_lllPT8_llli.uses_flat_scratch, 0
	.set _ZL30rocblas_trmm_outofplace_kernelIfLi32ELi2ELb0ELb0ELb1ELb1EPKfS0_fEv17rocblas_diagonal_iiT6_lPT7_lllS5_lllPT8_llli.has_dyn_sized_stack, 0
	.set _ZL30rocblas_trmm_outofplace_kernelIfLi32ELi2ELb0ELb0ELb1ELb1EPKfS0_fEv17rocblas_diagonal_iiT6_lPT7_lllS5_lllPT8_llli.has_recursion, 0
	.set _ZL30rocblas_trmm_outofplace_kernelIfLi32ELi2ELb0ELb0ELb1ELb1EPKfS0_fEv17rocblas_diagonal_iiT6_lPT7_lllS5_lllPT8_llli.has_indirect_call, 0
	.section	.AMDGPU.csdata,"",@progbits
; Kernel info:
; codeLenInByte = 3172
; TotalNumSgprs: 60
; NumVgprs: 64
; ScratchSize: 24
; MemoryBound: 0
; FloatMode: 240
; IeeeMode: 1
; LDSByteSize: 8192 bytes/workgroup (compile time only)
; SGPRBlocks: 8
; VGPRBlocks: 15
; NumSGPRsForWavesPerEU: 65
; NumVGPRsForWavesPerEU: 64
; Occupancy: 4
; WaveLimiterHint : 0
; COMPUTE_PGM_RSRC2:SCRATCH_EN: 1
; COMPUTE_PGM_RSRC2:USER_SGPR: 6
; COMPUTE_PGM_RSRC2:TRAP_HANDLER: 0
; COMPUTE_PGM_RSRC2:TGID_X_EN: 1
; COMPUTE_PGM_RSRC2:TGID_Y_EN: 1
; COMPUTE_PGM_RSRC2:TGID_Z_EN: 1
; COMPUTE_PGM_RSRC2:TIDIG_COMP_CNT: 1
	.section	.text._ZL30rocblas_trmm_outofplace_kernelIfLi32ELi2ELb0ELb0ELb1ELb1EfKffEv17rocblas_diagonal_iiT6_lPT7_lllS4_lllPT8_llli,"axG",@progbits,_ZL30rocblas_trmm_outofplace_kernelIfLi32ELi2ELb0ELb0ELb1ELb1EfKffEv17rocblas_diagonal_iiT6_lPT7_lllS4_lllPT8_llli,comdat
	.globl	_ZL30rocblas_trmm_outofplace_kernelIfLi32ELi2ELb0ELb0ELb1ELb1EfKffEv17rocblas_diagonal_iiT6_lPT7_lllS4_lllPT8_llli ; -- Begin function _ZL30rocblas_trmm_outofplace_kernelIfLi32ELi2ELb0ELb0ELb1ELb1EfKffEv17rocblas_diagonal_iiT6_lPT7_lllS4_lllPT8_llli
	.p2align	8
	.type	_ZL30rocblas_trmm_outofplace_kernelIfLi32ELi2ELb0ELb0ELb1ELb1EfKffEv17rocblas_diagonal_iiT6_lPT7_lllS4_lllPT8_llli,@function
_ZL30rocblas_trmm_outofplace_kernelIfLi32ELi2ELb0ELb0ELb1ELb1EfKffEv17rocblas_diagonal_iiT6_lPT7_lllS4_lllPT8_llli: ; @_ZL30rocblas_trmm_outofplace_kernelIfLi32ELi2ELb0ELb0ELb1ELb1EfKffEv17rocblas_diagonal_iiT6_lPT7_lllS4_lllPT8_llli
; %bb.0:
	s_load_dwordx4 s[28:31], s[4:5], 0x0
	s_mov_b64 s[50:51], s[2:3]
	s_mov_b64 s[48:49], s[0:1]
	s_add_u32 s48, s48, s9
	s_addc_u32 s49, s49, 0
	s_waitcnt lgkmcnt(0)
	v_cmp_eq_f32_e64 s[0:1], s31, 0
	s_and_b64 vcc, exec, s[0:1]
	s_cbranch_vccnz .LBB21_51
; %bb.1:
	s_add_i32 s0, s30, -1
	s_ashr_i32 s1, s0, 31
	s_lshr_b32 s1, s1, 27
	s_add_i32 s0, s0, s1
	s_ashr_i32 s33, s0, 5
	s_cmp_gt_i32 s7, s33
	s_cbranch_scc1 .LBB21_51
; %bb.2:
	s_load_dwordx16 s[12:27], s[4:5], 0x18
	s_load_dwordx8 s[36:43], s[4:5], 0x58
	v_lshlrev_b32_e32 v51, 7, v1
	v_mov_b32_e32 v50, 0
	v_lshl_add_u32 v28, s7, 5, v1
	s_waitcnt lgkmcnt(0)
	s_mul_i32 s1, s19, s8
	s_mul_hi_u32 s2, s18, s8
	s_mul_i32 s0, s18, s8
	s_add_i32 s1, s2, s1
	s_lshl_b64 s[10:11], s[0:1], 2
	s_add_u32 s0, s12, s10
	s_addc_u32 s1, s13, s11
	s_lshl_b64 s[14:15], s[14:15], 2
	s_add_u32 s2, s0, s14
	s_addc_u32 s3, s1, s15
	s_mul_i32 s0, s27, s8
	s_mul_hi_u32 s1, s26, s8
	s_add_i32 s1, s1, s0
	s_mul_i32 s0, s26, s8
	s_lshl_b64 s[0:1], s[0:1], 2
	s_add_u32 s9, s20, s0
	s_addc_u32 s18, s21, s1
	s_lshl_b64 s[0:1], s[22:23], 2
	s_add_u32 s9, s9, s0
	s_addc_u32 s18, s18, s1
	s_mul_i32 s0, s43, s8
	s_mul_hi_u32 s1, s42, s8
	s_add_i32 s1, s1, s0
	s_mul_i32 s0, s42, s8
	s_lshl_b64 s[0:1], s[0:1], 2
	s_add_u32 s8, s36, s0
	s_addc_u32 s19, s37, s1
	v_mad_u64_u32 v[2:3], s[0:1], s16, v0, 0
	s_lshl_b64 s[0:1], s[38:39], 2
	s_add_u32 s44, s8, s0
	s_addc_u32 s45, s19, s1
	v_mad_u64_u32 v[3:4], s[0:1], s17, v0, v[3:4]
	v_lshl_add_u32 v4, s6, 5, v0
	v_ashrrev_i32_e32 v5, 31, v4
	v_lshlrev_b64 v[2:3], 2, v[2:3]
	v_mov_b32_e32 v6, s3
	v_add_co_u32_e32 v2, vcc, s2, v2
	v_addc_co_u32_e32 v3, vcc, v6, v3, vcc
	v_lshlrev_b64 v[20:21], 2, v[4:5]
	buffer_store_dword v2, off, s[48:51], 0 ; 4-byte Folded Spill
	s_nop 0
	buffer_store_dword v3, off, s[48:51], 0 offset:4 ; 4-byte Folded Spill
	v_mov_b32_e32 v2, s18
	v_add_co_u32_e32 v6, vcc, s9, v20
	v_addc_co_u32_e32 v7, vcc, v2, v21, vcc
	buffer_store_dword v6, off, s[48:51], 0 offset:8 ; 4-byte Folded Spill
	s_nop 0
	buffer_store_dword v7, off, s[48:51], 0 offset:12 ; 4-byte Folded Spill
	s_cmpk_eq_i32 s28, 0x84
	s_cselect_b64 s[22:23], -1, 0
	s_ashr_i32 s0, s29, 31
	v_mov_b32_e32 v3, s0
	v_sub_co_u32_e32 v2, vcc, s29, v4
	v_subb_co_u32_e32 v3, vcc, v3, v5, vcc
	s_load_dword s6, s[4:5], 0x84
	v_cmp_gt_i64_e32 vcc, 1, v[2:3]
	v_cmp_gt_i64_e64 s[0:1], 17, v[2:3]
	v_cmp_gt_i32_e64 s[2:3], s29, v4
	v_add_u32_e32 v2, 16, v4
	v_mad_u64_u32 v[4:5], s[4:5], s24, v1, 0
	s_ashr_i32 s27, s30, 31
	s_lshl_b64 s[34:35], s[16:17], 7
	s_lshl_b64 s[36:37], s[24:25], 7
	s_add_u32 s38, s30, -16
	s_addc_u32 s39, s27, -1
	s_waitcnt lgkmcnt(0)
	s_lshl_b32 s46, s6, 5
	v_lshlrev_b32_e32 v7, 2, v0
	v_add_u32_e32 v52, v51, v7
	v_or_b32_e32 v53, 0x1000, v7
	v_add_u32_e32 v8, 64, v7
	v_ashrrev_i32_e32 v3, 31, v2
	v_lshlrev_b64 v[30:31], 2, v[2:3]
	s_mov_b32 s26, s30
	v_add_u32_e32 v54, v53, v51
	v_cmp_gt_i32_e64 s[4:5], s29, v2
	v_mov_b32_e32 v59, 1.0
	v_mad_u64_u32 v[5:6], s[8:9], s25, v1, v[5:6]
	s_add_u32 s8, s12, s14
	s_addc_u32 s9, s13, s15
	s_add_u32 s8, s8, s10
	s_addc_u32 s9, s9, s11
	v_mov_b32_e32 v6, s8
	v_mov_b32_e32 v7, s9
	v_mad_u64_u32 v[18:19], s[8:9], s16, v8, v[6:7]
	v_sub_co_u32_e64 v63, s[8:9], 0, v0
	v_subb_co_u32_e64 v6, s[8:9], 0, 0, s[8:9]
	buffer_store_dword v6, off, s[48:51], 0 offset:16 ; 4-byte Folded Spill
	v_mov_b32_e32 v6, v19
	v_mad_u64_u32 v[6:7], s[8:9], s17, v8, v[6:7]
	v_lshl_add_u32 v7, v1, 2, 64
	v_mad_u64_u32 v[26:27], s[8:9], s24, v7, 0
	v_mov_b32_e32 v19, v6
	v_lshlrev_b64 v[4:5], 2, v[4:5]
	v_mov_b32_e32 v6, v27
	v_mad_u64_u32 v[6:7], s[8:9], s25, v7, v[6:7]
	v_add_co_u32_e64 v27, s[8:9], 64, v4
	v_addc_co_u32_e64 v57, s[8:9], 0, v5, s[8:9]
	v_mov_b32_e32 v58, v6
	s_branch .LBB21_4
.LBB21_3:                               ;   in Loop: Header=BB21_4 Depth=1
	s_or_b64 exec, exec, s[10:11]
	s_add_i32 s7, s6, s7
	s_cmp_le_i32 s7, s33
	v_add_u32_e32 v28, s46, v28
	s_cbranch_scc0 .LBB21_51
.LBB21_4:                               ; =>This Loop Header: Depth=1
                                        ;     Child Loop BB21_7 Depth 2
	s_lshl_b32 s47, s7, 5
	v_add_u32_e32 v32, s47, v1
	v_ashrrev_i32_e32 v33, 31, v32
	s_cmp_lt_i32 s7, 0
	v_mov_b32_e32 v62, 0
	v_mov_b32_e32 v61, 0
	;; [unrolled: 1-line block ×4, first 2 shown]
	s_cbranch_scc1 .LBB21_43
; %bb.5:                                ;   in Loop: Header=BB21_4 Depth=1
	buffer_load_dword v2, off, s[48:51], 0 offset:16 ; 4-byte Folded Reload
	buffer_load_dword v44, off, s[48:51], 0 ; 4-byte Folded Reload
	buffer_load_dword v45, off, s[48:51], 0 offset:4 ; 4-byte Folded Reload
	buffer_load_dword v48, off, s[48:51], 0 offset:8 ; 4-byte Folded Reload
	;; [unrolled: 1-line block ×3, first 2 shown]
	v_ashrrev_i32_e32 v29, 31, v28
	v_add_co_u32_e64 v34, s[8:9], v63, v28
	v_add_co_u32_e64 v40, s[10:11], 16, v34
	v_lshlrev_b64 v[36:37], 2, v[28:29]
	v_mov_b32_e32 v47, v19
	v_cmp_le_i32_e64 s[16:17], s30, v32
	s_mov_b64 s[24:25], 0
	v_mov_b32_e32 v60, 0
	v_mov_b32_e32 v61, 0
	;; [unrolled: 1-line block ×4, first 2 shown]
	s_waitcnt vmcnt(4)
	v_addc_co_u32_e64 v35, s[8:9], v2, v29, s[8:9]
	v_add_co_u32_e64 v38, s[8:9], 16, v32
	v_addc_co_u32_e64 v39, s[8:9], 0, v33, s[8:9]
	v_addc_co_u32_e64 v41, s[10:11], 0, v35, s[10:11]
	v_cmp_le_i64_e64 s[8:9], s[26:27], v[38:39]
	v_add_co_u32_e64 v42, s[10:11], -16, v34
	v_addc_co_u32_e64 v43, s[10:11], -1, v35, s[10:11]
	v_mov_b32_e32 v29, 0
	s_branch .LBB21_7
.LBB21_6:                               ;   in Loop: Header=BB21_7 Depth=2
	s_or_b64 exec, exec, s[10:11]
	s_waitcnt lgkmcnt(0)
	s_barrier
	ds_read_b128 v[14:17], v51
	ds_read_b128 v[10:13], v51 offset:16
	ds_read_b128 v[6:9], v51 offset:32
	;; [unrolled: 1-line block ×3, first 2 shown]
	ds_read2_b32 v[55:56], v53 offset1:16
	ds_read_b128 v[22:25], v51 offset:2048
	v_add_co_u32_e64 v48, s[10:11], s36, v48
	s_add_u32 s24, s24, 32
	s_waitcnt lgkmcnt(1)
	v_fmac_f32_e32 v62, v55, v14
	v_fmac_f32_e32 v61, v56, v14
	s_waitcnt lgkmcnt(0)
	v_fmac_f32_e32 v60, v55, v22
	v_fmac_f32_e32 v29, v56, v22
	ds_read2_b32 v[55:56], v53 offset0:32 offset1:48
	s_addc_u32 s25, s25, 0
	s_sub_i32 s12, s24, 32
	s_cmp_ge_i32 s12, s47
	s_waitcnt lgkmcnt(0)
	v_fmac_f32_e32 v62, v55, v15
	v_fmac_f32_e32 v61, v56, v15
	ds_read2_b32 v[14:15], v53 offset0:64 offset1:80
	v_fmac_f32_e32 v60, v55, v23
	v_fmac_f32_e32 v29, v56, v23
	ds_read2_b32 v[22:23], v53 offset0:128 offset1:144
	s_waitcnt lgkmcnt(1)
	v_fmac_f32_e32 v62, v14, v16
	v_fmac_f32_e32 v61, v15, v16
	;; [unrolled: 1-line block ×4, first 2 shown]
	ds_read2_b32 v[14:15], v53 offset0:96 offset1:112
	s_waitcnt lgkmcnt(0)
	v_fmac_f32_e32 v62, v14, v17
	v_fmac_f32_e32 v61, v15, v17
	;; [unrolled: 1-line block ×4, first 2 shown]
	ds_read_b128 v[14:17], v51 offset:2064
	v_fmac_f32_e32 v62, v22, v10
	v_fmac_f32_e32 v61, v23, v10
	s_waitcnt lgkmcnt(0)
	v_fmac_f32_e32 v60, v22, v14
	v_fmac_f32_e32 v29, v23, v14
	ds_read2_b32 v[22:23], v53 offset0:160 offset1:176
	s_waitcnt lgkmcnt(0)
	v_fmac_f32_e32 v62, v22, v11
	v_fmac_f32_e32 v61, v23, v11
	ds_read2_b32 v[10:11], v53 offset0:192 offset1:208
	v_fmac_f32_e32 v60, v22, v15
	v_fmac_f32_e32 v29, v23, v15
	s_waitcnt lgkmcnt(0)
	v_fmac_f32_e32 v62, v10, v12
	v_fmac_f32_e32 v61, v11, v12
	;; [unrolled: 1-line block ×4, first 2 shown]
	ds_read2_b32 v[10:11], v53 offset0:224 offset1:240
	s_waitcnt lgkmcnt(0)
	v_fmac_f32_e32 v62, v10, v13
	v_fmac_f32_e32 v60, v10, v17
	v_add_u32_e32 v10, 0x400, v53
	v_fmac_f32_e32 v61, v11, v13
	v_fmac_f32_e32 v29, v11, v17
	ds_read2_b32 v[15:16], v10 offset1:16
	ds_read_b128 v[11:14], v51 offset:2080
	s_waitcnt lgkmcnt(1)
	v_fmac_f32_e32 v62, v15, v6
	v_fmac_f32_e32 v61, v16, v6
	s_waitcnt lgkmcnt(0)
	v_fmac_f32_e32 v60, v15, v11
	v_fmac_f32_e32 v29, v16, v11
	ds_read2_b32 v[15:16], v10 offset0:32 offset1:48
	s_waitcnt lgkmcnt(0)
	v_fmac_f32_e32 v62, v15, v7
	v_fmac_f32_e32 v61, v16, v7
	ds_read2_b32 v[6:7], v10 offset0:64 offset1:80
	v_fmac_f32_e32 v60, v15, v12
	v_fmac_f32_e32 v29, v16, v12
	ds_read2_b32 v[11:12], v10 offset0:128 offset1:144
	s_waitcnt lgkmcnt(1)
	v_fmac_f32_e32 v62, v6, v8
	v_fmac_f32_e32 v61, v7, v8
	;; [unrolled: 1-line block ×4, first 2 shown]
	ds_read2_b32 v[6:7], v10 offset0:96 offset1:112
	s_waitcnt lgkmcnt(0)
	v_fmac_f32_e32 v62, v6, v9
	v_fmac_f32_e32 v61, v7, v9
	v_fmac_f32_e32 v60, v6, v14
	v_fmac_f32_e32 v29, v7, v14
	ds_read_b128 v[6:9], v51 offset:2096
	v_fmac_f32_e32 v62, v11, v2
	v_fmac_f32_e32 v61, v12, v2
	s_waitcnt lgkmcnt(0)
	v_fmac_f32_e32 v60, v11, v6
	v_fmac_f32_e32 v29, v12, v6
	ds_read2_b32 v[11:12], v10 offset0:160 offset1:176
	s_waitcnt lgkmcnt(0)
	v_fmac_f32_e32 v62, v11, v3
	v_fmac_f32_e32 v61, v12, v3
	ds_read2_b32 v[2:3], v10 offset0:192 offset1:208
	v_fmac_f32_e32 v60, v11, v7
	v_fmac_f32_e32 v29, v12, v7
	s_waitcnt lgkmcnt(0)
	v_fmac_f32_e32 v62, v2, v4
	v_fmac_f32_e32 v61, v3, v4
	;; [unrolled: 1-line block ×4, first 2 shown]
	ds_read2_b32 v[2:3], v10 offset0:224 offset1:240
	v_add_u32_e32 v10, 0x800, v53
	ds_read2_b32 v[11:12], v10 offset1:16
	s_waitcnt lgkmcnt(1)
	v_fmac_f32_e32 v62, v2, v5
	v_fmac_f32_e32 v61, v3, v5
	;; [unrolled: 1-line block ×4, first 2 shown]
	ds_read_b128 v[2:5], v51 offset:64
	ds_read_b128 v[6:9], v51 offset:2112
	s_waitcnt lgkmcnt(1)
	v_fmac_f32_e32 v62, v11, v2
	v_fmac_f32_e32 v61, v12, v2
	s_waitcnt lgkmcnt(0)
	v_fmac_f32_e32 v60, v11, v6
	v_fmac_f32_e32 v29, v12, v6
	ds_read2_b32 v[11:12], v10 offset0:32 offset1:48
	s_waitcnt lgkmcnt(0)
	v_fmac_f32_e32 v62, v11, v3
	v_fmac_f32_e32 v61, v12, v3
	ds_read2_b32 v[2:3], v10 offset0:64 offset1:80
	v_fmac_f32_e32 v60, v11, v7
	v_fmac_f32_e32 v29, v12, v7
	s_waitcnt lgkmcnt(0)
	v_fmac_f32_e32 v62, v2, v4
	v_fmac_f32_e32 v61, v3, v4
	;; [unrolled: 1-line block ×4, first 2 shown]
	ds_read2_b32 v[2:3], v10 offset0:96 offset1:112
	s_waitcnt lgkmcnt(0)
	v_fmac_f32_e32 v62, v2, v5
	v_fmac_f32_e32 v61, v3, v5
	v_fmac_f32_e32 v60, v2, v9
	v_fmac_f32_e32 v29, v3, v9
	ds_read_b128 v[2:5], v51 offset:80
	ds_read2_b32 v[11:12], v10 offset0:128 offset1:144
	ds_read_b128 v[6:9], v51 offset:2128
	s_waitcnt lgkmcnt(1)
	v_fmac_f32_e32 v62, v11, v2
	v_fmac_f32_e32 v61, v12, v2
	s_waitcnt lgkmcnt(0)
	v_fmac_f32_e32 v60, v11, v6
	v_fmac_f32_e32 v29, v12, v6
	ds_read2_b32 v[11:12], v10 offset0:160 offset1:176
	s_waitcnt lgkmcnt(0)
	v_fmac_f32_e32 v62, v11, v3
	v_fmac_f32_e32 v61, v12, v3
	ds_read2_b32 v[2:3], v10 offset0:192 offset1:208
	v_fmac_f32_e32 v60, v11, v7
	v_fmac_f32_e32 v29, v12, v7
	s_waitcnt lgkmcnt(0)
	v_fmac_f32_e32 v62, v2, v4
	v_fmac_f32_e32 v61, v3, v4
	v_fmac_f32_e32 v60, v2, v8
	v_fmac_f32_e32 v29, v3, v8
	ds_read2_b32 v[2:3], v10 offset0:224 offset1:240
	v_add_u32_e32 v10, 0xc00, v53
	ds_read2_b32 v[11:12], v10 offset1:16
	s_waitcnt lgkmcnt(1)
	v_fmac_f32_e32 v62, v2, v5
	v_fmac_f32_e32 v61, v3, v5
	;; [unrolled: 1-line block ×4, first 2 shown]
	ds_read_b128 v[2:5], v51 offset:96
	ds_read_b128 v[6:9], v51 offset:2144
	s_waitcnt lgkmcnt(1)
	v_fmac_f32_e32 v62, v11, v2
	v_fmac_f32_e32 v61, v12, v2
	s_waitcnt lgkmcnt(0)
	v_fmac_f32_e32 v60, v11, v6
	v_fmac_f32_e32 v29, v12, v6
	ds_read2_b32 v[11:12], v10 offset0:32 offset1:48
	s_waitcnt lgkmcnt(0)
	v_fmac_f32_e32 v62, v11, v3
	v_fmac_f32_e32 v61, v12, v3
	ds_read2_b32 v[2:3], v10 offset0:64 offset1:80
	v_fmac_f32_e32 v60, v11, v7
	v_fmac_f32_e32 v29, v12, v7
	s_waitcnt lgkmcnt(0)
	v_fmac_f32_e32 v62, v2, v4
	v_fmac_f32_e32 v61, v3, v4
	;; [unrolled: 1-line block ×4, first 2 shown]
	ds_read2_b32 v[2:3], v10 offset0:96 offset1:112
	s_waitcnt lgkmcnt(0)
	v_fmac_f32_e32 v62, v2, v5
	v_fmac_f32_e32 v61, v3, v5
	;; [unrolled: 1-line block ×4, first 2 shown]
	ds_read_b128 v[2:5], v51 offset:112
	ds_read2_b32 v[11:12], v10 offset0:128 offset1:144
	ds_read_b128 v[6:9], v51 offset:2160
	s_waitcnt lgkmcnt(1)
	v_fmac_f32_e32 v62, v11, v2
	v_fmac_f32_e32 v61, v12, v2
	s_waitcnt lgkmcnt(0)
	v_fmac_f32_e32 v60, v11, v6
	v_fmac_f32_e32 v29, v12, v6
	ds_read2_b32 v[11:12], v10 offset0:160 offset1:176
	s_waitcnt lgkmcnt(0)
	v_fmac_f32_e32 v62, v11, v3
	v_fmac_f32_e32 v61, v12, v3
	ds_read2_b32 v[2:3], v10 offset0:192 offset1:208
	v_fmac_f32_e32 v60, v11, v7
	v_fmac_f32_e32 v29, v12, v7
	s_waitcnt lgkmcnt(0)
	v_fmac_f32_e32 v62, v2, v4
	v_fmac_f32_e32 v61, v3, v4
	;; [unrolled: 1-line block ×4, first 2 shown]
	ds_read2_b32 v[2:3], v10 offset0:224 offset1:240
	s_waitcnt lgkmcnt(0)
	s_barrier
	v_fmac_f32_e32 v62, v2, v5
	v_fmac_f32_e32 v60, v2, v9
	v_mov_b32_e32 v2, s37
	v_addc_co_u32_e64 v49, s[10:11], v49, v2, s[10:11]
	v_add_co_u32_e64 v46, s[10:11], s34, v46
	v_mov_b32_e32 v2, s35
	v_addc_co_u32_e64 v47, s[10:11], v47, v2, s[10:11]
	v_add_co_u32_e64 v44, s[10:11], s34, v44
	v_fmac_f32_e32 v61, v3, v5
	v_fmac_f32_e32 v29, v3, v9
	v_addc_co_u32_e64 v45, s[10:11], v45, v2, s[10:11]
	s_cbranch_scc1 .LBB21_43
.LBB21_7:                               ;   Parent Loop BB21_4 Depth=1
                                        ; =>  This Inner Loop Header: Depth=2
	v_mov_b32_e32 v2, s25
	v_add_co_u32_e64 v4, s[10:11], s24, v0
	v_addc_co_u32_e64 v5, s[10:11], 0, v2, s[10:11]
	v_cmp_eq_u64_e64 s[10:11], s[24:25], v[34:35]
	s_waitcnt vmcnt(3)
	v_add_co_u32_e64 v2, s[12:13], v44, v36
	s_and_b64 s[28:29], s[22:23], s[10:11]
	v_cmp_gt_i64_e64 s[10:11], v[4:5], v[32:33]
	s_waitcnt vmcnt(2)
	v_addc_co_u32_e64 v3, s[12:13], v45, v37, s[12:13]
	v_cmp_le_i64_e64 s[12:13], s[26:27], v[4:5]
	s_or_b64 s[14:15], s[16:17], s[10:11]
	s_or_b64 s[14:15], s[14:15], s[28:29]
	s_nor_b64 s[14:15], s[12:13], s[14:15]
                                        ; implicit-def: $vgpr6
	s_and_saveexec_b64 s[18:19], s[14:15]
	s_xor_b64 s[14:15], exec, s[18:19]
	s_cbranch_execz .LBB21_9
; %bb.8:                                ;   in Loop: Header=BB21_7 Depth=2
	global_load_dword v6, v[2:3], off
.LBB21_9:                               ;   in Loop: Header=BB21_7 Depth=2
	s_andn2_saveexec_b64 s[14:15], s[14:15]
	s_cbranch_execz .LBB21_11
; %bb.10:                               ;   in Loop: Header=BB21_7 Depth=2
	s_waitcnt vmcnt(0)
	v_cndmask_b32_e64 v6, 0, 1.0, s[28:29]
.LBB21_11:                              ;   in Loop: Header=BB21_7 Depth=2
	s_or_b64 exec, exec, s[14:15]
	s_waitcnt vmcnt(0)
	ds_write_b32 v52, v6
	v_add_co_u32_e64 v6, s[18:19], 16, v4
	v_addc_co_u32_e64 v7, s[18:19], 0, v5, s[18:19]
	v_cmp_eq_u64_e64 s[14:15], s[24:25], v[42:43]
	v_cmp_gt_i64_e64 s[18:19], v[6:7], v[32:33]
	s_and_b64 s[20:21], s[22:23], s[14:15]
	v_cmp_le_i64_e64 s[14:15], s[26:27], v[6:7]
	s_or_b64 s[18:19], s[16:17], s[18:19]
	s_or_b64 s[18:19], s[18:19], s[20:21]
	s_nor_b64 s[18:19], s[14:15], s[18:19]
	s_and_saveexec_b64 s[42:43], s[18:19]
	s_xor_b64 s[42:43], exec, s[42:43]
	s_cbranch_execz .LBB21_13
; %bb.12:                               ;   in Loop: Header=BB21_7 Depth=2
	v_add_co_u32_e64 v6, s[18:19], v46, v36
	v_addc_co_u32_e64 v7, s[18:19], v47, v37, s[18:19]
	global_load_dword v6, v[6:7], off
	s_waitcnt vmcnt(0)
	ds_write_b32 v52, v6 offset:64
.LBB21_13:                              ;   in Loop: Header=BB21_7 Depth=2
	s_andn2_saveexec_b64 s[18:19], s[42:43]
	s_cbranch_execz .LBB21_19
; %bb.14:                               ;   in Loop: Header=BB21_7 Depth=2
	s_xor_b64 s[20:21], s[20:21], -1
	s_and_saveexec_b64 s[42:43], s[20:21]
	s_xor_b64 s[20:21], exec, s[42:43]
; %bb.15:                               ;   in Loop: Header=BB21_7 Depth=2
	ds_write_b32 v52, v50 offset:64
; %bb.16:                               ;   in Loop: Header=BB21_7 Depth=2
	s_andn2_saveexec_b64 s[20:21], s[20:21]
; %bb.17:                               ;   in Loop: Header=BB21_7 Depth=2
	ds_write_b32 v52, v59 offset:64
; %bb.18:                               ;   in Loop: Header=BB21_7 Depth=2
	s_or_b64 exec, exec, s[20:21]
.LBB21_19:                              ;   in Loop: Header=BB21_7 Depth=2
	s_or_b64 exec, exec, s[18:19]
	v_cmp_eq_u64_e64 s[18:19], s[24:25], v[40:41]
	v_cmp_gt_i64_e64 s[20:21], v[4:5], v[38:39]
	s_and_b64 s[18:19], s[22:23], s[18:19]
	s_or_b64 s[20:21], s[8:9], s[20:21]
	s_or_b64 s[20:21], s[20:21], s[18:19]
	s_nor_b64 s[12:13], s[12:13], s[20:21]
                                        ; implicit-def: $vgpr4
	s_and_saveexec_b64 s[20:21], s[12:13]
	s_xor_b64 s[12:13], exec, s[20:21]
	s_cbranch_execz .LBB21_21
; %bb.20:                               ;   in Loop: Header=BB21_7 Depth=2
	global_load_dword v4, v[2:3], off offset:64
.LBB21_21:                              ;   in Loop: Header=BB21_7 Depth=2
	s_andn2_saveexec_b64 s[12:13], s[12:13]
	s_cbranch_execz .LBB21_23
; %bb.22:                               ;   in Loop: Header=BB21_7 Depth=2
	s_waitcnt vmcnt(0)
	v_cndmask_b32_e64 v4, 0, 1.0, s[18:19]
.LBB21_23:                              ;   in Loop: Header=BB21_7 Depth=2
	s_or_b64 exec, exec, s[12:13]
	s_or_b64 s[10:11], s[8:9], s[10:11]
	s_or_b64 s[10:11], s[10:11], s[28:29]
	s_nor_b64 s[10:11], s[14:15], s[10:11]
	s_waitcnt vmcnt(0)
	ds_write_b32 v52, v4 offset:2048
	s_and_saveexec_b64 s[12:13], s[10:11]
	s_xor_b64 s[12:13], exec, s[12:13]
	s_cbranch_execz .LBB21_25
; %bb.24:                               ;   in Loop: Header=BB21_7 Depth=2
	v_add_co_u32_e64 v2, s[10:11], v46, v36
	v_addc_co_u32_e64 v3, s[10:11], v47, v37, s[10:11]
	global_load_dword v2, v[2:3], off offset:64
	s_waitcnt vmcnt(0)
	ds_write_b32 v52, v2 offset:2112
.LBB21_25:                              ;   in Loop: Header=BB21_7 Depth=2
	s_andn2_saveexec_b64 s[10:11], s[12:13]
	s_cbranch_execz .LBB21_31
; %bb.26:                               ;   in Loop: Header=BB21_7 Depth=2
	s_xor_b64 s[12:13], s[28:29], -1
	s_and_saveexec_b64 s[14:15], s[12:13]
	s_xor_b64 s[12:13], exec, s[14:15]
; %bb.27:                               ;   in Loop: Header=BB21_7 Depth=2
	ds_write_b32 v52, v50 offset:2112
; %bb.28:                               ;   in Loop: Header=BB21_7 Depth=2
	s_andn2_saveexec_b64 s[12:13], s[12:13]
; %bb.29:                               ;   in Loop: Header=BB21_7 Depth=2
	ds_write_b32 v52, v59 offset:2112
; %bb.30:                               ;   in Loop: Header=BB21_7 Depth=2
	s_or_b64 exec, exec, s[12:13]
.LBB21_31:                              ;   in Loop: Header=BB21_7 Depth=2
	s_or_b64 exec, exec, s[10:11]
	v_mov_b32_e32 v3, s25
	v_add_co_u32_e64 v2, s[10:11], s24, v1
	v_addc_co_u32_e64 v3, s[10:11], 0, v3, s[10:11]
	v_cmp_le_i64_e64 s[10:11], s[26:27], v[2:3]
	v_add_co_u32_e64 v4, s[12:13], v48, v27
	v_addc_co_u32_e64 v5, s[12:13], v49, v57, s[12:13]
	s_nor_b64 s[14:15], s[10:11], vcc
	v_mov_b32_e32 v6, 0
	s_and_saveexec_b64 s[12:13], s[14:15]
	s_cbranch_execz .LBB21_33
; %bb.32:                               ;   in Loop: Header=BB21_7 Depth=2
	global_load_dword v6, v[4:5], off offset:-64
.LBB21_33:                              ;   in Loop: Header=BB21_7 Depth=2
	s_or_b64 exec, exec, s[12:13]
	s_nor_b64 s[10:11], s[10:11], s[0:1]
	s_waitcnt vmcnt(0)
	ds_write_b32 v54, v6
	s_and_saveexec_b64 s[12:13], s[10:11]
	s_xor_b64 s[10:11], exec, s[12:13]
	s_cbranch_execz .LBB21_35
; %bb.34:                               ;   in Loop: Header=BB21_7 Depth=2
	global_load_dword v4, v[4:5], off
	s_waitcnt vmcnt(0)
	ds_write_b32 v54, v4 offset:64
.LBB21_35:                              ;   in Loop: Header=BB21_7 Depth=2
	s_andn2_saveexec_b64 s[10:11], s[10:11]
; %bb.36:                               ;   in Loop: Header=BB21_7 Depth=2
	ds_write_b32 v54, v50 offset:64
; %bb.37:                               ;   in Loop: Header=BB21_7 Depth=2
	s_or_b64 exec, exec, s[10:11]
	v_cmp_le_i64_e64 s[10:11], s[38:39], v[2:3]
	v_add_co_u32_e64 v2, s[12:13], v48, v26
	v_addc_co_u32_e64 v3, s[12:13], v49, v58, s[12:13]
	s_nor_b64 s[14:15], s[10:11], vcc
	v_mov_b32_e32 v4, 0
	s_and_saveexec_b64 s[12:13], s[14:15]
	s_cbranch_execz .LBB21_39
; %bb.38:                               ;   in Loop: Header=BB21_7 Depth=2
	global_load_dword v4, v[2:3], off
.LBB21_39:                              ;   in Loop: Header=BB21_7 Depth=2
	s_or_b64 exec, exec, s[12:13]
	s_nor_b64 s[10:11], s[10:11], s[0:1]
	s_waitcnt vmcnt(0)
	ds_write_b32 v54, v4 offset:2048
	s_and_saveexec_b64 s[12:13], s[10:11]
	s_xor_b64 s[10:11], exec, s[12:13]
	s_cbranch_execz .LBB21_41
; %bb.40:                               ;   in Loop: Header=BB21_7 Depth=2
	global_load_dword v2, v[2:3], off offset:64
	s_waitcnt vmcnt(0)
	ds_write_b32 v54, v2 offset:2112
.LBB21_41:                              ;   in Loop: Header=BB21_7 Depth=2
	s_andn2_saveexec_b64 s[10:11], s[10:11]
	s_cbranch_execz .LBB21_6
; %bb.42:                               ;   in Loop: Header=BB21_7 Depth=2
	ds_write_b32 v54, v50 offset:2112
	s_branch .LBB21_6
.LBB21_43:                              ;   in Loop: Header=BB21_4 Depth=1
	v_mul_lo_u32 v4, s41, v32
	v_mul_lo_u32 v5, s40, v33
	v_mad_u64_u32 v[2:3], s[8:9], s40, v32, 0
	v_cmp_gt_i32_e64 s[8:9], s30, v32
	v_add3_u32 v3, v3, v5, v4
	v_lshlrev_b64 v[2:3], 2, v[2:3]
	v_mov_b32_e32 v4, s45
	v_add_co_u32_e64 v2, s[10:11], s44, v2
	v_addc_co_u32_e64 v3, s[10:11], v4, v3, s[10:11]
	s_and_b64 s[10:11], s[2:3], s[8:9]
	s_and_saveexec_b64 s[12:13], s[10:11]
	s_cbranch_execz .LBB21_45
; %bb.44:                               ;   in Loop: Header=BB21_4 Depth=1
	v_add_co_u32_e64 v4, s[10:11], v2, v20
	v_addc_co_u32_e64 v5, s[10:11], v3, v21, s[10:11]
	global_load_dword v6, v[4:5], off
	s_waitcnt vmcnt(0)
	v_fmac_f32_e32 v6, s31, v62
	global_store_dword v[4:5], v6, off
.LBB21_45:                              ;   in Loop: Header=BB21_4 Depth=1
	s_or_b64 exec, exec, s[12:13]
	s_and_b64 s[8:9], s[4:5], s[8:9]
	s_and_saveexec_b64 s[10:11], s[8:9]
	s_cbranch_execz .LBB21_47
; %bb.46:                               ;   in Loop: Header=BB21_4 Depth=1
	v_add_co_u32_e64 v2, s[8:9], v2, v30
	v_addc_co_u32_e64 v3, s[8:9], v3, v31, s[8:9]
	global_load_dword v4, v[2:3], off
	s_waitcnt vmcnt(0)
	v_fmac_f32_e32 v4, s31, v61
	global_store_dword v[2:3], v4, off
.LBB21_47:                              ;   in Loop: Header=BB21_4 Depth=1
	s_or_b64 exec, exec, s[10:11]
	v_add_u32_e32 v4, 16, v32
	v_ashrrev_i32_e32 v2, 31, v4
	v_mul_lo_u32 v5, s40, v2
	v_mul_lo_u32 v6, s41, v4
	v_mad_u64_u32 v[2:3], s[8:9], s40, v4, 0
	v_cmp_gt_i32_e64 s[8:9], s30, v4
	v_mov_b32_e32 v4, s45
	v_add3_u32 v3, v3, v5, v6
	v_lshlrev_b64 v[2:3], 2, v[2:3]
	v_add_co_u32_e64 v2, s[10:11], s44, v2
	v_addc_co_u32_e64 v3, s[10:11], v4, v3, s[10:11]
	s_and_b64 s[10:11], s[2:3], s[8:9]
	s_and_saveexec_b64 s[12:13], s[10:11]
	s_cbranch_execz .LBB21_49
; %bb.48:                               ;   in Loop: Header=BB21_4 Depth=1
	v_add_co_u32_e64 v4, s[10:11], v2, v20
	v_addc_co_u32_e64 v5, s[10:11], v3, v21, s[10:11]
	global_load_dword v6, v[4:5], off
	s_waitcnt vmcnt(0)
	v_fmac_f32_e32 v6, s31, v60
	global_store_dword v[4:5], v6, off
.LBB21_49:                              ;   in Loop: Header=BB21_4 Depth=1
	s_or_b64 exec, exec, s[12:13]
	s_and_b64 s[8:9], s[4:5], s[8:9]
	s_and_saveexec_b64 s[10:11], s[8:9]
	s_cbranch_execz .LBB21_3
; %bb.50:                               ;   in Loop: Header=BB21_4 Depth=1
	v_add_co_u32_e64 v2, s[8:9], v2, v30
	v_addc_co_u32_e64 v3, s[8:9], v3, v31, s[8:9]
	global_load_dword v4, v[2:3], off
	s_waitcnt vmcnt(0)
	v_fmac_f32_e32 v4, s31, v29
	global_store_dword v[2:3], v4, off
	s_branch .LBB21_3
.LBB21_51:
	s_endpgm
	.section	.rodata,"a",@progbits
	.p2align	6, 0x0
	.amdhsa_kernel _ZL30rocblas_trmm_outofplace_kernelIfLi32ELi2ELb0ELb0ELb1ELb1EfKffEv17rocblas_diagonal_iiT6_lPT7_lllS4_lllPT8_llli
		.amdhsa_group_segment_fixed_size 8192
		.amdhsa_private_segment_fixed_size 24
		.amdhsa_kernarg_size 384
		.amdhsa_user_sgpr_count 6
		.amdhsa_user_sgpr_private_segment_buffer 1
		.amdhsa_user_sgpr_dispatch_ptr 0
		.amdhsa_user_sgpr_queue_ptr 0
		.amdhsa_user_sgpr_kernarg_segment_ptr 1
		.amdhsa_user_sgpr_dispatch_id 0
		.amdhsa_user_sgpr_flat_scratch_init 0
		.amdhsa_user_sgpr_private_segment_size 0
		.amdhsa_uses_dynamic_stack 0
		.amdhsa_system_sgpr_private_segment_wavefront_offset 1
		.amdhsa_system_sgpr_workgroup_id_x 1
		.amdhsa_system_sgpr_workgroup_id_y 1
		.amdhsa_system_sgpr_workgroup_id_z 1
		.amdhsa_system_sgpr_workgroup_info 0
		.amdhsa_system_vgpr_workitem_id 1
		.amdhsa_next_free_vgpr 64
		.amdhsa_next_free_sgpr 61
		.amdhsa_reserve_vcc 1
		.amdhsa_reserve_flat_scratch 0
		.amdhsa_float_round_mode_32 0
		.amdhsa_float_round_mode_16_64 0
		.amdhsa_float_denorm_mode_32 3
		.amdhsa_float_denorm_mode_16_64 3
		.amdhsa_dx10_clamp 1
		.amdhsa_ieee_mode 1
		.amdhsa_fp16_overflow 0
		.amdhsa_exception_fp_ieee_invalid_op 0
		.amdhsa_exception_fp_denorm_src 0
		.amdhsa_exception_fp_ieee_div_zero 0
		.amdhsa_exception_fp_ieee_overflow 0
		.amdhsa_exception_fp_ieee_underflow 0
		.amdhsa_exception_fp_ieee_inexact 0
		.amdhsa_exception_int_div_zero 0
	.end_amdhsa_kernel
	.section	.text._ZL30rocblas_trmm_outofplace_kernelIfLi32ELi2ELb0ELb0ELb1ELb1EfKffEv17rocblas_diagonal_iiT6_lPT7_lllS4_lllPT8_llli,"axG",@progbits,_ZL30rocblas_trmm_outofplace_kernelIfLi32ELi2ELb0ELb0ELb1ELb1EfKffEv17rocblas_diagonal_iiT6_lPT7_lllS4_lllPT8_llli,comdat
.Lfunc_end21:
	.size	_ZL30rocblas_trmm_outofplace_kernelIfLi32ELi2ELb0ELb0ELb1ELb1EfKffEv17rocblas_diagonal_iiT6_lPT7_lllS4_lllPT8_llli, .Lfunc_end21-_ZL30rocblas_trmm_outofplace_kernelIfLi32ELi2ELb0ELb0ELb1ELb1EfKffEv17rocblas_diagonal_iiT6_lPT7_lllS4_lllPT8_llli
                                        ; -- End function
	.set _ZL30rocblas_trmm_outofplace_kernelIfLi32ELi2ELb0ELb0ELb1ELb1EfKffEv17rocblas_diagonal_iiT6_lPT7_lllS4_lllPT8_llli.num_vgpr, 64
	.set _ZL30rocblas_trmm_outofplace_kernelIfLi32ELi2ELb0ELb0ELb1ELb1EfKffEv17rocblas_diagonal_iiT6_lPT7_lllS4_lllPT8_llli.num_agpr, 0
	.set _ZL30rocblas_trmm_outofplace_kernelIfLi32ELi2ELb0ELb0ELb1ELb1EfKffEv17rocblas_diagonal_iiT6_lPT7_lllS4_lllPT8_llli.numbered_sgpr, 52
	.set _ZL30rocblas_trmm_outofplace_kernelIfLi32ELi2ELb0ELb0ELb1ELb1EfKffEv17rocblas_diagonal_iiT6_lPT7_lllS4_lllPT8_llli.num_named_barrier, 0
	.set _ZL30rocblas_trmm_outofplace_kernelIfLi32ELi2ELb0ELb0ELb1ELb1EfKffEv17rocblas_diagonal_iiT6_lPT7_lllS4_lllPT8_llli.private_seg_size, 24
	.set _ZL30rocblas_trmm_outofplace_kernelIfLi32ELi2ELb0ELb0ELb1ELb1EfKffEv17rocblas_diagonal_iiT6_lPT7_lllS4_lllPT8_llli.uses_vcc, 1
	.set _ZL30rocblas_trmm_outofplace_kernelIfLi32ELi2ELb0ELb0ELb1ELb1EfKffEv17rocblas_diagonal_iiT6_lPT7_lllS4_lllPT8_llli.uses_flat_scratch, 0
	.set _ZL30rocblas_trmm_outofplace_kernelIfLi32ELi2ELb0ELb0ELb1ELb1EfKffEv17rocblas_diagonal_iiT6_lPT7_lllS4_lllPT8_llli.has_dyn_sized_stack, 0
	.set _ZL30rocblas_trmm_outofplace_kernelIfLi32ELi2ELb0ELb0ELb1ELb1EfKffEv17rocblas_diagonal_iiT6_lPT7_lllS4_lllPT8_llli.has_recursion, 0
	.set _ZL30rocblas_trmm_outofplace_kernelIfLi32ELi2ELb0ELb0ELb1ELb1EfKffEv17rocblas_diagonal_iiT6_lPT7_lllS4_lllPT8_llli.has_indirect_call, 0
	.section	.AMDGPU.csdata,"",@progbits
; Kernel info:
; codeLenInByte = 3124
; TotalNumSgprs: 56
; NumVgprs: 64
; ScratchSize: 24
; MemoryBound: 0
; FloatMode: 240
; IeeeMode: 1
; LDSByteSize: 8192 bytes/workgroup (compile time only)
; SGPRBlocks: 8
; VGPRBlocks: 15
; NumSGPRsForWavesPerEU: 65
; NumVGPRsForWavesPerEU: 64
; Occupancy: 4
; WaveLimiterHint : 0
; COMPUTE_PGM_RSRC2:SCRATCH_EN: 1
; COMPUTE_PGM_RSRC2:USER_SGPR: 6
; COMPUTE_PGM_RSRC2:TRAP_HANDLER: 0
; COMPUTE_PGM_RSRC2:TGID_X_EN: 1
; COMPUTE_PGM_RSRC2:TGID_Y_EN: 1
; COMPUTE_PGM_RSRC2:TGID_Z_EN: 1
; COMPUTE_PGM_RSRC2:TIDIG_COMP_CNT: 1
	.section	.text._ZL30rocblas_trmm_outofplace_kernelIfLi32ELi2ELb0ELb1ELb1ELb1EPKfS0_fEv17rocblas_diagonal_iiT6_lPT7_lllS5_lllPT8_llli,"axG",@progbits,_ZL30rocblas_trmm_outofplace_kernelIfLi32ELi2ELb0ELb1ELb1ELb1EPKfS0_fEv17rocblas_diagonal_iiT6_lPT7_lllS5_lllPT8_llli,comdat
	.globl	_ZL30rocblas_trmm_outofplace_kernelIfLi32ELi2ELb0ELb1ELb1ELb1EPKfS0_fEv17rocblas_diagonal_iiT6_lPT7_lllS5_lllPT8_llli ; -- Begin function _ZL30rocblas_trmm_outofplace_kernelIfLi32ELi2ELb0ELb1ELb1ELb1EPKfS0_fEv17rocblas_diagonal_iiT6_lPT7_lllS5_lllPT8_llli
	.p2align	8
	.type	_ZL30rocblas_trmm_outofplace_kernelIfLi32ELi2ELb0ELb1ELb1ELb1EPKfS0_fEv17rocblas_diagonal_iiT6_lPT7_lllS5_lllPT8_llli,@function
_ZL30rocblas_trmm_outofplace_kernelIfLi32ELi2ELb0ELb1ELb1ELb1EPKfS0_fEv17rocblas_diagonal_iiT6_lPT7_lllS5_lllPT8_llli: ; @_ZL30rocblas_trmm_outofplace_kernelIfLi32ELi2ELb0ELb1ELb1ELb1EPKfS0_fEv17rocblas_diagonal_iiT6_lPT7_lllS5_lllPT8_llli
; %bb.0:
	s_load_dwordx16 s[16:31], s[4:5], 0x10
	s_mov_b64 s[66:67], s[2:3]
	s_mov_b64 s[64:65], s[0:1]
	s_add_u32 s64, s64, s9
	s_addc_u32 s65, s65, 0
	s_waitcnt lgkmcnt(0)
	s_mul_i32 s0, s19, s8
	s_mul_hi_u32 s1, s18, s8
	s_add_i32 s1, s1, s0
	s_mul_i32 s0, s18, s8
	s_lshl_b64 s[0:1], s[0:1], 2
	s_add_u32 s0, s16, s0
	s_addc_u32 s1, s17, s1
	s_load_dword s33, s[0:1], 0x0
	s_waitcnt lgkmcnt(0)
	v_cmp_eq_f32_e64 s[0:1], s33, 0
	s_and_b64 vcc, exec, s[0:1]
	s_cbranch_vccnz .LBB22_51
; %bb.1:
	s_load_dwordx4 s[44:47], s[4:5], 0x0
	s_waitcnt lgkmcnt(0)
	s_add_i32 s0, s46, -1
	s_ashr_i32 s1, s0, 31
	s_lshr_b32 s1, s1, 27
	s_add_i32 s0, s0, s1
	s_ashr_i32 s56, s0, 5
	s_cmp_gt_i32 s7, s56
	s_cbranch_scc1 .LBB22_51
; %bb.2:
	s_load_dwordx4 s[48:51], s[4:5], 0x70
	s_load_dwordx8 s[36:43], s[4:5], 0x50
	s_load_dword s57, s[4:5], 0x8c
	v_lshl_add_u32 v2, s6, 5, v0
	v_add_u32_e32 v18, 16, v2
	s_waitcnt lgkmcnt(0)
	s_mul_i32 s1, s51, s8
	s_mul_hi_u32 s2, s50, s8
	s_mul_i32 s0, s50, s8
	s_add_i32 s1, s2, s1
	s_lshl_b64 s[0:1], s[0:1], 2
	s_add_u32 s2, s40, s0
	s_addc_u32 s3, s41, s1
	s_lshl_b64 s[0:1], s[42:43], 2
	s_add_u32 s58, s2, s0
	s_addc_u32 s59, s3, s1
	s_cmpk_eq_i32 s44, 0x84
	s_cselect_b64 s[34:35], -1, 0
	s_ashr_i32 s47, s46, 31
	s_ashr_i32 s0, s45, 31
	s_lshl_b64 s[40:41], s[24:25], 7
	s_lshl_b64 s[42:43], s[36:37], 7
	s_add_u32 s50, s46, -16
	s_addc_u32 s51, s47, -1
	s_lshl_b32 s9, s7, 5
	s_lshl_b32 s6, s57, 5
	v_add_u32_e32 v20, s9, v0
	v_add_u32_e32 v22, s9, v1
	s_add_u32 s44, s28, 64
	s_mul_i32 s9, s39, s8
	s_mul_hi_u32 s10, s38, s8
	v_sub_co_u32_e32 v4, vcc, s45, v2
	v_cmp_gt_i32_e64 s[2:3], s45, v2
	v_cmp_gt_i32_e64 s[4:5], s45, v18
	s_addc_u32 s45, s29, 0
	s_add_i32 s11, s10, s9
	s_mul_i32 s10, s38, s8
	v_ashrrev_i32_e32 v3, 31, v2
	s_lshl_b64 s[52:53], s[36:37], 2
	s_lshl_b64 s[10:11], s[10:11], 2
	;; [unrolled: 1-line block ×3, first 2 shown]
	s_add_u32 s9, s10, s12
	v_lshlrev_b64 v[24:25], 2, v[2:3]
	s_addc_u32 s10, s11, s13
	v_lshlrev_b32_e32 v6, 2, v0
	v_mov_b32_e32 v5, s0
	v_mov_b32_e32 v0, s10
	v_add_co_u32_e64 v2, s[10:11], s9, v24
	v_subb_co_u32_e32 v5, vcc, v5, v3, vcc
	v_addc_co_u32_e64 v3, s[10:11], v0, v25, s[10:11]
	s_mul_i32 s9, s27, s8
	s_mul_hi_u32 s10, s26, s8
	s_add_i32 s9, s10, s9
	s_mul_i32 s8, s26, s8
	s_lshl_b64 s[8:9], s[8:9], 2
	s_lshl_b64 s[10:11], s[22:23], 2
	s_add_u32 s8, s8, s10
	s_addc_u32 s9, s9, s11
	v_lshlrev_b32_e32 v50, 7, v1
	v_or_b32_e32 v52, 0x1000, v6
	v_cmp_gt_i64_e32 vcc, 1, v[4:5]
	v_cmp_gt_i64_e64 s[0:1], 17, v[4:5]
	s_add_u32 s22, s20, s8
	v_add_u32_e32 v51, v50, v6
	v_add_u32_e32 v53, v52, v50
	v_ashrrev_i32_e32 v19, 31, v18
	s_addc_u32 s23, s21, s9
	s_lshl_b64 s[26:27], s[24:25], 2
	v_mov_b32_e32 v0, 0
	v_mov_b32_e32 v54, 1.0
	buffer_store_dword v2, off, s[64:67], 0 ; 4-byte Folded Spill
	s_nop 0
	buffer_store_dword v3, off, s[64:67], 0 offset:4 ; 4-byte Folded Spill
	s_branch .LBB22_4
.LBB22_3:                               ;   in Loop: Header=BB22_4 Depth=1
	s_or_b64 exec, exec, s[10:11]
	s_add_i32 s7, s57, s7
	v_add_u32_e32 v20, s6, v20
	s_cmp_le_i32 s7, s56
	v_add_u32_e32 v22, s6, v22
	s_cbranch_scc0 .LBB22_51
.LBB22_4:                               ; =>This Loop Header: Depth=1
                                        ;     Child Loop BB22_7 Depth 2
	s_lshl_b32 s8, s7, 5
	v_add_u32_e32 v28, s8, v1
	s_sub_i32 s60, s46, s8
	v_ashrrev_i32_e32 v21, 31, v20
	v_ashrrev_i32_e32 v23, 31, v22
	;; [unrolled: 1-line block ×3, first 2 shown]
	s_cmp_lt_i32 s60, 1
	v_mov_b32_e32 v58, 0
	v_mov_b32_e32 v57, 0
	;; [unrolled: 1-line block ×4, first 2 shown]
	s_cbranch_scc1 .LBB22_43
; %bb.5:                                ;   in Loop: Header=BB22_4 Depth=1
	buffer_load_dword v48, off, s[64:67], 0 ; 4-byte Folded Reload
	buffer_load_dword v49, off, s[64:67], 0 offset:4 ; 4-byte Folded Reload
	v_mov_b32_e32 v2, s44
	v_sub_co_u32_e64 v30, s[8:9], v22, v20
	v_mov_b32_e32 v3, s45
	v_subb_co_u32_e64 v31, s[8:9], v23, v21, s[8:9]
	v_mad_u64_u32 v[32:33], s[8:9], s52, v22, v[2:3]
	v_lshlrev_b64 v[2:3], 2, v[20:21]
	v_lshlrev_b64 v[34:35], 2, v[22:23]
	v_add_co_u32_e64 v6, s[8:9], 64, v2
	v_addc_co_u32_e64 v2, s[8:9], 0, v3, s[8:9]
	v_mul_lo_u32 v7, s24, v2
	v_mov_b32_e32 v2, s22
	v_mov_b32_e32 v3, s23
	v_mad_u64_u32 v[36:37], s[8:9], s24, v6, v[2:3]
	v_mad_u64_u32 v[38:39], s[8:9], s26, v20, v[2:3]
	v_add_co_u32_e64 v10, s[8:9], 64, v34
	v_addc_co_u32_e64 v2, s[8:9], 0, v35, s[8:9]
	v_mul_lo_u32 v11, s36, v2
	v_mov_b32_e32 v2, s28
	v_mov_b32_e32 v3, s29
	v_mul_lo_u32 v4, s52, v23
	v_mul_lo_u32 v5, s53, v22
	;; [unrolled: 1-line block ×5, first 2 shown]
	v_mad_u64_u32 v[40:41], s[8:9], s36, v10, v[2:3]
	v_mul_lo_u32 v2, s37, v10
	v_add_co_u32_e64 v42, s[8:9], 16, v28
	v_add_co_u32_e64 v44, s[10:11], 16, v30
	v_addc_co_u32_e64 v43, s[8:9], 0, v29, s[8:9]
	v_addc_co_u32_e64 v45, s[10:11], 0, v31, s[10:11]
	v_cmp_le_i64_e64 s[8:9], s[46:47], v[42:43]
	v_add_co_u32_e64 v46, s[10:11], -16, v30
	v_add3_u32 v33, v5, v33, v4
	v_add3_u32 v37, v8, v37, v7
	;; [unrolled: 1-line block ×4, first 2 shown]
	v_cmp_le_i32_e64 s[16:17], s46, v28
	v_addc_co_u32_e64 v47, s[10:11], -1, v31, s[10:11]
	v_mov_b32_e32 v55, 0
	s_mov_b64 s[30:31], 0
	v_mov_b32_e32 v56, 0
	v_mov_b32_e32 v57, 0
	;; [unrolled: 1-line block ×3, first 2 shown]
	s_branch .LBB22_7
.LBB22_6:                               ;   in Loop: Header=BB22_7 Depth=2
	s_or_b64 exec, exec, s[10:11]
	s_waitcnt lgkmcnt(0)
	s_barrier
	ds_read_b128 v[14:17], v50
	ds_read_b128 v[10:13], v50 offset:16
	ds_read_b128 v[6:9], v50 offset:32
	;; [unrolled: 1-line block ×3, first 2 shown]
	ds_read2_b32 v[26:27], v52 offset1:16
	ds_read_b128 v[59:62], v50 offset:2048
	v_add_co_u32_e64 v48, s[10:11], s42, v48
	s_add_u32 s30, s30, 32
	s_waitcnt lgkmcnt(1)
	v_fmac_f32_e32 v58, v26, v14
	v_fmac_f32_e32 v57, v27, v14
	s_waitcnt lgkmcnt(0)
	v_fmac_f32_e32 v56, v26, v59
	v_fmac_f32_e32 v55, v27, v59
	ds_read2_b32 v[26:27], v52 offset0:32 offset1:48
	s_addc_u32 s31, s31, 0
	s_cmp_ge_i32 s30, s60
	s_waitcnt lgkmcnt(0)
	v_fmac_f32_e32 v58, v26, v15
	v_fmac_f32_e32 v57, v27, v15
	ds_read2_b32 v[14:15], v52 offset0:64 offset1:80
	v_fmac_f32_e32 v56, v26, v60
	v_fmac_f32_e32 v55, v27, v60
	ds_read2_b32 v[26:27], v52 offset0:128 offset1:144
	s_waitcnt lgkmcnt(1)
	v_fmac_f32_e32 v58, v14, v16
	v_fmac_f32_e32 v57, v15, v16
	;; [unrolled: 1-line block ×4, first 2 shown]
	ds_read2_b32 v[14:15], v52 offset0:96 offset1:112
	s_waitcnt lgkmcnt(0)
	v_fmac_f32_e32 v58, v14, v17
	v_fmac_f32_e32 v57, v15, v17
	;; [unrolled: 1-line block ×4, first 2 shown]
	ds_read_b128 v[14:17], v50 offset:2064
	v_fmac_f32_e32 v58, v26, v10
	v_fmac_f32_e32 v57, v27, v10
	s_waitcnt lgkmcnt(0)
	v_fmac_f32_e32 v56, v26, v14
	v_fmac_f32_e32 v55, v27, v14
	ds_read2_b32 v[26:27], v52 offset0:160 offset1:176
	s_waitcnt lgkmcnt(0)
	v_fmac_f32_e32 v58, v26, v11
	v_fmac_f32_e32 v57, v27, v11
	ds_read2_b32 v[10:11], v52 offset0:192 offset1:208
	v_fmac_f32_e32 v56, v26, v15
	v_fmac_f32_e32 v55, v27, v15
	s_waitcnt lgkmcnt(0)
	v_fmac_f32_e32 v58, v10, v12
	v_fmac_f32_e32 v57, v11, v12
	;; [unrolled: 1-line block ×4, first 2 shown]
	ds_read2_b32 v[10:11], v52 offset0:224 offset1:240
	s_waitcnt lgkmcnt(0)
	v_fmac_f32_e32 v58, v10, v13
	v_fmac_f32_e32 v56, v10, v17
	v_add_u32_e32 v10, 0x400, v52
	v_fmac_f32_e32 v57, v11, v13
	v_fmac_f32_e32 v55, v11, v17
	ds_read2_b32 v[15:16], v10 offset1:16
	ds_read_b128 v[11:14], v50 offset:2080
	s_waitcnt lgkmcnt(1)
	v_fmac_f32_e32 v58, v15, v6
	v_fmac_f32_e32 v57, v16, v6
	s_waitcnt lgkmcnt(0)
	v_fmac_f32_e32 v56, v15, v11
	v_fmac_f32_e32 v55, v16, v11
	ds_read2_b32 v[15:16], v10 offset0:32 offset1:48
	s_waitcnt lgkmcnt(0)
	v_fmac_f32_e32 v58, v15, v7
	v_fmac_f32_e32 v57, v16, v7
	ds_read2_b32 v[6:7], v10 offset0:64 offset1:80
	v_fmac_f32_e32 v56, v15, v12
	v_fmac_f32_e32 v55, v16, v12
	ds_read2_b32 v[11:12], v10 offset0:128 offset1:144
	s_waitcnt lgkmcnt(1)
	v_fmac_f32_e32 v58, v6, v8
	v_fmac_f32_e32 v57, v7, v8
	;; [unrolled: 1-line block ×4, first 2 shown]
	ds_read2_b32 v[6:7], v10 offset0:96 offset1:112
	s_waitcnt lgkmcnt(0)
	v_fmac_f32_e32 v58, v6, v9
	v_fmac_f32_e32 v57, v7, v9
	;; [unrolled: 1-line block ×4, first 2 shown]
	ds_read_b128 v[6:9], v50 offset:2096
	v_fmac_f32_e32 v58, v11, v2
	v_fmac_f32_e32 v57, v12, v2
	s_waitcnt lgkmcnt(0)
	v_fmac_f32_e32 v56, v11, v6
	v_fmac_f32_e32 v55, v12, v6
	ds_read2_b32 v[11:12], v10 offset0:160 offset1:176
	s_waitcnt lgkmcnt(0)
	v_fmac_f32_e32 v58, v11, v3
	v_fmac_f32_e32 v57, v12, v3
	ds_read2_b32 v[2:3], v10 offset0:192 offset1:208
	v_fmac_f32_e32 v56, v11, v7
	v_fmac_f32_e32 v55, v12, v7
	s_waitcnt lgkmcnt(0)
	v_fmac_f32_e32 v58, v2, v4
	v_fmac_f32_e32 v57, v3, v4
	;; [unrolled: 1-line block ×4, first 2 shown]
	ds_read2_b32 v[2:3], v10 offset0:224 offset1:240
	v_add_u32_e32 v10, 0x800, v52
	ds_read2_b32 v[11:12], v10 offset1:16
	s_waitcnt lgkmcnt(1)
	v_fmac_f32_e32 v58, v2, v5
	v_fmac_f32_e32 v57, v3, v5
	;; [unrolled: 1-line block ×4, first 2 shown]
	ds_read_b128 v[2:5], v50 offset:64
	ds_read_b128 v[6:9], v50 offset:2112
	s_waitcnt lgkmcnt(1)
	v_fmac_f32_e32 v58, v11, v2
	v_fmac_f32_e32 v57, v12, v2
	s_waitcnt lgkmcnt(0)
	v_fmac_f32_e32 v56, v11, v6
	v_fmac_f32_e32 v55, v12, v6
	ds_read2_b32 v[11:12], v10 offset0:32 offset1:48
	s_waitcnt lgkmcnt(0)
	v_fmac_f32_e32 v58, v11, v3
	v_fmac_f32_e32 v57, v12, v3
	ds_read2_b32 v[2:3], v10 offset0:64 offset1:80
	v_fmac_f32_e32 v56, v11, v7
	v_fmac_f32_e32 v55, v12, v7
	s_waitcnt lgkmcnt(0)
	v_fmac_f32_e32 v58, v2, v4
	v_fmac_f32_e32 v57, v3, v4
	;; [unrolled: 1-line block ×4, first 2 shown]
	ds_read2_b32 v[2:3], v10 offset0:96 offset1:112
	s_waitcnt lgkmcnt(0)
	v_fmac_f32_e32 v58, v2, v5
	v_fmac_f32_e32 v57, v3, v5
	;; [unrolled: 1-line block ×4, first 2 shown]
	ds_read_b128 v[2:5], v50 offset:80
	ds_read2_b32 v[11:12], v10 offset0:128 offset1:144
	ds_read_b128 v[6:9], v50 offset:2128
	s_waitcnt lgkmcnt(1)
	v_fmac_f32_e32 v58, v11, v2
	v_fmac_f32_e32 v57, v12, v2
	s_waitcnt lgkmcnt(0)
	v_fmac_f32_e32 v56, v11, v6
	v_fmac_f32_e32 v55, v12, v6
	ds_read2_b32 v[11:12], v10 offset0:160 offset1:176
	s_waitcnt lgkmcnt(0)
	v_fmac_f32_e32 v58, v11, v3
	v_fmac_f32_e32 v57, v12, v3
	ds_read2_b32 v[2:3], v10 offset0:192 offset1:208
	v_fmac_f32_e32 v56, v11, v7
	v_fmac_f32_e32 v55, v12, v7
	s_waitcnt lgkmcnt(0)
	v_fmac_f32_e32 v58, v2, v4
	v_fmac_f32_e32 v57, v3, v4
	;; [unrolled: 1-line block ×4, first 2 shown]
	ds_read2_b32 v[2:3], v10 offset0:224 offset1:240
	v_add_u32_e32 v10, 0xc00, v52
	ds_read2_b32 v[11:12], v10 offset1:16
	s_waitcnt lgkmcnt(1)
	v_fmac_f32_e32 v58, v2, v5
	v_fmac_f32_e32 v57, v3, v5
	;; [unrolled: 1-line block ×4, first 2 shown]
	ds_read_b128 v[2:5], v50 offset:96
	ds_read_b128 v[6:9], v50 offset:2144
	s_waitcnt lgkmcnt(1)
	v_fmac_f32_e32 v58, v11, v2
	v_fmac_f32_e32 v57, v12, v2
	s_waitcnt lgkmcnt(0)
	v_fmac_f32_e32 v56, v11, v6
	v_fmac_f32_e32 v55, v12, v6
	ds_read2_b32 v[11:12], v10 offset0:32 offset1:48
	s_waitcnt lgkmcnt(0)
	v_fmac_f32_e32 v58, v11, v3
	v_fmac_f32_e32 v57, v12, v3
	ds_read2_b32 v[2:3], v10 offset0:64 offset1:80
	v_fmac_f32_e32 v56, v11, v7
	v_fmac_f32_e32 v55, v12, v7
	s_waitcnt lgkmcnt(0)
	v_fmac_f32_e32 v58, v2, v4
	v_fmac_f32_e32 v57, v3, v4
	;; [unrolled: 1-line block ×4, first 2 shown]
	ds_read2_b32 v[2:3], v10 offset0:96 offset1:112
	s_waitcnt lgkmcnt(0)
	v_fmac_f32_e32 v58, v2, v5
	v_fmac_f32_e32 v57, v3, v5
	;; [unrolled: 1-line block ×4, first 2 shown]
	ds_read_b128 v[2:5], v50 offset:112
	ds_read2_b32 v[11:12], v10 offset0:128 offset1:144
	ds_read_b128 v[6:9], v50 offset:2160
	s_waitcnt lgkmcnt(1)
	v_fmac_f32_e32 v58, v11, v2
	v_fmac_f32_e32 v57, v12, v2
	s_waitcnt lgkmcnt(0)
	v_fmac_f32_e32 v56, v11, v6
	v_fmac_f32_e32 v55, v12, v6
	ds_read2_b32 v[11:12], v10 offset0:160 offset1:176
	s_waitcnt lgkmcnt(0)
	v_fmac_f32_e32 v58, v11, v3
	v_fmac_f32_e32 v57, v12, v3
	ds_read2_b32 v[2:3], v10 offset0:192 offset1:208
	v_fmac_f32_e32 v56, v11, v7
	v_fmac_f32_e32 v55, v12, v7
	s_waitcnt lgkmcnt(0)
	v_fmac_f32_e32 v58, v2, v4
	v_fmac_f32_e32 v57, v3, v4
	;; [unrolled: 1-line block ×4, first 2 shown]
	ds_read2_b32 v[2:3], v10 offset0:224 offset1:240
	s_waitcnt lgkmcnt(0)
	s_barrier
	v_fmac_f32_e32 v58, v2, v5
	v_fmac_f32_e32 v56, v2, v9
	v_mov_b32_e32 v2, s43
	v_addc_co_u32_e64 v49, s[10:11], v49, v2, s[10:11]
	v_add_co_u32_e64 v36, s[10:11], s40, v36
	v_mov_b32_e32 v2, s41
	v_addc_co_u32_e64 v37, s[10:11], v37, v2, s[10:11]
	v_add_co_u32_e64 v38, s[10:11], s40, v38
	v_fmac_f32_e32 v57, v3, v5
	v_fmac_f32_e32 v55, v3, v9
	v_addc_co_u32_e64 v39, s[10:11], v39, v2, s[10:11]
	s_cbranch_scc1 .LBB22_43
.LBB22_7:                               ;   Parent Loop BB22_4 Depth=1
                                        ; =>  This Inner Loop Header: Depth=2
	v_mov_b32_e32 v2, s31
	v_add_co_u32_e64 v4, s[10:11], s30, v20
	v_addc_co_u32_e64 v5, s[10:11], v21, v2, s[10:11]
	v_cmp_eq_u64_e64 s[10:11], s[30:31], v[30:31]
	v_add_co_u32_e64 v2, s[12:13], v38, v34
	v_addc_co_u32_e64 v3, s[12:13], v39, v35, s[12:13]
	s_and_b64 s[38:39], s[34:35], s[10:11]
	v_cmp_lt_i64_e64 s[10:11], v[4:5], v[28:29]
	v_cmp_le_i64_e64 s[12:13], s[46:47], v[4:5]
	s_or_b64 s[14:15], s[16:17], s[10:11]
	s_or_b64 s[14:15], s[12:13], s[14:15]
	s_nor_b64 s[14:15], s[14:15], s[38:39]
                                        ; implicit-def: $vgpr6
	s_and_saveexec_b64 s[18:19], s[14:15]
	s_xor_b64 s[14:15], exec, s[18:19]
	s_cbranch_execz .LBB22_9
; %bb.8:                                ;   in Loop: Header=BB22_7 Depth=2
	global_load_dword v6, v[2:3], off
.LBB22_9:                               ;   in Loop: Header=BB22_7 Depth=2
	s_andn2_saveexec_b64 s[14:15], s[14:15]
	s_cbranch_execz .LBB22_11
; %bb.10:                               ;   in Loop: Header=BB22_7 Depth=2
	s_waitcnt vmcnt(0)
	v_cndmask_b32_e64 v6, 0, 1.0, s[38:39]
.LBB22_11:                              ;   in Loop: Header=BB22_7 Depth=2
	s_or_b64 exec, exec, s[14:15]
	s_waitcnt vmcnt(0)
	ds_write_b32 v51, v6
	v_add_co_u32_e64 v6, s[18:19], 16, v4
	v_cmp_eq_u64_e64 s[14:15], s[30:31], v[46:47]
	v_addc_co_u32_e64 v7, s[18:19], 0, v5, s[18:19]
	v_cmp_lt_i64_e64 s[18:19], v[6:7], v[28:29]
	s_and_b64 s[20:21], s[34:35], s[14:15]
	v_cmp_le_i64_e64 s[14:15], s[46:47], v[6:7]
	s_or_b64 s[18:19], s[16:17], s[18:19]
	s_or_b64 s[18:19], s[14:15], s[18:19]
	s_nor_b64 s[18:19], s[18:19], s[20:21]
	s_and_saveexec_b64 s[54:55], s[18:19]
	s_xor_b64 s[54:55], exec, s[54:55]
	s_cbranch_execz .LBB22_13
; %bb.12:                               ;   in Loop: Header=BB22_7 Depth=2
	v_add_co_u32_e64 v6, s[18:19], v36, v34
	v_addc_co_u32_e64 v7, s[18:19], v37, v35, s[18:19]
	global_load_dword v6, v[6:7], off
	s_waitcnt vmcnt(0)
	ds_write_b32 v51, v6 offset:64
.LBB22_13:                              ;   in Loop: Header=BB22_7 Depth=2
	s_andn2_saveexec_b64 s[18:19], s[54:55]
	s_cbranch_execz .LBB22_19
; %bb.14:                               ;   in Loop: Header=BB22_7 Depth=2
	s_xor_b64 s[20:21], s[20:21], -1
	s_and_saveexec_b64 s[54:55], s[20:21]
	s_xor_b64 s[20:21], exec, s[54:55]
; %bb.15:                               ;   in Loop: Header=BB22_7 Depth=2
	ds_write_b32 v51, v0 offset:64
; %bb.16:                               ;   in Loop: Header=BB22_7 Depth=2
	s_andn2_saveexec_b64 s[20:21], s[20:21]
; %bb.17:                               ;   in Loop: Header=BB22_7 Depth=2
	ds_write_b32 v51, v54 offset:64
; %bb.18:                               ;   in Loop: Header=BB22_7 Depth=2
	s_or_b64 exec, exec, s[20:21]
.LBB22_19:                              ;   in Loop: Header=BB22_7 Depth=2
	s_or_b64 exec, exec, s[18:19]
	v_cmp_eq_u64_e64 s[18:19], s[30:31], v[44:45]
	v_cmp_lt_i64_e64 s[20:21], v[4:5], v[42:43]
	s_and_b64 s[18:19], s[34:35], s[18:19]
	s_or_b64 s[20:21], s[8:9], s[20:21]
	s_or_b64 s[20:21], s[20:21], s[18:19]
	s_nor_b64 s[12:13], s[12:13], s[20:21]
                                        ; implicit-def: $vgpr4
	s_and_saveexec_b64 s[20:21], s[12:13]
	s_xor_b64 s[12:13], exec, s[20:21]
	s_cbranch_execz .LBB22_21
; %bb.20:                               ;   in Loop: Header=BB22_7 Depth=2
	global_load_dword v4, v[2:3], off offset:64
.LBB22_21:                              ;   in Loop: Header=BB22_7 Depth=2
	s_andn2_saveexec_b64 s[12:13], s[12:13]
	s_cbranch_execz .LBB22_23
; %bb.22:                               ;   in Loop: Header=BB22_7 Depth=2
	s_waitcnt vmcnt(0)
	v_cndmask_b32_e64 v4, 0, 1.0, s[18:19]
.LBB22_23:                              ;   in Loop: Header=BB22_7 Depth=2
	s_or_b64 exec, exec, s[12:13]
	s_or_b64 s[10:11], s[8:9], s[10:11]
	s_or_b64 s[10:11], s[14:15], s[10:11]
	s_nor_b64 s[10:11], s[10:11], s[38:39]
	s_waitcnt vmcnt(0)
	ds_write_b32 v51, v4 offset:2048
	s_and_saveexec_b64 s[12:13], s[10:11]
	s_xor_b64 s[12:13], exec, s[12:13]
	s_cbranch_execz .LBB22_25
; %bb.24:                               ;   in Loop: Header=BB22_7 Depth=2
	v_add_co_u32_e64 v2, s[10:11], v36, v34
	v_addc_co_u32_e64 v3, s[10:11], v37, v35, s[10:11]
	global_load_dword v2, v[2:3], off offset:64
	s_waitcnt vmcnt(0)
	ds_write_b32 v51, v2 offset:2112
.LBB22_25:                              ;   in Loop: Header=BB22_7 Depth=2
	s_andn2_saveexec_b64 s[10:11], s[12:13]
	s_cbranch_execz .LBB22_31
; %bb.26:                               ;   in Loop: Header=BB22_7 Depth=2
	s_xor_b64 s[12:13], s[38:39], -1
	s_and_saveexec_b64 s[14:15], s[12:13]
	s_xor_b64 s[12:13], exec, s[14:15]
; %bb.27:                               ;   in Loop: Header=BB22_7 Depth=2
	ds_write_b32 v51, v0 offset:2112
; %bb.28:                               ;   in Loop: Header=BB22_7 Depth=2
	s_andn2_saveexec_b64 s[12:13], s[12:13]
; %bb.29:                               ;   in Loop: Header=BB22_7 Depth=2
	ds_write_b32 v51, v54 offset:2112
; %bb.30:                               ;   in Loop: Header=BB22_7 Depth=2
	s_or_b64 exec, exec, s[12:13]
.LBB22_31:                              ;   in Loop: Header=BB22_7 Depth=2
	s_or_b64 exec, exec, s[10:11]
	v_mov_b32_e32 v3, s31
	v_add_co_u32_e64 v2, s[10:11], s30, v22
	v_addc_co_u32_e64 v3, s[10:11], v23, v3, s[10:11]
	v_cmp_le_i64_e64 s[10:11], s[46:47], v[2:3]
	v_add_co_u32_e64 v4, s[12:13], v32, v48
	v_addc_co_u32_e64 v5, s[12:13], v33, v49, s[12:13]
	s_nor_b64 s[14:15], s[10:11], vcc
	v_mov_b32_e32 v6, 0
	s_and_saveexec_b64 s[12:13], s[14:15]
	s_cbranch_execz .LBB22_33
; %bb.32:                               ;   in Loop: Header=BB22_7 Depth=2
	global_load_dword v6, v[4:5], off offset:-64
.LBB22_33:                              ;   in Loop: Header=BB22_7 Depth=2
	s_or_b64 exec, exec, s[12:13]
	s_nor_b64 s[10:11], s[10:11], s[0:1]
	s_waitcnt vmcnt(0)
	ds_write_b32 v53, v6
	s_and_saveexec_b64 s[12:13], s[10:11]
	s_xor_b64 s[10:11], exec, s[12:13]
	s_cbranch_execz .LBB22_35
; %bb.34:                               ;   in Loop: Header=BB22_7 Depth=2
	global_load_dword v4, v[4:5], off
	s_waitcnt vmcnt(0)
	ds_write_b32 v53, v4 offset:64
.LBB22_35:                              ;   in Loop: Header=BB22_7 Depth=2
	s_andn2_saveexec_b64 s[10:11], s[10:11]
; %bb.36:                               ;   in Loop: Header=BB22_7 Depth=2
	ds_write_b32 v53, v0 offset:64
; %bb.37:                               ;   in Loop: Header=BB22_7 Depth=2
	s_or_b64 exec, exec, s[10:11]
	v_cmp_le_i64_e64 s[10:11], s[50:51], v[2:3]
	v_add_co_u32_e64 v2, s[12:13], v40, v48
	v_addc_co_u32_e64 v3, s[12:13], v41, v49, s[12:13]
	s_nor_b64 s[14:15], s[10:11], vcc
	v_mov_b32_e32 v4, 0
	s_and_saveexec_b64 s[12:13], s[14:15]
	s_cbranch_execz .LBB22_39
; %bb.38:                               ;   in Loop: Header=BB22_7 Depth=2
	global_load_dword v4, v[2:3], off
.LBB22_39:                              ;   in Loop: Header=BB22_7 Depth=2
	s_or_b64 exec, exec, s[12:13]
	s_nor_b64 s[10:11], s[10:11], s[0:1]
	s_waitcnt vmcnt(0)
	ds_write_b32 v53, v4 offset:2048
	s_and_saveexec_b64 s[12:13], s[10:11]
	s_xor_b64 s[10:11], exec, s[12:13]
	s_cbranch_execz .LBB22_41
; %bb.40:                               ;   in Loop: Header=BB22_7 Depth=2
	global_load_dword v2, v[2:3], off offset:64
	s_waitcnt vmcnt(0)
	ds_write_b32 v53, v2 offset:2112
.LBB22_41:                              ;   in Loop: Header=BB22_7 Depth=2
	s_andn2_saveexec_b64 s[10:11], s[10:11]
	s_cbranch_execz .LBB22_6
; %bb.42:                               ;   in Loop: Header=BB22_7 Depth=2
	ds_write_b32 v53, v0 offset:2112
	s_branch .LBB22_6
.LBB22_43:                              ;   in Loop: Header=BB22_4 Depth=1
	v_mul_lo_u32 v4, s49, v28
	v_mul_lo_u32 v5, s48, v29
	v_mad_u64_u32 v[2:3], s[8:9], s48, v28, 0
	v_cmp_gt_i32_e64 s[8:9], s46, v28
	v_add3_u32 v3, v3, v5, v4
	v_lshlrev_b64 v[2:3], 2, v[2:3]
	v_mov_b32_e32 v4, s59
	v_add_co_u32_e64 v2, s[10:11], s58, v2
	v_addc_co_u32_e64 v3, s[10:11], v4, v3, s[10:11]
	s_and_b64 s[10:11], s[2:3], s[8:9]
	s_and_saveexec_b64 s[12:13], s[10:11]
	s_cbranch_execz .LBB22_45
; %bb.44:                               ;   in Loop: Header=BB22_4 Depth=1
	v_add_co_u32_e64 v4, s[10:11], v2, v24
	v_addc_co_u32_e64 v5, s[10:11], v3, v25, s[10:11]
	global_load_dword v6, v[4:5], off
	s_waitcnt vmcnt(0)
	v_fmac_f32_e32 v6, s33, v58
	global_store_dword v[4:5], v6, off
.LBB22_45:                              ;   in Loop: Header=BB22_4 Depth=1
	s_or_b64 exec, exec, s[12:13]
	s_and_b64 s[8:9], s[4:5], s[8:9]
	s_and_saveexec_b64 s[10:11], s[8:9]
	s_cbranch_execz .LBB22_47
; %bb.46:                               ;   in Loop: Header=BB22_4 Depth=1
	v_lshlrev_b64 v[4:5], 2, v[18:19]
	v_add_co_u32_e64 v2, s[8:9], v2, v4
	v_addc_co_u32_e64 v3, s[8:9], v3, v5, s[8:9]
	global_load_dword v4, v[2:3], off
	s_waitcnt vmcnt(0)
	v_fmac_f32_e32 v4, s33, v57
	global_store_dword v[2:3], v4, off
.LBB22_47:                              ;   in Loop: Header=BB22_4 Depth=1
	s_or_b64 exec, exec, s[10:11]
	v_add_u32_e32 v4, 16, v28
	v_ashrrev_i32_e32 v2, 31, v4
	v_mul_lo_u32 v5, s48, v2
	v_mul_lo_u32 v6, s49, v4
	v_mad_u64_u32 v[2:3], s[8:9], s48, v4, 0
	v_cmp_gt_i32_e64 s[8:9], s46, v4
	v_mov_b32_e32 v4, s59
	v_add3_u32 v3, v3, v5, v6
	v_lshlrev_b64 v[2:3], 2, v[2:3]
	v_add_co_u32_e64 v2, s[10:11], s58, v2
	v_addc_co_u32_e64 v3, s[10:11], v4, v3, s[10:11]
	s_and_b64 s[10:11], s[2:3], s[8:9]
	s_and_saveexec_b64 s[12:13], s[10:11]
	s_cbranch_execz .LBB22_49
; %bb.48:                               ;   in Loop: Header=BB22_4 Depth=1
	v_add_co_u32_e64 v4, s[10:11], v2, v24
	v_addc_co_u32_e64 v5, s[10:11], v3, v25, s[10:11]
	global_load_dword v6, v[4:5], off
	s_waitcnt vmcnt(0)
	v_fmac_f32_e32 v6, s33, v56
	global_store_dword v[4:5], v6, off
.LBB22_49:                              ;   in Loop: Header=BB22_4 Depth=1
	s_or_b64 exec, exec, s[12:13]
	s_and_b64 s[8:9], s[4:5], s[8:9]
	s_and_saveexec_b64 s[10:11], s[8:9]
	s_cbranch_execz .LBB22_3
; %bb.50:                               ;   in Loop: Header=BB22_4 Depth=1
	v_lshlrev_b64 v[4:5], 2, v[18:19]
	v_add_co_u32_e64 v2, s[8:9], v2, v4
	v_addc_co_u32_e64 v3, s[8:9], v3, v5, s[8:9]
	global_load_dword v4, v[2:3], off
	s_waitcnt vmcnt(0)
	v_fmac_f32_e32 v4, s33, v55
	global_store_dword v[2:3], v4, off
	s_branch .LBB22_3
.LBB22_51:
	s_endpgm
	.section	.rodata,"a",@progbits
	.p2align	6, 0x0
	.amdhsa_kernel _ZL30rocblas_trmm_outofplace_kernelIfLi32ELi2ELb0ELb1ELb1ELb1EPKfS0_fEv17rocblas_diagonal_iiT6_lPT7_lllS5_lllPT8_llli
		.amdhsa_group_segment_fixed_size 8192
		.amdhsa_private_segment_fixed_size 12
		.amdhsa_kernarg_size 392
		.amdhsa_user_sgpr_count 6
		.amdhsa_user_sgpr_private_segment_buffer 1
		.amdhsa_user_sgpr_dispatch_ptr 0
		.amdhsa_user_sgpr_queue_ptr 0
		.amdhsa_user_sgpr_kernarg_segment_ptr 1
		.amdhsa_user_sgpr_dispatch_id 0
		.amdhsa_user_sgpr_flat_scratch_init 0
		.amdhsa_user_sgpr_private_segment_size 0
		.amdhsa_uses_dynamic_stack 0
		.amdhsa_system_sgpr_private_segment_wavefront_offset 1
		.amdhsa_system_sgpr_workgroup_id_x 1
		.amdhsa_system_sgpr_workgroup_id_y 1
		.amdhsa_system_sgpr_workgroup_id_z 1
		.amdhsa_system_sgpr_workgroup_info 0
		.amdhsa_system_vgpr_workitem_id 1
		.amdhsa_next_free_vgpr 63
		.amdhsa_next_free_sgpr 68
		.amdhsa_reserve_vcc 1
		.amdhsa_reserve_flat_scratch 0
		.amdhsa_float_round_mode_32 0
		.amdhsa_float_round_mode_16_64 0
		.amdhsa_float_denorm_mode_32 3
		.amdhsa_float_denorm_mode_16_64 3
		.amdhsa_dx10_clamp 1
		.amdhsa_ieee_mode 1
		.amdhsa_fp16_overflow 0
		.amdhsa_exception_fp_ieee_invalid_op 0
		.amdhsa_exception_fp_denorm_src 0
		.amdhsa_exception_fp_ieee_div_zero 0
		.amdhsa_exception_fp_ieee_overflow 0
		.amdhsa_exception_fp_ieee_underflow 0
		.amdhsa_exception_fp_ieee_inexact 0
		.amdhsa_exception_int_div_zero 0
	.end_amdhsa_kernel
	.section	.text._ZL30rocblas_trmm_outofplace_kernelIfLi32ELi2ELb0ELb1ELb1ELb1EPKfS0_fEv17rocblas_diagonal_iiT6_lPT7_lllS5_lllPT8_llli,"axG",@progbits,_ZL30rocblas_trmm_outofplace_kernelIfLi32ELi2ELb0ELb1ELb1ELb1EPKfS0_fEv17rocblas_diagonal_iiT6_lPT7_lllS5_lllPT8_llli,comdat
.Lfunc_end22:
	.size	_ZL30rocblas_trmm_outofplace_kernelIfLi32ELi2ELb0ELb1ELb1ELb1EPKfS0_fEv17rocblas_diagonal_iiT6_lPT7_lllS5_lllPT8_llli, .Lfunc_end22-_ZL30rocblas_trmm_outofplace_kernelIfLi32ELi2ELb0ELb1ELb1ELb1EPKfS0_fEv17rocblas_diagonal_iiT6_lPT7_lllS5_lllPT8_llli
                                        ; -- End function
	.set _ZL30rocblas_trmm_outofplace_kernelIfLi32ELi2ELb0ELb1ELb1ELb1EPKfS0_fEv17rocblas_diagonal_iiT6_lPT7_lllS5_lllPT8_llli.num_vgpr, 63
	.set _ZL30rocblas_trmm_outofplace_kernelIfLi32ELi2ELb0ELb1ELb1ELb1EPKfS0_fEv17rocblas_diagonal_iiT6_lPT7_lllS5_lllPT8_llli.num_agpr, 0
	.set _ZL30rocblas_trmm_outofplace_kernelIfLi32ELi2ELb0ELb1ELb1ELb1EPKfS0_fEv17rocblas_diagonal_iiT6_lPT7_lllS5_lllPT8_llli.numbered_sgpr, 68
	.set _ZL30rocblas_trmm_outofplace_kernelIfLi32ELi2ELb0ELb1ELb1ELb1EPKfS0_fEv17rocblas_diagonal_iiT6_lPT7_lllS5_lllPT8_llli.num_named_barrier, 0
	.set _ZL30rocblas_trmm_outofplace_kernelIfLi32ELi2ELb0ELb1ELb1ELb1EPKfS0_fEv17rocblas_diagonal_iiT6_lPT7_lllS5_lllPT8_llli.private_seg_size, 12
	.set _ZL30rocblas_trmm_outofplace_kernelIfLi32ELi2ELb0ELb1ELb1ELb1EPKfS0_fEv17rocblas_diagonal_iiT6_lPT7_lllS5_lllPT8_llli.uses_vcc, 1
	.set _ZL30rocblas_trmm_outofplace_kernelIfLi32ELi2ELb0ELb1ELb1ELb1EPKfS0_fEv17rocblas_diagonal_iiT6_lPT7_lllS5_lllPT8_llli.uses_flat_scratch, 0
	.set _ZL30rocblas_trmm_outofplace_kernelIfLi32ELi2ELb0ELb1ELb1ELb1EPKfS0_fEv17rocblas_diagonal_iiT6_lPT7_lllS5_lllPT8_llli.has_dyn_sized_stack, 0
	.set _ZL30rocblas_trmm_outofplace_kernelIfLi32ELi2ELb0ELb1ELb1ELb1EPKfS0_fEv17rocblas_diagonal_iiT6_lPT7_lllS5_lllPT8_llli.has_recursion, 0
	.set _ZL30rocblas_trmm_outofplace_kernelIfLi32ELi2ELb0ELb1ELb1ELb1EPKfS0_fEv17rocblas_diagonal_iiT6_lPT7_lllS5_lllPT8_llli.has_indirect_call, 0
	.section	.AMDGPU.csdata,"",@progbits
; Kernel info:
; codeLenInByte = 3148
; TotalNumSgprs: 72
; NumVgprs: 63
; ScratchSize: 12
; MemoryBound: 0
; FloatMode: 240
; IeeeMode: 1
; LDSByteSize: 8192 bytes/workgroup (compile time only)
; SGPRBlocks: 8
; VGPRBlocks: 15
; NumSGPRsForWavesPerEU: 72
; NumVGPRsForWavesPerEU: 63
; Occupancy: 4
; WaveLimiterHint : 0
; COMPUTE_PGM_RSRC2:SCRATCH_EN: 1
; COMPUTE_PGM_RSRC2:USER_SGPR: 6
; COMPUTE_PGM_RSRC2:TRAP_HANDLER: 0
; COMPUTE_PGM_RSRC2:TGID_X_EN: 1
; COMPUTE_PGM_RSRC2:TGID_Y_EN: 1
; COMPUTE_PGM_RSRC2:TGID_Z_EN: 1
; COMPUTE_PGM_RSRC2:TIDIG_COMP_CNT: 1
	.section	.text._ZL30rocblas_trmm_outofplace_kernelIfLi32ELi2ELb0ELb1ELb1ELb1EfKffEv17rocblas_diagonal_iiT6_lPT7_lllS4_lllPT8_llli,"axG",@progbits,_ZL30rocblas_trmm_outofplace_kernelIfLi32ELi2ELb0ELb1ELb1ELb1EfKffEv17rocblas_diagonal_iiT6_lPT7_lllS4_lllPT8_llli,comdat
	.globl	_ZL30rocblas_trmm_outofplace_kernelIfLi32ELi2ELb0ELb1ELb1ELb1EfKffEv17rocblas_diagonal_iiT6_lPT7_lllS4_lllPT8_llli ; -- Begin function _ZL30rocblas_trmm_outofplace_kernelIfLi32ELi2ELb0ELb1ELb1ELb1EfKffEv17rocblas_diagonal_iiT6_lPT7_lllS4_lllPT8_llli
	.p2align	8
	.type	_ZL30rocblas_trmm_outofplace_kernelIfLi32ELi2ELb0ELb1ELb1ELb1EfKffEv17rocblas_diagonal_iiT6_lPT7_lllS4_lllPT8_llli,@function
_ZL30rocblas_trmm_outofplace_kernelIfLi32ELi2ELb0ELb1ELb1ELb1EfKffEv17rocblas_diagonal_iiT6_lPT7_lllS4_lllPT8_llli: ; @_ZL30rocblas_trmm_outofplace_kernelIfLi32ELi2ELb0ELb1ELb1ELb1EfKffEv17rocblas_diagonal_iiT6_lPT7_lllS4_lllPT8_llli
; %bb.0:
	s_load_dwordx4 s[28:31], s[4:5], 0x0
	s_mov_b64 s[66:67], s[2:3]
	s_mov_b64 s[64:65], s[0:1]
	s_add_u32 s64, s64, s9
	s_addc_u32 s65, s65, 0
	s_waitcnt lgkmcnt(0)
	v_cmp_eq_f32_e64 s[0:1], s31, 0
	s_and_b64 vcc, exec, s[0:1]
	s_cbranch_vccnz .LBB23_51
; %bb.1:
	s_add_i32 s0, s30, -1
	s_ashr_i32 s1, s0, 31
	s_lshr_b32 s1, s1, 27
	s_add_i32 s0, s0, s1
	s_ashr_i32 s33, s0, 5
	s_cmp_gt_i32 s7, s33
	s_cbranch_scc1 .LBB23_51
; %bb.2:
	s_load_dwordx8 s[20:27], s[4:5], 0x58
	s_load_dwordx16 s[36:51], s[4:5], 0x18
	v_lshl_add_u32 v2, s6, 5, v0
	s_load_dword s6, s[4:5], 0x84
	v_add_u32_e32 v18, 16, v2
	s_waitcnt lgkmcnt(0)
	s_mul_i32 s1, s27, s8
	s_mul_hi_u32 s2, s26, s8
	s_mul_i32 s0, s26, s8
	s_add_i32 s1, s2, s1
	s_lshl_b64 s[0:1], s[0:1], 2
	s_add_u32 s2, s20, s0
	s_addc_u32 s3, s21, s1
	s_lshl_b64 s[0:1], s[22:23], 2
	s_add_u32 s58, s2, s0
	s_addc_u32 s59, s3, s1
	s_cmpk_eq_i32 s28, 0x84
	s_cselect_b64 s[22:23], -1, 0
	s_ashr_i32 s27, s30, 31
	s_ashr_i32 s0, s29, 31
	s_lshl_b64 s[34:35], s[40:41], 7
	s_lshl_b64 s[52:53], s[48:49], 7
	s_add_u32 s54, s30, -16
	s_addc_u32 s55, s27, -1
	s_lshl_b32 s9, s7, 5
	s_lshl_b32 s60, s6, 5
	v_add_u32_e32 v20, s9, v0
	v_add_u32_e32 v22, s9, v1
	s_add_u32 s28, s44, 64
	s_mul_i32 s9, s51, s8
	s_mul_hi_u32 s10, s50, s8
	v_sub_co_u32_e32 v4, vcc, s29, v2
	v_cmp_gt_i32_e64 s[2:3], s29, v2
	v_cmp_gt_i32_e64 s[4:5], s29, v18
	s_addc_u32 s29, s45, 0
	s_add_i32 s11, s10, s9
	s_mul_i32 s10, s50, s8
	v_ashrrev_i32_e32 v3, 31, v2
	s_lshl_b64 s[56:57], s[48:49], 2
	s_lshl_b64 s[10:11], s[10:11], 2
	;; [unrolled: 1-line block ×3, first 2 shown]
	s_add_u32 s9, s10, s12
	v_lshlrev_b64 v[24:25], 2, v[2:3]
	s_addc_u32 s10, s11, s13
	v_lshlrev_b32_e32 v6, 2, v0
	v_mov_b32_e32 v5, s0
	v_mov_b32_e32 v0, s10
	v_add_co_u32_e64 v2, s[10:11], s9, v24
	v_subb_co_u32_e32 v5, vcc, v5, v3, vcc
	v_addc_co_u32_e64 v3, s[10:11], v0, v25, s[10:11]
	s_mul_i32 s9, s43, s8
	s_mul_hi_u32 s10, s42, s8
	s_add_i32 s9, s10, s9
	s_mul_i32 s8, s42, s8
	s_lshl_b64 s[8:9], s[8:9], 2
	s_lshl_b64 s[10:11], s[38:39], 2
	s_add_u32 s8, s8, s10
	s_addc_u32 s9, s9, s11
	v_lshlrev_b32_e32 v50, 7, v1
	v_or_b32_e32 v52, 0x1000, v6
	v_cmp_gt_i64_e32 vcc, 1, v[4:5]
	v_cmp_gt_i64_e64 s[0:1], 17, v[4:5]
	s_add_u32 s36, s36, s8
	s_mov_b32 s26, s30
	v_add_u32_e32 v51, v50, v6
	v_add_u32_e32 v53, v52, v50
	v_ashrrev_i32_e32 v19, 31, v18
	s_addc_u32 s37, s37, s9
	s_lshl_b64 s[38:39], s[40:41], 2
	v_mov_b32_e32 v0, 0
	v_mov_b32_e32 v54, 1.0
	buffer_store_dword v2, off, s[64:67], 0 ; 4-byte Folded Spill
	s_nop 0
	buffer_store_dword v3, off, s[64:67], 0 offset:4 ; 4-byte Folded Spill
	s_branch .LBB23_4
.LBB23_3:                               ;   in Loop: Header=BB23_4 Depth=1
	s_or_b64 exec, exec, s[10:11]
	s_add_i32 s7, s6, s7
	v_add_u32_e32 v20, s60, v20
	s_cmp_le_i32 s7, s33
	v_add_u32_e32 v22, s60, v22
	s_cbranch_scc0 .LBB23_51
.LBB23_4:                               ; =>This Loop Header: Depth=1
                                        ;     Child Loop BB23_7 Depth 2
	s_lshl_b32 s8, s7, 5
	v_add_u32_e32 v28, s8, v1
	s_sub_i32 s61, s30, s8
	v_ashrrev_i32_e32 v21, 31, v20
	v_ashrrev_i32_e32 v23, 31, v22
	;; [unrolled: 1-line block ×3, first 2 shown]
	s_cmp_lt_i32 s61, 1
	v_mov_b32_e32 v58, 0
	v_mov_b32_e32 v57, 0
	;; [unrolled: 1-line block ×4, first 2 shown]
	s_cbranch_scc1 .LBB23_43
; %bb.5:                                ;   in Loop: Header=BB23_4 Depth=1
	buffer_load_dword v48, off, s[64:67], 0 ; 4-byte Folded Reload
	buffer_load_dword v49, off, s[64:67], 0 offset:4 ; 4-byte Folded Reload
	v_mov_b32_e32 v2, s28
	v_sub_co_u32_e64 v30, s[8:9], v22, v20
	v_mov_b32_e32 v3, s29
	v_subb_co_u32_e64 v31, s[8:9], v23, v21, s[8:9]
	v_mad_u64_u32 v[32:33], s[8:9], s56, v22, v[2:3]
	v_lshlrev_b64 v[2:3], 2, v[20:21]
	v_lshlrev_b64 v[34:35], 2, v[22:23]
	v_add_co_u32_e64 v6, s[8:9], 64, v2
	v_addc_co_u32_e64 v2, s[8:9], 0, v3, s[8:9]
	v_mul_lo_u32 v7, s40, v2
	v_mov_b32_e32 v2, s36
	v_mov_b32_e32 v3, s37
	v_mad_u64_u32 v[36:37], s[8:9], s40, v6, v[2:3]
	v_mad_u64_u32 v[38:39], s[8:9], s38, v20, v[2:3]
	v_add_co_u32_e64 v10, s[8:9], 64, v34
	v_addc_co_u32_e64 v2, s[8:9], 0, v35, s[8:9]
	v_mul_lo_u32 v11, s48, v2
	v_mov_b32_e32 v2, s44
	v_mov_b32_e32 v3, s45
	v_mul_lo_u32 v4, s56, v23
	v_mul_lo_u32 v5, s57, v22
	;; [unrolled: 1-line block ×5, first 2 shown]
	v_mad_u64_u32 v[40:41], s[8:9], s48, v10, v[2:3]
	v_mul_lo_u32 v2, s49, v10
	v_add_co_u32_e64 v42, s[8:9], 16, v28
	v_add_co_u32_e64 v44, s[10:11], 16, v30
	v_addc_co_u32_e64 v43, s[8:9], 0, v29, s[8:9]
	v_addc_co_u32_e64 v45, s[10:11], 0, v31, s[10:11]
	v_cmp_le_i64_e64 s[8:9], s[26:27], v[42:43]
	v_add_co_u32_e64 v46, s[10:11], -16, v30
	v_add3_u32 v33, v5, v33, v4
	v_add3_u32 v37, v8, v37, v7
	;; [unrolled: 1-line block ×4, first 2 shown]
	v_cmp_le_i32_e64 s[16:17], s30, v28
	v_addc_co_u32_e64 v47, s[10:11], -1, v31, s[10:11]
	v_mov_b32_e32 v55, 0
	s_mov_b64 s[42:43], 0
	v_mov_b32_e32 v56, 0
	v_mov_b32_e32 v57, 0
	;; [unrolled: 1-line block ×3, first 2 shown]
	s_branch .LBB23_7
.LBB23_6:                               ;   in Loop: Header=BB23_7 Depth=2
	s_or_b64 exec, exec, s[10:11]
	s_waitcnt lgkmcnt(0)
	s_barrier
	ds_read_b128 v[14:17], v50
	ds_read_b128 v[10:13], v50 offset:16
	ds_read_b128 v[6:9], v50 offset:32
	;; [unrolled: 1-line block ×3, first 2 shown]
	ds_read2_b32 v[26:27], v52 offset1:16
	ds_read_b128 v[59:62], v50 offset:2048
	v_add_co_u32_e64 v48, s[10:11], s52, v48
	s_add_u32 s42, s42, 32
	s_waitcnt lgkmcnt(1)
	v_fmac_f32_e32 v58, v26, v14
	v_fmac_f32_e32 v57, v27, v14
	s_waitcnt lgkmcnt(0)
	v_fmac_f32_e32 v56, v26, v59
	v_fmac_f32_e32 v55, v27, v59
	ds_read2_b32 v[26:27], v52 offset0:32 offset1:48
	s_addc_u32 s43, s43, 0
	s_cmp_ge_i32 s42, s61
	s_waitcnt lgkmcnt(0)
	v_fmac_f32_e32 v58, v26, v15
	v_fmac_f32_e32 v57, v27, v15
	ds_read2_b32 v[14:15], v52 offset0:64 offset1:80
	v_fmac_f32_e32 v56, v26, v60
	v_fmac_f32_e32 v55, v27, v60
	ds_read2_b32 v[26:27], v52 offset0:128 offset1:144
	s_waitcnt lgkmcnt(1)
	v_fmac_f32_e32 v58, v14, v16
	v_fmac_f32_e32 v57, v15, v16
	;; [unrolled: 1-line block ×4, first 2 shown]
	ds_read2_b32 v[14:15], v52 offset0:96 offset1:112
	s_waitcnt lgkmcnt(0)
	v_fmac_f32_e32 v58, v14, v17
	v_fmac_f32_e32 v57, v15, v17
	;; [unrolled: 1-line block ×4, first 2 shown]
	ds_read_b128 v[14:17], v50 offset:2064
	v_fmac_f32_e32 v58, v26, v10
	v_fmac_f32_e32 v57, v27, v10
	s_waitcnt lgkmcnt(0)
	v_fmac_f32_e32 v56, v26, v14
	v_fmac_f32_e32 v55, v27, v14
	ds_read2_b32 v[26:27], v52 offset0:160 offset1:176
	s_waitcnt lgkmcnt(0)
	v_fmac_f32_e32 v58, v26, v11
	v_fmac_f32_e32 v57, v27, v11
	ds_read2_b32 v[10:11], v52 offset0:192 offset1:208
	v_fmac_f32_e32 v56, v26, v15
	v_fmac_f32_e32 v55, v27, v15
	s_waitcnt lgkmcnt(0)
	v_fmac_f32_e32 v58, v10, v12
	v_fmac_f32_e32 v57, v11, v12
	v_fmac_f32_e32 v56, v10, v16
	v_fmac_f32_e32 v55, v11, v16
	ds_read2_b32 v[10:11], v52 offset0:224 offset1:240
	s_waitcnt lgkmcnt(0)
	v_fmac_f32_e32 v58, v10, v13
	v_fmac_f32_e32 v56, v10, v17
	v_add_u32_e32 v10, 0x400, v52
	v_fmac_f32_e32 v57, v11, v13
	v_fmac_f32_e32 v55, v11, v17
	ds_read2_b32 v[15:16], v10 offset1:16
	ds_read_b128 v[11:14], v50 offset:2080
	s_waitcnt lgkmcnt(1)
	v_fmac_f32_e32 v58, v15, v6
	v_fmac_f32_e32 v57, v16, v6
	s_waitcnt lgkmcnt(0)
	v_fmac_f32_e32 v56, v15, v11
	v_fmac_f32_e32 v55, v16, v11
	ds_read2_b32 v[15:16], v10 offset0:32 offset1:48
	s_waitcnt lgkmcnt(0)
	v_fmac_f32_e32 v58, v15, v7
	v_fmac_f32_e32 v57, v16, v7
	ds_read2_b32 v[6:7], v10 offset0:64 offset1:80
	v_fmac_f32_e32 v56, v15, v12
	v_fmac_f32_e32 v55, v16, v12
	ds_read2_b32 v[11:12], v10 offset0:128 offset1:144
	s_waitcnt lgkmcnt(1)
	v_fmac_f32_e32 v58, v6, v8
	v_fmac_f32_e32 v57, v7, v8
	;; [unrolled: 1-line block ×4, first 2 shown]
	ds_read2_b32 v[6:7], v10 offset0:96 offset1:112
	s_waitcnt lgkmcnt(0)
	v_fmac_f32_e32 v58, v6, v9
	v_fmac_f32_e32 v57, v7, v9
	;; [unrolled: 1-line block ×4, first 2 shown]
	ds_read_b128 v[6:9], v50 offset:2096
	v_fmac_f32_e32 v58, v11, v2
	v_fmac_f32_e32 v57, v12, v2
	s_waitcnt lgkmcnt(0)
	v_fmac_f32_e32 v56, v11, v6
	v_fmac_f32_e32 v55, v12, v6
	ds_read2_b32 v[11:12], v10 offset0:160 offset1:176
	s_waitcnt lgkmcnt(0)
	v_fmac_f32_e32 v58, v11, v3
	v_fmac_f32_e32 v57, v12, v3
	ds_read2_b32 v[2:3], v10 offset0:192 offset1:208
	v_fmac_f32_e32 v56, v11, v7
	v_fmac_f32_e32 v55, v12, v7
	s_waitcnt lgkmcnt(0)
	v_fmac_f32_e32 v58, v2, v4
	v_fmac_f32_e32 v57, v3, v4
	v_fmac_f32_e32 v56, v2, v8
	v_fmac_f32_e32 v55, v3, v8
	ds_read2_b32 v[2:3], v10 offset0:224 offset1:240
	v_add_u32_e32 v10, 0x800, v52
	ds_read2_b32 v[11:12], v10 offset1:16
	s_waitcnt lgkmcnt(1)
	v_fmac_f32_e32 v58, v2, v5
	v_fmac_f32_e32 v57, v3, v5
	;; [unrolled: 1-line block ×4, first 2 shown]
	ds_read_b128 v[2:5], v50 offset:64
	ds_read_b128 v[6:9], v50 offset:2112
	s_waitcnt lgkmcnt(1)
	v_fmac_f32_e32 v58, v11, v2
	v_fmac_f32_e32 v57, v12, v2
	s_waitcnt lgkmcnt(0)
	v_fmac_f32_e32 v56, v11, v6
	v_fmac_f32_e32 v55, v12, v6
	ds_read2_b32 v[11:12], v10 offset0:32 offset1:48
	s_waitcnt lgkmcnt(0)
	v_fmac_f32_e32 v58, v11, v3
	v_fmac_f32_e32 v57, v12, v3
	ds_read2_b32 v[2:3], v10 offset0:64 offset1:80
	v_fmac_f32_e32 v56, v11, v7
	v_fmac_f32_e32 v55, v12, v7
	s_waitcnt lgkmcnt(0)
	v_fmac_f32_e32 v58, v2, v4
	v_fmac_f32_e32 v57, v3, v4
	v_fmac_f32_e32 v56, v2, v8
	v_fmac_f32_e32 v55, v3, v8
	ds_read2_b32 v[2:3], v10 offset0:96 offset1:112
	s_waitcnt lgkmcnt(0)
	v_fmac_f32_e32 v58, v2, v5
	v_fmac_f32_e32 v57, v3, v5
	v_fmac_f32_e32 v56, v2, v9
	v_fmac_f32_e32 v55, v3, v9
	ds_read_b128 v[2:5], v50 offset:80
	ds_read2_b32 v[11:12], v10 offset0:128 offset1:144
	ds_read_b128 v[6:9], v50 offset:2128
	s_waitcnt lgkmcnt(1)
	v_fmac_f32_e32 v58, v11, v2
	v_fmac_f32_e32 v57, v12, v2
	s_waitcnt lgkmcnt(0)
	v_fmac_f32_e32 v56, v11, v6
	v_fmac_f32_e32 v55, v12, v6
	ds_read2_b32 v[11:12], v10 offset0:160 offset1:176
	s_waitcnt lgkmcnt(0)
	v_fmac_f32_e32 v58, v11, v3
	v_fmac_f32_e32 v57, v12, v3
	ds_read2_b32 v[2:3], v10 offset0:192 offset1:208
	v_fmac_f32_e32 v56, v11, v7
	v_fmac_f32_e32 v55, v12, v7
	s_waitcnt lgkmcnt(0)
	v_fmac_f32_e32 v58, v2, v4
	v_fmac_f32_e32 v57, v3, v4
	v_fmac_f32_e32 v56, v2, v8
	v_fmac_f32_e32 v55, v3, v8
	ds_read2_b32 v[2:3], v10 offset0:224 offset1:240
	v_add_u32_e32 v10, 0xc00, v52
	ds_read2_b32 v[11:12], v10 offset1:16
	s_waitcnt lgkmcnt(1)
	v_fmac_f32_e32 v58, v2, v5
	v_fmac_f32_e32 v57, v3, v5
	;; [unrolled: 1-line block ×4, first 2 shown]
	ds_read_b128 v[2:5], v50 offset:96
	ds_read_b128 v[6:9], v50 offset:2144
	s_waitcnt lgkmcnt(1)
	v_fmac_f32_e32 v58, v11, v2
	v_fmac_f32_e32 v57, v12, v2
	s_waitcnt lgkmcnt(0)
	v_fmac_f32_e32 v56, v11, v6
	v_fmac_f32_e32 v55, v12, v6
	ds_read2_b32 v[11:12], v10 offset0:32 offset1:48
	s_waitcnt lgkmcnt(0)
	v_fmac_f32_e32 v58, v11, v3
	v_fmac_f32_e32 v57, v12, v3
	ds_read2_b32 v[2:3], v10 offset0:64 offset1:80
	v_fmac_f32_e32 v56, v11, v7
	v_fmac_f32_e32 v55, v12, v7
	s_waitcnt lgkmcnt(0)
	v_fmac_f32_e32 v58, v2, v4
	v_fmac_f32_e32 v57, v3, v4
	;; [unrolled: 1-line block ×4, first 2 shown]
	ds_read2_b32 v[2:3], v10 offset0:96 offset1:112
	s_waitcnt lgkmcnt(0)
	v_fmac_f32_e32 v58, v2, v5
	v_fmac_f32_e32 v57, v3, v5
	;; [unrolled: 1-line block ×4, first 2 shown]
	ds_read_b128 v[2:5], v50 offset:112
	ds_read2_b32 v[11:12], v10 offset0:128 offset1:144
	ds_read_b128 v[6:9], v50 offset:2160
	s_waitcnt lgkmcnt(1)
	v_fmac_f32_e32 v58, v11, v2
	v_fmac_f32_e32 v57, v12, v2
	s_waitcnt lgkmcnt(0)
	v_fmac_f32_e32 v56, v11, v6
	v_fmac_f32_e32 v55, v12, v6
	ds_read2_b32 v[11:12], v10 offset0:160 offset1:176
	s_waitcnt lgkmcnt(0)
	v_fmac_f32_e32 v58, v11, v3
	v_fmac_f32_e32 v57, v12, v3
	ds_read2_b32 v[2:3], v10 offset0:192 offset1:208
	v_fmac_f32_e32 v56, v11, v7
	v_fmac_f32_e32 v55, v12, v7
	s_waitcnt lgkmcnt(0)
	v_fmac_f32_e32 v58, v2, v4
	v_fmac_f32_e32 v57, v3, v4
	;; [unrolled: 1-line block ×4, first 2 shown]
	ds_read2_b32 v[2:3], v10 offset0:224 offset1:240
	s_waitcnt lgkmcnt(0)
	s_barrier
	v_fmac_f32_e32 v58, v2, v5
	v_fmac_f32_e32 v56, v2, v9
	v_mov_b32_e32 v2, s53
	v_addc_co_u32_e64 v49, s[10:11], v49, v2, s[10:11]
	v_add_co_u32_e64 v36, s[10:11], s34, v36
	v_mov_b32_e32 v2, s35
	v_addc_co_u32_e64 v37, s[10:11], v37, v2, s[10:11]
	v_add_co_u32_e64 v38, s[10:11], s34, v38
	v_fmac_f32_e32 v57, v3, v5
	v_fmac_f32_e32 v55, v3, v9
	v_addc_co_u32_e64 v39, s[10:11], v39, v2, s[10:11]
	s_cbranch_scc1 .LBB23_43
.LBB23_7:                               ;   Parent Loop BB23_4 Depth=1
                                        ; =>  This Inner Loop Header: Depth=2
	v_mov_b32_e32 v2, s43
	v_add_co_u32_e64 v4, s[10:11], s42, v20
	v_addc_co_u32_e64 v5, s[10:11], v21, v2, s[10:11]
	v_cmp_eq_u64_e64 s[10:11], s[42:43], v[30:31]
	v_add_co_u32_e64 v2, s[12:13], v38, v34
	v_addc_co_u32_e64 v3, s[12:13], v39, v35, s[12:13]
	s_and_b64 s[46:47], s[22:23], s[10:11]
	v_cmp_lt_i64_e64 s[10:11], v[4:5], v[28:29]
	v_cmp_le_i64_e64 s[12:13], s[26:27], v[4:5]
	s_or_b64 s[14:15], s[16:17], s[10:11]
	s_or_b64 s[14:15], s[12:13], s[14:15]
	s_nor_b64 s[14:15], s[14:15], s[46:47]
                                        ; implicit-def: $vgpr6
	s_and_saveexec_b64 s[18:19], s[14:15]
	s_xor_b64 s[14:15], exec, s[18:19]
	s_cbranch_execz .LBB23_9
; %bb.8:                                ;   in Loop: Header=BB23_7 Depth=2
	global_load_dword v6, v[2:3], off
.LBB23_9:                               ;   in Loop: Header=BB23_7 Depth=2
	s_andn2_saveexec_b64 s[14:15], s[14:15]
	s_cbranch_execz .LBB23_11
; %bb.10:                               ;   in Loop: Header=BB23_7 Depth=2
	s_waitcnt vmcnt(0)
	v_cndmask_b32_e64 v6, 0, 1.0, s[46:47]
.LBB23_11:                              ;   in Loop: Header=BB23_7 Depth=2
	s_or_b64 exec, exec, s[14:15]
	s_waitcnt vmcnt(0)
	ds_write_b32 v51, v6
	v_add_co_u32_e64 v6, s[18:19], 16, v4
	v_cmp_eq_u64_e64 s[14:15], s[42:43], v[46:47]
	v_addc_co_u32_e64 v7, s[18:19], 0, v5, s[18:19]
	v_cmp_lt_i64_e64 s[18:19], v[6:7], v[28:29]
	s_and_b64 s[20:21], s[22:23], s[14:15]
	v_cmp_le_i64_e64 s[14:15], s[26:27], v[6:7]
	s_or_b64 s[18:19], s[16:17], s[18:19]
	s_or_b64 s[18:19], s[14:15], s[18:19]
	s_nor_b64 s[18:19], s[18:19], s[20:21]
	s_and_saveexec_b64 s[50:51], s[18:19]
	s_xor_b64 s[50:51], exec, s[50:51]
	s_cbranch_execz .LBB23_13
; %bb.12:                               ;   in Loop: Header=BB23_7 Depth=2
	v_add_co_u32_e64 v6, s[18:19], v36, v34
	v_addc_co_u32_e64 v7, s[18:19], v37, v35, s[18:19]
	global_load_dword v6, v[6:7], off
	s_waitcnt vmcnt(0)
	ds_write_b32 v51, v6 offset:64
.LBB23_13:                              ;   in Loop: Header=BB23_7 Depth=2
	s_andn2_saveexec_b64 s[18:19], s[50:51]
	s_cbranch_execz .LBB23_19
; %bb.14:                               ;   in Loop: Header=BB23_7 Depth=2
	s_xor_b64 s[20:21], s[20:21], -1
	s_and_saveexec_b64 s[50:51], s[20:21]
	s_xor_b64 s[20:21], exec, s[50:51]
; %bb.15:                               ;   in Loop: Header=BB23_7 Depth=2
	ds_write_b32 v51, v0 offset:64
; %bb.16:                               ;   in Loop: Header=BB23_7 Depth=2
	s_andn2_saveexec_b64 s[20:21], s[20:21]
; %bb.17:                               ;   in Loop: Header=BB23_7 Depth=2
	ds_write_b32 v51, v54 offset:64
; %bb.18:                               ;   in Loop: Header=BB23_7 Depth=2
	s_or_b64 exec, exec, s[20:21]
.LBB23_19:                              ;   in Loop: Header=BB23_7 Depth=2
	s_or_b64 exec, exec, s[18:19]
	v_cmp_eq_u64_e64 s[18:19], s[42:43], v[44:45]
	v_cmp_lt_i64_e64 s[20:21], v[4:5], v[42:43]
	s_and_b64 s[18:19], s[22:23], s[18:19]
	s_or_b64 s[20:21], s[8:9], s[20:21]
	s_or_b64 s[20:21], s[20:21], s[18:19]
	s_nor_b64 s[12:13], s[12:13], s[20:21]
                                        ; implicit-def: $vgpr4
	s_and_saveexec_b64 s[20:21], s[12:13]
	s_xor_b64 s[12:13], exec, s[20:21]
	s_cbranch_execz .LBB23_21
; %bb.20:                               ;   in Loop: Header=BB23_7 Depth=2
	global_load_dword v4, v[2:3], off offset:64
.LBB23_21:                              ;   in Loop: Header=BB23_7 Depth=2
	s_andn2_saveexec_b64 s[12:13], s[12:13]
	s_cbranch_execz .LBB23_23
; %bb.22:                               ;   in Loop: Header=BB23_7 Depth=2
	s_waitcnt vmcnt(0)
	v_cndmask_b32_e64 v4, 0, 1.0, s[18:19]
.LBB23_23:                              ;   in Loop: Header=BB23_7 Depth=2
	s_or_b64 exec, exec, s[12:13]
	s_or_b64 s[10:11], s[8:9], s[10:11]
	s_or_b64 s[10:11], s[14:15], s[10:11]
	s_nor_b64 s[10:11], s[10:11], s[46:47]
	s_waitcnt vmcnt(0)
	ds_write_b32 v51, v4 offset:2048
	s_and_saveexec_b64 s[12:13], s[10:11]
	s_xor_b64 s[12:13], exec, s[12:13]
	s_cbranch_execz .LBB23_25
; %bb.24:                               ;   in Loop: Header=BB23_7 Depth=2
	v_add_co_u32_e64 v2, s[10:11], v36, v34
	v_addc_co_u32_e64 v3, s[10:11], v37, v35, s[10:11]
	global_load_dword v2, v[2:3], off offset:64
	s_waitcnt vmcnt(0)
	ds_write_b32 v51, v2 offset:2112
.LBB23_25:                              ;   in Loop: Header=BB23_7 Depth=2
	s_andn2_saveexec_b64 s[10:11], s[12:13]
	s_cbranch_execz .LBB23_31
; %bb.26:                               ;   in Loop: Header=BB23_7 Depth=2
	s_xor_b64 s[12:13], s[46:47], -1
	s_and_saveexec_b64 s[14:15], s[12:13]
	s_xor_b64 s[12:13], exec, s[14:15]
; %bb.27:                               ;   in Loop: Header=BB23_7 Depth=2
	ds_write_b32 v51, v0 offset:2112
; %bb.28:                               ;   in Loop: Header=BB23_7 Depth=2
	s_andn2_saveexec_b64 s[12:13], s[12:13]
; %bb.29:                               ;   in Loop: Header=BB23_7 Depth=2
	ds_write_b32 v51, v54 offset:2112
; %bb.30:                               ;   in Loop: Header=BB23_7 Depth=2
	s_or_b64 exec, exec, s[12:13]
.LBB23_31:                              ;   in Loop: Header=BB23_7 Depth=2
	s_or_b64 exec, exec, s[10:11]
	v_mov_b32_e32 v3, s43
	v_add_co_u32_e64 v2, s[10:11], s42, v22
	v_addc_co_u32_e64 v3, s[10:11], v23, v3, s[10:11]
	v_cmp_le_i64_e64 s[10:11], s[26:27], v[2:3]
	v_add_co_u32_e64 v4, s[12:13], v32, v48
	v_addc_co_u32_e64 v5, s[12:13], v33, v49, s[12:13]
	s_nor_b64 s[14:15], s[10:11], vcc
	v_mov_b32_e32 v6, 0
	s_and_saveexec_b64 s[12:13], s[14:15]
	s_cbranch_execz .LBB23_33
; %bb.32:                               ;   in Loop: Header=BB23_7 Depth=2
	global_load_dword v6, v[4:5], off offset:-64
.LBB23_33:                              ;   in Loop: Header=BB23_7 Depth=2
	s_or_b64 exec, exec, s[12:13]
	s_nor_b64 s[10:11], s[10:11], s[0:1]
	s_waitcnt vmcnt(0)
	ds_write_b32 v53, v6
	s_and_saveexec_b64 s[12:13], s[10:11]
	s_xor_b64 s[10:11], exec, s[12:13]
	s_cbranch_execz .LBB23_35
; %bb.34:                               ;   in Loop: Header=BB23_7 Depth=2
	global_load_dword v4, v[4:5], off
	s_waitcnt vmcnt(0)
	ds_write_b32 v53, v4 offset:64
.LBB23_35:                              ;   in Loop: Header=BB23_7 Depth=2
	s_andn2_saveexec_b64 s[10:11], s[10:11]
; %bb.36:                               ;   in Loop: Header=BB23_7 Depth=2
	ds_write_b32 v53, v0 offset:64
; %bb.37:                               ;   in Loop: Header=BB23_7 Depth=2
	s_or_b64 exec, exec, s[10:11]
	v_cmp_le_i64_e64 s[10:11], s[54:55], v[2:3]
	v_add_co_u32_e64 v2, s[12:13], v40, v48
	v_addc_co_u32_e64 v3, s[12:13], v41, v49, s[12:13]
	s_nor_b64 s[14:15], s[10:11], vcc
	v_mov_b32_e32 v4, 0
	s_and_saveexec_b64 s[12:13], s[14:15]
	s_cbranch_execz .LBB23_39
; %bb.38:                               ;   in Loop: Header=BB23_7 Depth=2
	global_load_dword v4, v[2:3], off
.LBB23_39:                              ;   in Loop: Header=BB23_7 Depth=2
	s_or_b64 exec, exec, s[12:13]
	s_nor_b64 s[10:11], s[10:11], s[0:1]
	s_waitcnt vmcnt(0)
	ds_write_b32 v53, v4 offset:2048
	s_and_saveexec_b64 s[12:13], s[10:11]
	s_xor_b64 s[10:11], exec, s[12:13]
	s_cbranch_execz .LBB23_41
; %bb.40:                               ;   in Loop: Header=BB23_7 Depth=2
	global_load_dword v2, v[2:3], off offset:64
	s_waitcnt vmcnt(0)
	ds_write_b32 v53, v2 offset:2112
.LBB23_41:                              ;   in Loop: Header=BB23_7 Depth=2
	s_andn2_saveexec_b64 s[10:11], s[10:11]
	s_cbranch_execz .LBB23_6
; %bb.42:                               ;   in Loop: Header=BB23_7 Depth=2
	ds_write_b32 v53, v0 offset:2112
	s_branch .LBB23_6
.LBB23_43:                              ;   in Loop: Header=BB23_4 Depth=1
	v_mul_lo_u32 v4, s25, v28
	v_mul_lo_u32 v5, s24, v29
	v_mad_u64_u32 v[2:3], s[8:9], s24, v28, 0
	v_cmp_gt_i32_e64 s[8:9], s30, v28
	v_add3_u32 v3, v3, v5, v4
	v_lshlrev_b64 v[2:3], 2, v[2:3]
	v_mov_b32_e32 v4, s59
	v_add_co_u32_e64 v2, s[10:11], s58, v2
	v_addc_co_u32_e64 v3, s[10:11], v4, v3, s[10:11]
	s_and_b64 s[10:11], s[2:3], s[8:9]
	s_and_saveexec_b64 s[12:13], s[10:11]
	s_cbranch_execz .LBB23_45
; %bb.44:                               ;   in Loop: Header=BB23_4 Depth=1
	v_add_co_u32_e64 v4, s[10:11], v2, v24
	v_addc_co_u32_e64 v5, s[10:11], v3, v25, s[10:11]
	global_load_dword v6, v[4:5], off
	s_waitcnt vmcnt(0)
	v_fmac_f32_e32 v6, s31, v58
	global_store_dword v[4:5], v6, off
.LBB23_45:                              ;   in Loop: Header=BB23_4 Depth=1
	s_or_b64 exec, exec, s[12:13]
	s_and_b64 s[8:9], s[4:5], s[8:9]
	s_and_saveexec_b64 s[10:11], s[8:9]
	s_cbranch_execz .LBB23_47
; %bb.46:                               ;   in Loop: Header=BB23_4 Depth=1
	v_lshlrev_b64 v[4:5], 2, v[18:19]
	v_add_co_u32_e64 v2, s[8:9], v2, v4
	v_addc_co_u32_e64 v3, s[8:9], v3, v5, s[8:9]
	global_load_dword v4, v[2:3], off
	s_waitcnt vmcnt(0)
	v_fmac_f32_e32 v4, s31, v57
	global_store_dword v[2:3], v4, off
.LBB23_47:                              ;   in Loop: Header=BB23_4 Depth=1
	s_or_b64 exec, exec, s[10:11]
	v_add_u32_e32 v4, 16, v28
	v_ashrrev_i32_e32 v2, 31, v4
	v_mul_lo_u32 v5, s24, v2
	v_mul_lo_u32 v6, s25, v4
	v_mad_u64_u32 v[2:3], s[8:9], s24, v4, 0
	v_cmp_gt_i32_e64 s[8:9], s30, v4
	v_mov_b32_e32 v4, s59
	v_add3_u32 v3, v3, v5, v6
	v_lshlrev_b64 v[2:3], 2, v[2:3]
	v_add_co_u32_e64 v2, s[10:11], s58, v2
	v_addc_co_u32_e64 v3, s[10:11], v4, v3, s[10:11]
	s_and_b64 s[10:11], s[2:3], s[8:9]
	s_and_saveexec_b64 s[12:13], s[10:11]
	s_cbranch_execz .LBB23_49
; %bb.48:                               ;   in Loop: Header=BB23_4 Depth=1
	v_add_co_u32_e64 v4, s[10:11], v2, v24
	v_addc_co_u32_e64 v5, s[10:11], v3, v25, s[10:11]
	global_load_dword v6, v[4:5], off
	s_waitcnt vmcnt(0)
	v_fmac_f32_e32 v6, s31, v56
	global_store_dword v[4:5], v6, off
.LBB23_49:                              ;   in Loop: Header=BB23_4 Depth=1
	s_or_b64 exec, exec, s[12:13]
	s_and_b64 s[8:9], s[4:5], s[8:9]
	s_and_saveexec_b64 s[10:11], s[8:9]
	s_cbranch_execz .LBB23_3
; %bb.50:                               ;   in Loop: Header=BB23_4 Depth=1
	v_lshlrev_b64 v[4:5], 2, v[18:19]
	v_add_co_u32_e64 v2, s[8:9], v2, v4
	v_addc_co_u32_e64 v3, s[8:9], v3, v5, s[8:9]
	global_load_dword v4, v[2:3], off
	s_waitcnt vmcnt(0)
	v_fmac_f32_e32 v4, s31, v55
	global_store_dword v[2:3], v4, off
	s_branch .LBB23_3
.LBB23_51:
	s_endpgm
	.section	.rodata,"a",@progbits
	.p2align	6, 0x0
	.amdhsa_kernel _ZL30rocblas_trmm_outofplace_kernelIfLi32ELi2ELb0ELb1ELb1ELb1EfKffEv17rocblas_diagonal_iiT6_lPT7_lllS4_lllPT8_llli
		.amdhsa_group_segment_fixed_size 8192
		.amdhsa_private_segment_fixed_size 12
		.amdhsa_kernarg_size 384
		.amdhsa_user_sgpr_count 6
		.amdhsa_user_sgpr_private_segment_buffer 1
		.amdhsa_user_sgpr_dispatch_ptr 0
		.amdhsa_user_sgpr_queue_ptr 0
		.amdhsa_user_sgpr_kernarg_segment_ptr 1
		.amdhsa_user_sgpr_dispatch_id 0
		.amdhsa_user_sgpr_flat_scratch_init 0
		.amdhsa_user_sgpr_private_segment_size 0
		.amdhsa_uses_dynamic_stack 0
		.amdhsa_system_sgpr_private_segment_wavefront_offset 1
		.amdhsa_system_sgpr_workgroup_id_x 1
		.amdhsa_system_sgpr_workgroup_id_y 1
		.amdhsa_system_sgpr_workgroup_id_z 1
		.amdhsa_system_sgpr_workgroup_info 0
		.amdhsa_system_vgpr_workitem_id 1
		.amdhsa_next_free_vgpr 63
		.amdhsa_next_free_sgpr 68
		.amdhsa_reserve_vcc 1
		.amdhsa_reserve_flat_scratch 0
		.amdhsa_float_round_mode_32 0
		.amdhsa_float_round_mode_16_64 0
		.amdhsa_float_denorm_mode_32 3
		.amdhsa_float_denorm_mode_16_64 3
		.amdhsa_dx10_clamp 1
		.amdhsa_ieee_mode 1
		.amdhsa_fp16_overflow 0
		.amdhsa_exception_fp_ieee_invalid_op 0
		.amdhsa_exception_fp_denorm_src 0
		.amdhsa_exception_fp_ieee_div_zero 0
		.amdhsa_exception_fp_ieee_overflow 0
		.amdhsa_exception_fp_ieee_underflow 0
		.amdhsa_exception_fp_ieee_inexact 0
		.amdhsa_exception_int_div_zero 0
	.end_amdhsa_kernel
	.section	.text._ZL30rocblas_trmm_outofplace_kernelIfLi32ELi2ELb0ELb1ELb1ELb1EfKffEv17rocblas_diagonal_iiT6_lPT7_lllS4_lllPT8_llli,"axG",@progbits,_ZL30rocblas_trmm_outofplace_kernelIfLi32ELi2ELb0ELb1ELb1ELb1EfKffEv17rocblas_diagonal_iiT6_lPT7_lllS4_lllPT8_llli,comdat
.Lfunc_end23:
	.size	_ZL30rocblas_trmm_outofplace_kernelIfLi32ELi2ELb0ELb1ELb1ELb1EfKffEv17rocblas_diagonal_iiT6_lPT7_lllS4_lllPT8_llli, .Lfunc_end23-_ZL30rocblas_trmm_outofplace_kernelIfLi32ELi2ELb0ELb1ELb1ELb1EfKffEv17rocblas_diagonal_iiT6_lPT7_lllS4_lllPT8_llli
                                        ; -- End function
	.set _ZL30rocblas_trmm_outofplace_kernelIfLi32ELi2ELb0ELb1ELb1ELb1EfKffEv17rocblas_diagonal_iiT6_lPT7_lllS4_lllPT8_llli.num_vgpr, 63
	.set _ZL30rocblas_trmm_outofplace_kernelIfLi32ELi2ELb0ELb1ELb1ELb1EfKffEv17rocblas_diagonal_iiT6_lPT7_lllS4_lllPT8_llli.num_agpr, 0
	.set _ZL30rocblas_trmm_outofplace_kernelIfLi32ELi2ELb0ELb1ELb1ELb1EfKffEv17rocblas_diagonal_iiT6_lPT7_lllS4_lllPT8_llli.numbered_sgpr, 68
	.set _ZL30rocblas_trmm_outofplace_kernelIfLi32ELi2ELb0ELb1ELb1ELb1EfKffEv17rocblas_diagonal_iiT6_lPT7_lllS4_lllPT8_llli.num_named_barrier, 0
	.set _ZL30rocblas_trmm_outofplace_kernelIfLi32ELi2ELb0ELb1ELb1ELb1EfKffEv17rocblas_diagonal_iiT6_lPT7_lllS4_lllPT8_llli.private_seg_size, 12
	.set _ZL30rocblas_trmm_outofplace_kernelIfLi32ELi2ELb0ELb1ELb1ELb1EfKffEv17rocblas_diagonal_iiT6_lPT7_lllS4_lllPT8_llli.uses_vcc, 1
	.set _ZL30rocblas_trmm_outofplace_kernelIfLi32ELi2ELb0ELb1ELb1ELb1EfKffEv17rocblas_diagonal_iiT6_lPT7_lllS4_lllPT8_llli.uses_flat_scratch, 0
	.set _ZL30rocblas_trmm_outofplace_kernelIfLi32ELi2ELb0ELb1ELb1ELb1EfKffEv17rocblas_diagonal_iiT6_lPT7_lllS4_lllPT8_llli.has_dyn_sized_stack, 0
	.set _ZL30rocblas_trmm_outofplace_kernelIfLi32ELi2ELb0ELb1ELb1ELb1EfKffEv17rocblas_diagonal_iiT6_lPT7_lllS4_lllPT8_llli.has_recursion, 0
	.set _ZL30rocblas_trmm_outofplace_kernelIfLi32ELi2ELb0ELb1ELb1ELb1EfKffEv17rocblas_diagonal_iiT6_lPT7_lllS4_lllPT8_llli.has_indirect_call, 0
	.section	.AMDGPU.csdata,"",@progbits
; Kernel info:
; codeLenInByte = 3100
; TotalNumSgprs: 72
; NumVgprs: 63
; ScratchSize: 12
; MemoryBound: 0
; FloatMode: 240
; IeeeMode: 1
; LDSByteSize: 8192 bytes/workgroup (compile time only)
; SGPRBlocks: 8
; VGPRBlocks: 15
; NumSGPRsForWavesPerEU: 72
; NumVGPRsForWavesPerEU: 63
; Occupancy: 4
; WaveLimiterHint : 0
; COMPUTE_PGM_RSRC2:SCRATCH_EN: 1
; COMPUTE_PGM_RSRC2:USER_SGPR: 6
; COMPUTE_PGM_RSRC2:TRAP_HANDLER: 0
; COMPUTE_PGM_RSRC2:TGID_X_EN: 1
; COMPUTE_PGM_RSRC2:TGID_Y_EN: 1
; COMPUTE_PGM_RSRC2:TGID_Z_EN: 1
; COMPUTE_PGM_RSRC2:TIDIG_COMP_CNT: 1
	.section	.text._ZL23rocblas_trmm_lNx_kernelILi32EfPKfS0_fEv13rocblas_fill_17rocblas_diagonal_iiT1_lPT2_llS6_llPT3_lli,"axG",@progbits,_ZL23rocblas_trmm_lNx_kernelILi32EfPKfS0_fEv13rocblas_fill_17rocblas_diagonal_iiT1_lPT2_llS6_llPT3_lli,comdat
	.globl	_ZL23rocblas_trmm_lNx_kernelILi32EfPKfS0_fEv13rocblas_fill_17rocblas_diagonal_iiT1_lPT2_llS6_llPT3_lli ; -- Begin function _ZL23rocblas_trmm_lNx_kernelILi32EfPKfS0_fEv13rocblas_fill_17rocblas_diagonal_iiT1_lPT2_llS6_llPT3_lli
	.p2align	8
	.type	_ZL23rocblas_trmm_lNx_kernelILi32EfPKfS0_fEv13rocblas_fill_17rocblas_diagonal_iiT1_lPT2_llS6_llPT3_lli,@function
_ZL23rocblas_trmm_lNx_kernelILi32EfPKfS0_fEv13rocblas_fill_17rocblas_diagonal_iiT1_lPT2_llS6_llPT3_lli: ; @_ZL23rocblas_trmm_lNx_kernelILi32EfPKfS0_fEv13rocblas_fill_17rocblas_diagonal_iiT1_lPT2_llS6_llPT3_lli
; %bb.0:
	s_load_dwordx16 s[8:23], s[4:5], 0x10
	s_waitcnt lgkmcnt(0)
	s_mul_i32 s0, s11, s7
	s_mul_hi_u32 s1, s10, s7
	s_add_i32 s1, s1, s0
	s_mul_i32 s0, s10, s7
	s_lshl_b64 s[0:1], s[0:1], 2
	s_add_u32 s0, s8, s0
	s_addc_u32 s1, s9, s1
	s_load_dword s24, s[0:1], 0x0
	s_waitcnt lgkmcnt(0)
	v_cmp_eq_f32_e64 s[0:1], s24, 0
	s_and_b64 vcc, exec, s[0:1]
	s_cbranch_vccnz .LBB24_15
; %bb.1:
	s_load_dwordx4 s[8:11], s[4:5], 0x0
	v_lshlrev_b32_e32 v3, 5, v1
	v_mov_b32_e32 v2, 0
	v_add_lshl_u32 v4, v3, v0, 2
	ds_write2st64_b32 v4, v2, v2 offset1:16
	s_waitcnt lgkmcnt(0)
	v_cmp_gt_i32_e64 s[0:1], s10, v1
	v_cmp_gt_i32_e32 vcc, s10, v0
	s_and_b64 s[0:1], s[0:1], vcc
	v_lshlrev_b32_e32 v2, 2, v0
	s_and_saveexec_b64 s[2:3], s[0:1]
	s_cbranch_execz .LBB24_3
; %bb.2:
	v_mad_u64_u32 v[5:6], s[0:1], s14, v1, 0
	s_mul_i32 s10, s17, s7
	s_mul_hi_u32 s0, s16, s7
	v_mad_u64_u32 v[6:7], s[14:15], s15, v1, v[6:7]
	s_add_i32 s1, s0, s10
	s_mul_i32 s0, s16, s7
	s_lshl_b64 s[0:1], s[0:1], 2
	s_add_u32 s0, s12, s0
	v_lshlrev_b64 v[5:6], 2, v[5:6]
	s_addc_u32 s1, s13, s1
	v_mov_b32_e32 v7, s1
	v_add_co_u32_e64 v5, s[0:1], s0, v5
	v_addc_co_u32_e64 v6, s[0:1], v7, v6, s[0:1]
	v_add_co_u32_e64 v5, s[0:1], v5, v2
	v_addc_co_u32_e64 v6, s[0:1], 0, v6, s[0:1]
	global_load_dword v5, v[5:6], off
	s_waitcnt vmcnt(0)
	ds_write_b32 v4, v5
.LBB24_3:
	s_or_b64 exec, exec, s[2:3]
	s_add_i32 s0, s11, -1
	s_ashr_i32 s1, s0, 31
	s_lshr_b32 s1, s1, 27
	s_add_i32 s0, s0, s1
	s_ashr_i32 s1, s0, 5
	s_andn2_b32 s0, s0, 31
	s_sub_i32 s0, s11, s0
	s_cmp_ge_i32 s6, s1
	s_cselect_b32 s0, s0, 32
	s_lshl_b32 s6, s6, 5
	v_cmp_gt_i32_e64 s[0:1], s0, v1
	s_ashr_i32 s10, s6, 31
	s_and_b64 s[0:1], vcc, s[0:1]
	s_and_saveexec_b64 s[2:3], s[0:1]
	s_cbranch_execz .LBB24_5
; %bb.4:
	s_mul_i32 s11, s23, s7
	s_mul_hi_u32 s12, s22, s7
	s_add_i32 s13, s12, s11
	s_mul_i32 s12, s22, s7
	s_lshl_b64 s[12:13], s[12:13], 2
	s_add_u32 s11, s18, s12
	s_addc_u32 s16, s19, s13
	s_mul_i32 s12, s20, s10
	s_mul_hi_u32 s13, s20, s6
	s_add_i32 s14, s13, s12
	v_mad_u64_u32 v[5:6], s[12:13], s20, v1, 0
	s_mul_i32 s12, s21, s6
	s_add_i32 s13, s14, s12
	v_mad_u64_u32 v[6:7], s[14:15], s21, v1, v[6:7]
	s_mul_i32 s12, s20, s6
	s_lshl_b64 s[12:13], s[12:13], 2
	s_add_u32 s11, s11, s12
	v_lshlrev_b64 v[5:6], 2, v[5:6]
	s_addc_u32 s12, s16, s13
	v_mov_b32_e32 v7, s12
	v_add_co_u32_e32 v5, vcc, s11, v5
	v_addc_co_u32_e32 v6, vcc, v7, v6, vcc
	v_add_co_u32_e32 v5, vcc, v5, v2
	v_addc_co_u32_e32 v6, vcc, 0, v6, vcc
	global_load_dword v5, v[5:6], off
	v_add_u32_e32 v6, 0x1000, v4
	s_waitcnt vmcnt(0)
	ds_write_b32 v6, v5
.LBB24_5:
	s_or_b64 exec, exec, s[2:3]
	s_cmpk_eq_i32 s9, 0x84
	s_cselect_b64 s[2:3], -1, 0
	v_cmp_eq_u32_e32 vcc, v1, v0
	s_and_b64 s[12:13], vcc, s[2:3]
	s_and_saveexec_b64 s[2:3], s[12:13]
; %bb.6:
	v_mov_b32_e32 v5, 1.0
	ds_write_b32 v4, v5
; %bb.7:
	s_or_b64 exec, exec, s[2:3]
	s_cmpk_lg_i32 s8, 0x79
	s_cbranch_scc0 .LBB24_9
; %bb.8:
	v_cmp_lt_u32_e32 vcc, v0, v1
	s_and_b64 s[2:3], vcc, exec
	s_cbranch_execz .LBB24_10
	s_branch .LBB24_11
.LBB24_9:
	s_mov_b64 s[2:3], 0
.LBB24_10:
	v_cmp_gt_u32_e32 vcc, v0, v1
	s_andn2_b64 s[2:3], s[2:3], exec
	s_and_b64 s[8:9], vcc, exec
	s_or_b64 s[2:3], s[2:3], s[8:9]
.LBB24_11:
	s_and_saveexec_b64 s[8:9], s[2:3]
; %bb.12:
	v_mov_b32_e32 v0, 0
	ds_write_b32 v4, v0
; %bb.13:
	s_or_b64 exec, exec, s[8:9]
	s_waitcnt lgkmcnt(0)
	s_barrier
	s_and_saveexec_b64 s[2:3], s[0:1]
	s_cbranch_execz .LBB24_15
; %bb.14:
	s_load_dwordx2 s[8:9], s[4:5], 0x60
	s_load_dwordx4 s[0:3], s[4:5], 0x50
	ds_read2_b32 v[19:20], v2 offset1:32
	v_lshlrev_b32_e32 v0, 2, v3
	ds_read_b128 v[3:6], v0 offset:4096
	ds_read_b128 v[7:10], v0 offset:4112
	ds_read2_b32 v[21:22], v2 offset0:64 offset1:96
	ds_read_b128 v[11:14], v0 offset:4128
	ds_read_b128 v[15:18], v0 offset:4144
	ds_read2_b32 v[23:24], v2 offset0:128 offset1:160
	s_waitcnt lgkmcnt(0)
	s_mul_i32 s5, s9, s7
	v_fma_f32 v19, v19, v3, 0
	v_fmac_f32_e32 v19, v20, v4
	ds_read2_b32 v[3:4], v2 offset0:192 offset1:224
	v_fmac_f32_e32 v19, v21, v5
	v_fmac_f32_e32 v19, v22, v6
	;; [unrolled: 1-line block ×3, first 2 shown]
	v_add_u32_e32 v20, 0x400, v2
	ds_read2_b32 v[5:6], v20 offset1:32
	v_fmac_f32_e32 v19, v24, v8
	s_waitcnt lgkmcnt(1)
	v_fmac_f32_e32 v19, v3, v9
	v_fmac_f32_e32 v19, v4, v10
	ds_read2_b32 v[3:4], v20 offset0:64 offset1:96
	ds_read2_b32 v[7:8], v20 offset0:128 offset1:160
	s_waitcnt lgkmcnt(2)
	v_fmac_f32_e32 v19, v5, v11
	v_fmac_f32_e32 v19, v6, v12
	ds_read2_b32 v[9:10], v20 offset0:192 offset1:224
	s_waitcnt lgkmcnt(2)
	v_fmac_f32_e32 v19, v3, v13
	v_fmac_f32_e32 v19, v4, v14
	s_waitcnt lgkmcnt(1)
	v_fmac_f32_e32 v19, v7, v15
	v_fmac_f32_e32 v19, v8, v16
	s_waitcnt lgkmcnt(0)
	v_fmac_f32_e32 v19, v9, v17
	v_add_u32_e32 v17, 0x800, v2
	ds_read2_b32 v[11:12], v17 offset1:32
	ds_read_b128 v[3:6], v0 offset:4160
	v_fmac_f32_e32 v19, v10, v18
	ds_read2_b32 v[13:14], v17 offset0:64 offset1:96
	ds_read2_b32 v[15:16], v17 offset0:128 offset1:160
	ds_read_b128 v[7:10], v0 offset:4176
	s_mul_hi_u32 s9, s8, s7
	s_mul_i32 s4, s8, s7
	s_waitcnt lgkmcnt(3)
	v_fmac_f32_e32 v19, v11, v3
	v_fmac_f32_e32 v19, v12, v4
	s_waitcnt lgkmcnt(2)
	v_fmac_f32_e32 v19, v13, v5
	ds_read2_b32 v[11:12], v17 offset0:192 offset1:224
	v_fmac_f32_e32 v19, v14, v6
	s_waitcnt lgkmcnt(1)
	v_fmac_f32_e32 v19, v15, v7
	v_add_u32_e32 v15, 0xc00, v2
	ds_read2_b32 v[13:14], v15 offset1:32
	ds_read_b128 v[3:6], v0 offset:4192
	s_add_i32 s5, s9, s5
	v_fmac_f32_e32 v19, v16, v8
	s_lshl_b64 s[4:5], s[4:5], 2
	s_waitcnt lgkmcnt(2)
	v_fmac_f32_e32 v19, v11, v9
	s_mul_i32 s7, s2, s10
	s_add_u32 s4, s0, s4
	s_mul_hi_u32 s0, s2, s6
	v_fmac_f32_e32 v19, v12, v10
	ds_read2_b32 v[11:12], v15 offset0:64 offset1:96
	ds_read_b128 v[7:10], v0 offset:4208
	s_addc_u32 s5, s1, s5
	s_add_i32 s0, s0, s7
	s_mul_i32 s1, s3, s6
	s_add_i32 s1, s0, s1
	s_mul_i32 s0, s2, s6
	s_waitcnt lgkmcnt(2)
	v_fmac_f32_e32 v19, v13, v3
	s_lshl_b64 s[0:1], s[0:1], 2
	v_fmac_f32_e32 v19, v14, v4
	s_add_u32 s4, s4, s0
	s_waitcnt lgkmcnt(1)
	v_fmac_f32_e32 v19, v11, v5
	s_addc_u32 s5, s5, s1
	v_fmac_f32_e32 v19, v12, v6
	v_mad_u64_u32 v[5:6], s[0:1], s2, v1, 0
	ds_read2_b32 v[3:4], v15 offset0:128 offset1:160
	ds_read2_b32 v[11:12], v15 offset0:192 offset1:224
	v_mov_b32_e32 v0, v6
	v_mad_u64_u32 v[0:1], s[0:1], s3, v1, v[0:1]
	s_waitcnt lgkmcnt(1)
	v_fmac_f32_e32 v19, v3, v7
	v_fmac_f32_e32 v19, v4, v8
	v_mov_b32_e32 v6, v0
	v_lshlrev_b64 v[0:1], 2, v[5:6]
	v_mov_b32_e32 v4, s5
	v_add_co_u32_e32 v0, vcc, s4, v0
	s_waitcnt lgkmcnt(0)
	v_fmac_f32_e32 v19, v11, v9
	v_addc_co_u32_e32 v1, vcc, v4, v1, vcc
	v_fmac_f32_e32 v19, v12, v10
	v_add_co_u32_e32 v0, vcc, v0, v2
	v_mul_f32_e32 v3, s24, v19
	v_addc_co_u32_e32 v1, vcc, 0, v1, vcc
	global_store_dword v[0:1], v3, off
.LBB24_15:
	s_endpgm
	.section	.rodata,"a",@progbits
	.p2align	6, 0x0
	.amdhsa_kernel _ZL23rocblas_trmm_lNx_kernelILi32EfPKfS0_fEv13rocblas_fill_17rocblas_diagonal_iiT1_lPT2_llS6_llPT3_lli
		.amdhsa_group_segment_fixed_size 8192
		.amdhsa_private_segment_fixed_size 0
		.amdhsa_kernarg_size 108
		.amdhsa_user_sgpr_count 6
		.amdhsa_user_sgpr_private_segment_buffer 1
		.amdhsa_user_sgpr_dispatch_ptr 0
		.amdhsa_user_sgpr_queue_ptr 0
		.amdhsa_user_sgpr_kernarg_segment_ptr 1
		.amdhsa_user_sgpr_dispatch_id 0
		.amdhsa_user_sgpr_flat_scratch_init 0
		.amdhsa_user_sgpr_private_segment_size 0
		.amdhsa_uses_dynamic_stack 0
		.amdhsa_system_sgpr_private_segment_wavefront_offset 0
		.amdhsa_system_sgpr_workgroup_id_x 1
		.amdhsa_system_sgpr_workgroup_id_y 0
		.amdhsa_system_sgpr_workgroup_id_z 1
		.amdhsa_system_sgpr_workgroup_info 0
		.amdhsa_system_vgpr_workitem_id 1
		.amdhsa_next_free_vgpr 29
		.amdhsa_next_free_sgpr 61
		.amdhsa_reserve_vcc 1
		.amdhsa_reserve_flat_scratch 0
		.amdhsa_float_round_mode_32 0
		.amdhsa_float_round_mode_16_64 0
		.amdhsa_float_denorm_mode_32 3
		.amdhsa_float_denorm_mode_16_64 3
		.amdhsa_dx10_clamp 1
		.amdhsa_ieee_mode 1
		.amdhsa_fp16_overflow 0
		.amdhsa_exception_fp_ieee_invalid_op 0
		.amdhsa_exception_fp_denorm_src 0
		.amdhsa_exception_fp_ieee_div_zero 0
		.amdhsa_exception_fp_ieee_overflow 0
		.amdhsa_exception_fp_ieee_underflow 0
		.amdhsa_exception_fp_ieee_inexact 0
		.amdhsa_exception_int_div_zero 0
	.end_amdhsa_kernel
	.section	.text._ZL23rocblas_trmm_lNx_kernelILi32EfPKfS0_fEv13rocblas_fill_17rocblas_diagonal_iiT1_lPT2_llS6_llPT3_lli,"axG",@progbits,_ZL23rocblas_trmm_lNx_kernelILi32EfPKfS0_fEv13rocblas_fill_17rocblas_diagonal_iiT1_lPT2_llS6_llPT3_lli,comdat
.Lfunc_end24:
	.size	_ZL23rocblas_trmm_lNx_kernelILi32EfPKfS0_fEv13rocblas_fill_17rocblas_diagonal_iiT1_lPT2_llS6_llPT3_lli, .Lfunc_end24-_ZL23rocblas_trmm_lNx_kernelILi32EfPKfS0_fEv13rocblas_fill_17rocblas_diagonal_iiT1_lPT2_llS6_llPT3_lli
                                        ; -- End function
	.set _ZL23rocblas_trmm_lNx_kernelILi32EfPKfS0_fEv13rocblas_fill_17rocblas_diagonal_iiT1_lPT2_llS6_llPT3_lli.num_vgpr, 25
	.set _ZL23rocblas_trmm_lNx_kernelILi32EfPKfS0_fEv13rocblas_fill_17rocblas_diagonal_iiT1_lPT2_llS6_llPT3_lli.num_agpr, 0
	.set _ZL23rocblas_trmm_lNx_kernelILi32EfPKfS0_fEv13rocblas_fill_17rocblas_diagonal_iiT1_lPT2_llS6_llPT3_lli.numbered_sgpr, 25
	.set _ZL23rocblas_trmm_lNx_kernelILi32EfPKfS0_fEv13rocblas_fill_17rocblas_diagonal_iiT1_lPT2_llS6_llPT3_lli.num_named_barrier, 0
	.set _ZL23rocblas_trmm_lNx_kernelILi32EfPKfS0_fEv13rocblas_fill_17rocblas_diagonal_iiT1_lPT2_llS6_llPT3_lli.private_seg_size, 0
	.set _ZL23rocblas_trmm_lNx_kernelILi32EfPKfS0_fEv13rocblas_fill_17rocblas_diagonal_iiT1_lPT2_llS6_llPT3_lli.uses_vcc, 1
	.set _ZL23rocblas_trmm_lNx_kernelILi32EfPKfS0_fEv13rocblas_fill_17rocblas_diagonal_iiT1_lPT2_llS6_llPT3_lli.uses_flat_scratch, 0
	.set _ZL23rocblas_trmm_lNx_kernelILi32EfPKfS0_fEv13rocblas_fill_17rocblas_diagonal_iiT1_lPT2_llS6_llPT3_lli.has_dyn_sized_stack, 0
	.set _ZL23rocblas_trmm_lNx_kernelILi32EfPKfS0_fEv13rocblas_fill_17rocblas_diagonal_iiT1_lPT2_llS6_llPT3_lli.has_recursion, 0
	.set _ZL23rocblas_trmm_lNx_kernelILi32EfPKfS0_fEv13rocblas_fill_17rocblas_diagonal_iiT1_lPT2_llS6_llPT3_lli.has_indirect_call, 0
	.section	.AMDGPU.csdata,"",@progbits
; Kernel info:
; codeLenInByte = 1120
; TotalNumSgprs: 29
; NumVgprs: 25
; ScratchSize: 0
; MemoryBound: 0
; FloatMode: 240
; IeeeMode: 1
; LDSByteSize: 8192 bytes/workgroup (compile time only)
; SGPRBlocks: 8
; VGPRBlocks: 7
; NumSGPRsForWavesPerEU: 65
; NumVGPRsForWavesPerEU: 29
; Occupancy: 8
; WaveLimiterHint : 0
; COMPUTE_PGM_RSRC2:SCRATCH_EN: 0
; COMPUTE_PGM_RSRC2:USER_SGPR: 6
; COMPUTE_PGM_RSRC2:TRAP_HANDLER: 0
; COMPUTE_PGM_RSRC2:TGID_X_EN: 1
; COMPUTE_PGM_RSRC2:TGID_Y_EN: 0
; COMPUTE_PGM_RSRC2:TGID_Z_EN: 1
; COMPUTE_PGM_RSRC2:TIDIG_COMP_CNT: 1
	.section	.text._ZL23rocblas_trmm_lNx_kernelILi32EffKffEv13rocblas_fill_17rocblas_diagonal_iiT1_lPT2_llS5_llPT3_lli,"axG",@progbits,_ZL23rocblas_trmm_lNx_kernelILi32EffKffEv13rocblas_fill_17rocblas_diagonal_iiT1_lPT2_llS5_llPT3_lli,comdat
	.globl	_ZL23rocblas_trmm_lNx_kernelILi32EffKffEv13rocblas_fill_17rocblas_diagonal_iiT1_lPT2_llS5_llPT3_lli ; -- Begin function _ZL23rocblas_trmm_lNx_kernelILi32EffKffEv13rocblas_fill_17rocblas_diagonal_iiT1_lPT2_llS5_llPT3_lli
	.p2align	8
	.type	_ZL23rocblas_trmm_lNx_kernelILi32EffKffEv13rocblas_fill_17rocblas_diagonal_iiT1_lPT2_llS5_llPT3_lli,@function
_ZL23rocblas_trmm_lNx_kernelILi32EffKffEv13rocblas_fill_17rocblas_diagonal_iiT1_lPT2_llS5_llPT3_lli: ; @_ZL23rocblas_trmm_lNx_kernelILi32EffKffEv13rocblas_fill_17rocblas_diagonal_iiT1_lPT2_llS5_llPT3_lli
; %bb.0:
	s_load_dword s28, s[4:5], 0x10
	s_waitcnt lgkmcnt(0)
	v_cmp_eq_f32_e64 s[0:1], s28, 0
	s_and_b64 vcc, exec, s[0:1]
	s_cbranch_vccnz .LBB25_15
; %bb.1:
	s_load_dwordx4 s[24:27], s[4:5], 0x0
	s_load_dwordx16 s[8:23], s[4:5], 0x20
	v_lshlrev_b32_e32 v3, 5, v1
	v_add_lshl_u32 v4, v3, v0, 2
	v_mov_b32_e32 v2, 0
	s_waitcnt lgkmcnt(0)
	v_cmp_gt_i32_e64 s[0:1], s26, v1
	v_cmp_gt_i32_e32 vcc, s26, v0
	ds_write2st64_b32 v4, v2, v2 offset1:16
	s_and_b64 s[0:1], s[0:1], vcc
	v_lshlrev_b32_e32 v2, 2, v0
	s_and_saveexec_b64 s[2:3], s[0:1]
	s_cbranch_execz .LBB25_3
; %bb.2:
	v_mad_u64_u32 v[5:6], s[0:1], s10, v1, 0
	s_mul_i32 s13, s13, s7
	s_mul_hi_u32 s0, s12, s7
	v_mad_u64_u32 v[6:7], s[10:11], s11, v1, v[6:7]
	s_add_i32 s1, s0, s13
	s_mul_i32 s0, s12, s7
	s_lshl_b64 s[0:1], s[0:1], 2
	s_add_u32 s0, s8, s0
	v_lshlrev_b64 v[5:6], 2, v[5:6]
	s_addc_u32 s1, s9, s1
	v_mov_b32_e32 v7, s1
	v_add_co_u32_e64 v5, s[0:1], s0, v5
	v_addc_co_u32_e64 v6, s[0:1], v7, v6, s[0:1]
	v_add_co_u32_e64 v5, s[0:1], v5, v2
	v_addc_co_u32_e64 v6, s[0:1], 0, v6, s[0:1]
	global_load_dword v5, v[5:6], off
	s_waitcnt vmcnt(0)
	ds_write_b32 v4, v5
.LBB25_3:
	s_or_b64 exec, exec, s[2:3]
	s_add_i32 s0, s27, -1
	s_ashr_i32 s1, s0, 31
	s_lshr_b32 s1, s1, 27
	s_add_i32 s0, s0, s1
	s_ashr_i32 s1, s0, 5
	s_andn2_b32 s0, s0, 31
	s_sub_i32 s0, s27, s0
	s_cmp_ge_i32 s6, s1
	s_cselect_b32 s0, s0, 32
	s_lshl_b32 s6, s6, 5
	v_cmp_gt_i32_e64 s[0:1], s0, v1
	s_ashr_i32 s10, s6, 31
	s_and_b64 s[0:1], vcc, s[0:1]
	s_and_saveexec_b64 s[2:3], s[0:1]
	s_cbranch_execz .LBB25_5
; %bb.4:
	s_mul_i32 s8, s19, s7
	s_mul_hi_u32 s9, s18, s7
	s_add_i32 s9, s9, s8
	s_mul_i32 s8, s18, s7
	s_lshl_b64 s[8:9], s[8:9], 2
	s_add_u32 s11, s14, s8
	s_addc_u32 s14, s15, s9
	s_mul_i32 s8, s16, s10
	s_mul_hi_u32 s9, s16, s6
	s_add_i32 s12, s9, s8
	v_mad_u64_u32 v[5:6], s[8:9], s16, v1, 0
	s_mul_i32 s8, s17, s6
	s_add_i32 s9, s12, s8
	v_mad_u64_u32 v[6:7], s[12:13], s17, v1, v[6:7]
	s_mul_i32 s8, s16, s6
	s_lshl_b64 s[8:9], s[8:9], 2
	s_add_u32 s8, s11, s8
	v_lshlrev_b64 v[5:6], 2, v[5:6]
	s_addc_u32 s9, s14, s9
	v_mov_b32_e32 v7, s9
	v_add_co_u32_e32 v5, vcc, s8, v5
	v_addc_co_u32_e32 v6, vcc, v7, v6, vcc
	v_add_co_u32_e32 v5, vcc, v5, v2
	v_addc_co_u32_e32 v6, vcc, 0, v6, vcc
	global_load_dword v5, v[5:6], off
	v_add_u32_e32 v6, 0x1000, v4
	s_waitcnt vmcnt(0)
	ds_write_b32 v6, v5
.LBB25_5:
	s_or_b64 exec, exec, s[2:3]
	s_cmpk_eq_i32 s25, 0x84
	s_cselect_b64 s[2:3], -1, 0
	v_cmp_eq_u32_e32 vcc, v1, v0
	s_and_b64 s[8:9], vcc, s[2:3]
	s_and_saveexec_b64 s[2:3], s[8:9]
; %bb.6:
	v_mov_b32_e32 v5, 1.0
	ds_write_b32 v4, v5
; %bb.7:
	s_or_b64 exec, exec, s[2:3]
	s_cmpk_lg_i32 s24, 0x79
	s_cbranch_scc0 .LBB25_9
; %bb.8:
	v_cmp_lt_u32_e32 vcc, v0, v1
	s_and_b64 s[2:3], vcc, exec
	s_cbranch_execz .LBB25_10
	s_branch .LBB25_11
.LBB25_9:
	s_mov_b64 s[2:3], 0
.LBB25_10:
	v_cmp_gt_u32_e32 vcc, v0, v1
	s_andn2_b64 s[2:3], s[2:3], exec
	s_and_b64 s[8:9], vcc, exec
	s_or_b64 s[2:3], s[2:3], s[8:9]
.LBB25_11:
	s_and_saveexec_b64 s[8:9], s[2:3]
; %bb.12:
	v_mov_b32_e32 v0, 0
	ds_write_b32 v4, v0
; %bb.13:
	s_or_b64 exec, exec, s[8:9]
	s_waitcnt lgkmcnt(0)
	s_barrier
	s_and_saveexec_b64 s[2:3], s[0:1]
	s_cbranch_execz .LBB25_15
; %bb.14:
	ds_read2_b32 v[19:20], v2 offset1:32
	v_lshlrev_b32_e32 v0, 2, v3
	ds_read_b128 v[3:6], v0 offset:4096
	ds_read_b128 v[7:10], v0 offset:4112
	ds_read2_b32 v[21:22], v2 offset0:64 offset1:96
	ds_read_b128 v[11:14], v0 offset:4128
	ds_read_b128 v[15:18], v0 offset:4144
	ds_read2_b32 v[23:24], v2 offset0:128 offset1:160
	s_load_dwordx2 s[0:1], s[4:5], 0x60
	s_waitcnt lgkmcnt(0)
	v_fma_f32 v19, v19, v3, 0
	v_fmac_f32_e32 v19, v20, v4
	ds_read2_b32 v[3:4], v2 offset0:192 offset1:224
	v_fmac_f32_e32 v19, v21, v5
	v_fmac_f32_e32 v19, v22, v6
	;; [unrolled: 1-line block ×3, first 2 shown]
	v_add_u32_e32 v20, 0x400, v2
	ds_read2_b32 v[5:6], v20 offset1:32
	v_fmac_f32_e32 v19, v24, v8
	s_waitcnt lgkmcnt(1)
	v_fmac_f32_e32 v19, v3, v9
	v_fmac_f32_e32 v19, v4, v10
	ds_read2_b32 v[3:4], v20 offset0:64 offset1:96
	ds_read2_b32 v[7:8], v20 offset0:128 offset1:160
	s_waitcnt lgkmcnt(2)
	v_fmac_f32_e32 v19, v5, v11
	v_fmac_f32_e32 v19, v6, v12
	ds_read2_b32 v[9:10], v20 offset0:192 offset1:224
	s_waitcnt lgkmcnt(2)
	v_fmac_f32_e32 v19, v3, v13
	v_fmac_f32_e32 v19, v4, v14
	s_waitcnt lgkmcnt(1)
	v_fmac_f32_e32 v19, v7, v15
	v_fmac_f32_e32 v19, v8, v16
	s_waitcnt lgkmcnt(0)
	v_fmac_f32_e32 v19, v9, v17
	v_add_u32_e32 v17, 0x800, v2
	ds_read2_b32 v[11:12], v17 offset1:32
	ds_read_b128 v[3:6], v0 offset:4160
	v_fmac_f32_e32 v19, v10, v18
	ds_read2_b32 v[13:14], v17 offset0:64 offset1:96
	ds_read2_b32 v[15:16], v17 offset0:128 offset1:160
	ds_read_b128 v[7:10], v0 offset:4176
	s_mul_i32 s1, s1, s7
	s_mul_hi_u32 s4, s0, s7
	s_waitcnt lgkmcnt(3)
	v_fmac_f32_e32 v19, v11, v3
	v_fmac_f32_e32 v19, v12, v4
	s_waitcnt lgkmcnt(2)
	v_fmac_f32_e32 v19, v13, v5
	ds_read2_b32 v[11:12], v17 offset0:192 offset1:224
	v_fmac_f32_e32 v19, v14, v6
	s_waitcnt lgkmcnt(1)
	v_fmac_f32_e32 v19, v15, v7
	v_add_u32_e32 v15, 0xc00, v2
	ds_read2_b32 v[13:14], v15 offset1:32
	ds_read_b128 v[3:6], v0 offset:4192
	s_mul_i32 s0, s0, s7
	s_add_i32 s1, s4, s1
	v_fmac_f32_e32 v19, v16, v8
	s_lshl_b64 s[0:1], s[0:1], 2
	s_waitcnt lgkmcnt(2)
	v_fmac_f32_e32 v19, v11, v9
	s_mul_i32 s2, s22, s10
	s_mul_hi_u32 s3, s22, s6
	s_add_u32 s4, s20, s0
	v_fmac_f32_e32 v19, v12, v10
	ds_read2_b32 v[11:12], v15 offset0:64 offset1:96
	ds_read_b128 v[7:10], v0 offset:4208
	s_addc_u32 s5, s21, s1
	s_add_i32 s0, s3, s2
	s_mul_i32 s1, s23, s6
	s_add_i32 s1, s0, s1
	s_mul_i32 s0, s22, s6
	s_waitcnt lgkmcnt(2)
	v_fmac_f32_e32 v19, v13, v3
	s_lshl_b64 s[0:1], s[0:1], 2
	v_fmac_f32_e32 v19, v14, v4
	s_add_u32 s2, s4, s0
	s_waitcnt lgkmcnt(1)
	v_fmac_f32_e32 v19, v11, v5
	s_addc_u32 s3, s5, s1
	v_fmac_f32_e32 v19, v12, v6
	v_mad_u64_u32 v[5:6], s[0:1], s22, v1, 0
	ds_read2_b32 v[3:4], v15 offset0:128 offset1:160
	ds_read2_b32 v[11:12], v15 offset0:192 offset1:224
	v_mov_b32_e32 v0, v6
	v_mad_u64_u32 v[0:1], s[0:1], s23, v1, v[0:1]
	s_waitcnt lgkmcnt(1)
	v_fmac_f32_e32 v19, v3, v7
	v_fmac_f32_e32 v19, v4, v8
	v_mov_b32_e32 v6, v0
	v_lshlrev_b64 v[0:1], 2, v[5:6]
	v_mov_b32_e32 v4, s3
	v_add_co_u32_e32 v0, vcc, s2, v0
	s_waitcnt lgkmcnt(0)
	v_fmac_f32_e32 v19, v11, v9
	v_addc_co_u32_e32 v1, vcc, v4, v1, vcc
	v_fmac_f32_e32 v19, v12, v10
	v_add_co_u32_e32 v0, vcc, v0, v2
	v_mul_f32_e32 v3, s28, v19
	v_addc_co_u32_e32 v1, vcc, 0, v1, vcc
	global_store_dword v[0:1], v3, off
.LBB25_15:
	s_endpgm
	.section	.rodata,"a",@progbits
	.p2align	6, 0x0
	.amdhsa_kernel _ZL23rocblas_trmm_lNx_kernelILi32EffKffEv13rocblas_fill_17rocblas_diagonal_iiT1_lPT2_llS5_llPT3_lli
		.amdhsa_group_segment_fixed_size 8192
		.amdhsa_private_segment_fixed_size 0
		.amdhsa_kernarg_size 108
		.amdhsa_user_sgpr_count 6
		.amdhsa_user_sgpr_private_segment_buffer 1
		.amdhsa_user_sgpr_dispatch_ptr 0
		.amdhsa_user_sgpr_queue_ptr 0
		.amdhsa_user_sgpr_kernarg_segment_ptr 1
		.amdhsa_user_sgpr_dispatch_id 0
		.amdhsa_user_sgpr_flat_scratch_init 0
		.amdhsa_user_sgpr_private_segment_size 0
		.amdhsa_uses_dynamic_stack 0
		.amdhsa_system_sgpr_private_segment_wavefront_offset 0
		.amdhsa_system_sgpr_workgroup_id_x 1
		.amdhsa_system_sgpr_workgroup_id_y 0
		.amdhsa_system_sgpr_workgroup_id_z 1
		.amdhsa_system_sgpr_workgroup_info 0
		.amdhsa_system_vgpr_workitem_id 1
		.amdhsa_next_free_vgpr 29
		.amdhsa_next_free_sgpr 61
		.amdhsa_reserve_vcc 1
		.amdhsa_reserve_flat_scratch 0
		.amdhsa_float_round_mode_32 0
		.amdhsa_float_round_mode_16_64 0
		.amdhsa_float_denorm_mode_32 3
		.amdhsa_float_denorm_mode_16_64 3
		.amdhsa_dx10_clamp 1
		.amdhsa_ieee_mode 1
		.amdhsa_fp16_overflow 0
		.amdhsa_exception_fp_ieee_invalid_op 0
		.amdhsa_exception_fp_denorm_src 0
		.amdhsa_exception_fp_ieee_div_zero 0
		.amdhsa_exception_fp_ieee_overflow 0
		.amdhsa_exception_fp_ieee_underflow 0
		.amdhsa_exception_fp_ieee_inexact 0
		.amdhsa_exception_int_div_zero 0
	.end_amdhsa_kernel
	.section	.text._ZL23rocblas_trmm_lNx_kernelILi32EffKffEv13rocblas_fill_17rocblas_diagonal_iiT1_lPT2_llS5_llPT3_lli,"axG",@progbits,_ZL23rocblas_trmm_lNx_kernelILi32EffKffEv13rocblas_fill_17rocblas_diagonal_iiT1_lPT2_llS5_llPT3_lli,comdat
.Lfunc_end25:
	.size	_ZL23rocblas_trmm_lNx_kernelILi32EffKffEv13rocblas_fill_17rocblas_diagonal_iiT1_lPT2_llS5_llPT3_lli, .Lfunc_end25-_ZL23rocblas_trmm_lNx_kernelILi32EffKffEv13rocblas_fill_17rocblas_diagonal_iiT1_lPT2_llS5_llPT3_lli
                                        ; -- End function
	.set _ZL23rocblas_trmm_lNx_kernelILi32EffKffEv13rocblas_fill_17rocblas_diagonal_iiT1_lPT2_llS5_llPT3_lli.num_vgpr, 25
	.set _ZL23rocblas_trmm_lNx_kernelILi32EffKffEv13rocblas_fill_17rocblas_diagonal_iiT1_lPT2_llS5_llPT3_lli.num_agpr, 0
	.set _ZL23rocblas_trmm_lNx_kernelILi32EffKffEv13rocblas_fill_17rocblas_diagonal_iiT1_lPT2_llS5_llPT3_lli.numbered_sgpr, 29
	.set _ZL23rocblas_trmm_lNx_kernelILi32EffKffEv13rocblas_fill_17rocblas_diagonal_iiT1_lPT2_llS5_llPT3_lli.num_named_barrier, 0
	.set _ZL23rocblas_trmm_lNx_kernelILi32EffKffEv13rocblas_fill_17rocblas_diagonal_iiT1_lPT2_llS5_llPT3_lli.private_seg_size, 0
	.set _ZL23rocblas_trmm_lNx_kernelILi32EffKffEv13rocblas_fill_17rocblas_diagonal_iiT1_lPT2_llS5_llPT3_lli.uses_vcc, 1
	.set _ZL23rocblas_trmm_lNx_kernelILi32EffKffEv13rocblas_fill_17rocblas_diagonal_iiT1_lPT2_llS5_llPT3_lli.uses_flat_scratch, 0
	.set _ZL23rocblas_trmm_lNx_kernelILi32EffKffEv13rocblas_fill_17rocblas_diagonal_iiT1_lPT2_llS5_llPT3_lli.has_dyn_sized_stack, 0
	.set _ZL23rocblas_trmm_lNx_kernelILi32EffKffEv13rocblas_fill_17rocblas_diagonal_iiT1_lPT2_llS5_llPT3_lli.has_recursion, 0
	.set _ZL23rocblas_trmm_lNx_kernelILi32EffKffEv13rocblas_fill_17rocblas_diagonal_iiT1_lPT2_llS5_llPT3_lli.has_indirect_call, 0
	.section	.AMDGPU.csdata,"",@progbits
; Kernel info:
; codeLenInByte = 1080
; TotalNumSgprs: 33
; NumVgprs: 25
; ScratchSize: 0
; MemoryBound: 0
; FloatMode: 240
; IeeeMode: 1
; LDSByteSize: 8192 bytes/workgroup (compile time only)
; SGPRBlocks: 8
; VGPRBlocks: 7
; NumSGPRsForWavesPerEU: 65
; NumVGPRsForWavesPerEU: 29
; Occupancy: 8
; WaveLimiterHint : 0
; COMPUTE_PGM_RSRC2:SCRATCH_EN: 0
; COMPUTE_PGM_RSRC2:USER_SGPR: 6
; COMPUTE_PGM_RSRC2:TRAP_HANDLER: 0
; COMPUTE_PGM_RSRC2:TGID_X_EN: 1
; COMPUTE_PGM_RSRC2:TGID_Y_EN: 0
; COMPUTE_PGM_RSRC2:TGID_Z_EN: 1
; COMPUTE_PGM_RSRC2:TIDIG_COMP_CNT: 1
	.section	.text._ZL23rocblas_trmm_lTx_kernelILi32ELb0EfPKfS0_fEv13rocblas_fill_17rocblas_diagonal_iiT2_lPT3_llS6_llPT4_lli,"axG",@progbits,_ZL23rocblas_trmm_lTx_kernelILi32ELb0EfPKfS0_fEv13rocblas_fill_17rocblas_diagonal_iiT2_lPT3_llS6_llPT4_lli,comdat
	.globl	_ZL23rocblas_trmm_lTx_kernelILi32ELb0EfPKfS0_fEv13rocblas_fill_17rocblas_diagonal_iiT2_lPT3_llS6_llPT4_lli ; -- Begin function _ZL23rocblas_trmm_lTx_kernelILi32ELb0EfPKfS0_fEv13rocblas_fill_17rocblas_diagonal_iiT2_lPT3_llS6_llPT4_lli
	.p2align	8
	.type	_ZL23rocblas_trmm_lTx_kernelILi32ELb0EfPKfS0_fEv13rocblas_fill_17rocblas_diagonal_iiT2_lPT3_llS6_llPT4_lli,@function
_ZL23rocblas_trmm_lTx_kernelILi32ELb0EfPKfS0_fEv13rocblas_fill_17rocblas_diagonal_iiT2_lPT3_llS6_llPT4_lli: ; @_ZL23rocblas_trmm_lTx_kernelILi32ELb0EfPKfS0_fEv13rocblas_fill_17rocblas_diagonal_iiT2_lPT3_llS6_llPT4_lli
; %bb.0:
	s_load_dwordx16 s[8:23], s[4:5], 0x10
	s_waitcnt lgkmcnt(0)
	s_mul_i32 s0, s11, s7
	s_mul_hi_u32 s1, s10, s7
	s_add_i32 s1, s1, s0
	s_mul_i32 s0, s10, s7
	s_lshl_b64 s[0:1], s[0:1], 2
	s_add_u32 s0, s8, s0
	s_addc_u32 s1, s9, s1
	s_load_dword s24, s[0:1], 0x0
	s_waitcnt lgkmcnt(0)
	v_cmp_eq_f32_e64 s[0:1], s24, 0
	s_and_b64 vcc, exec, s[0:1]
	s_cbranch_vccnz .LBB26_15
; %bb.1:
	s_load_dwordx4 s[8:11], s[4:5], 0x0
	v_lshlrev_b32_e32 v3, 5, v1
	v_add_lshl_u32 v4, v3, v0, 2
	v_mov_b32_e32 v2, 0
	ds_write2st64_b32 v4, v2, v2 offset1:16
	s_waitcnt lgkmcnt(0)
	v_cmp_gt_i32_e64 s[0:1], s10, v1
	v_cmp_gt_i32_e32 vcc, s10, v0
	s_and_b64 s[0:1], s[0:1], vcc
	v_lshlrev_b32_e32 v2, 2, v0
	s_barrier
	s_and_saveexec_b64 s[2:3], s[0:1]
	s_cbranch_execz .LBB26_3
; %bb.2:
	v_mad_u64_u32 v[5:6], s[0:1], s14, v1, 0
	s_mul_i32 s10, s17, s7
	s_mul_hi_u32 s0, s16, s7
	v_mad_u64_u32 v[6:7], s[14:15], s15, v1, v[6:7]
	s_add_i32 s1, s0, s10
	s_mul_i32 s0, s16, s7
	s_lshl_b64 s[0:1], s[0:1], 2
	s_add_u32 s0, s12, s0
	v_lshlrev_b64 v[5:6], 2, v[5:6]
	s_addc_u32 s1, s13, s1
	v_mov_b32_e32 v7, s1
	v_add_co_u32_e64 v5, s[0:1], s0, v5
	v_addc_co_u32_e64 v6, s[0:1], v7, v6, s[0:1]
	v_add_co_u32_e64 v5, s[0:1], v5, v2
	v_addc_co_u32_e64 v6, s[0:1], 0, v6, s[0:1]
	global_load_dword v5, v[5:6], off
	v_lshlrev_b32_e32 v6, 2, v1
	v_lshl_add_u32 v6, v0, 7, v6
	s_waitcnt vmcnt(0)
	ds_write_b32 v6, v5
.LBB26_3:
	s_or_b64 exec, exec, s[2:3]
	s_add_i32 s0, s11, -1
	s_ashr_i32 s1, s0, 31
	s_lshr_b32 s1, s1, 27
	s_add_i32 s0, s0, s1
	s_ashr_i32 s1, s0, 5
	s_andn2_b32 s0, s0, 31
	s_sub_i32 s0, s11, s0
	s_cmp_ge_i32 s6, s1
	s_cselect_b32 s0, s0, 32
	s_lshl_b32 s6, s6, 5
	v_cmp_gt_i32_e64 s[0:1], s0, v1
	s_ashr_i32 s10, s6, 31
	s_and_b64 s[0:1], vcc, s[0:1]
	s_and_saveexec_b64 s[2:3], s[0:1]
	s_cbranch_execz .LBB26_5
; %bb.4:
	s_mul_i32 s11, s23, s7
	s_mul_hi_u32 s12, s22, s7
	s_add_i32 s13, s12, s11
	s_mul_i32 s12, s22, s7
	s_lshl_b64 s[12:13], s[12:13], 2
	s_add_u32 s11, s18, s12
	s_addc_u32 s16, s19, s13
	s_mul_i32 s12, s20, s10
	s_mul_hi_u32 s13, s20, s6
	s_add_i32 s14, s13, s12
	v_mad_u64_u32 v[5:6], s[12:13], s20, v1, 0
	s_mul_i32 s12, s21, s6
	s_add_i32 s13, s14, s12
	v_mad_u64_u32 v[6:7], s[14:15], s21, v1, v[6:7]
	s_mul_i32 s12, s20, s6
	s_lshl_b64 s[12:13], s[12:13], 2
	s_add_u32 s11, s11, s12
	v_lshlrev_b64 v[5:6], 2, v[5:6]
	s_addc_u32 s12, s16, s13
	v_mov_b32_e32 v7, s12
	v_add_co_u32_e32 v5, vcc, s11, v5
	v_addc_co_u32_e32 v6, vcc, v7, v6, vcc
	v_add_co_u32_e32 v5, vcc, v5, v2
	v_addc_co_u32_e32 v6, vcc, 0, v6, vcc
	global_load_dword v5, v[5:6], off
	v_add_u32_e32 v6, 0x1000, v4
	s_waitcnt vmcnt(0)
	ds_write_b32 v6, v5
.LBB26_5:
	s_or_b64 exec, exec, s[2:3]
	s_cmpk_eq_i32 s9, 0x84
	s_cselect_b64 s[2:3], -1, 0
	v_cmp_eq_u32_e32 vcc, v1, v0
	s_and_b64 s[12:13], vcc, s[2:3]
	s_and_saveexec_b64 s[2:3], s[12:13]
; %bb.6:
	v_mov_b32_e32 v5, 1.0
	ds_write_b32 v4, v5
; %bb.7:
	s_or_b64 exec, exec, s[2:3]
	s_cmpk_lg_i32 s8, 0x7a
	s_waitcnt lgkmcnt(0)
	s_barrier
	s_cbranch_scc0 .LBB26_9
; %bb.8:
	v_cmp_lt_u32_e32 vcc, v0, v1
	s_and_b64 s[2:3], vcc, exec
	s_cbranch_execz .LBB26_10
	s_branch .LBB26_11
.LBB26_9:
	s_mov_b64 s[2:3], 0
.LBB26_10:
	v_cmp_gt_u32_e32 vcc, v0, v1
	s_andn2_b64 s[2:3], s[2:3], exec
	s_and_b64 s[8:9], vcc, exec
	s_or_b64 s[2:3], s[2:3], s[8:9]
.LBB26_11:
	s_and_saveexec_b64 s[8:9], s[2:3]
; %bb.12:
	v_mov_b32_e32 v0, 0
	ds_write_b32 v4, v0
; %bb.13:
	s_or_b64 exec, exec, s[8:9]
	s_waitcnt lgkmcnt(0)
	s_barrier
	s_and_saveexec_b64 s[2:3], s[0:1]
	s_cbranch_execz .LBB26_15
; %bb.14:
	s_load_dwordx2 s[8:9], s[4:5], 0x60
	s_load_dwordx4 s[0:3], s[4:5], 0x50
	ds_read2_b32 v[19:20], v2 offset1:32
	v_lshlrev_b32_e32 v0, 2, v3
	ds_read_b128 v[3:6], v0 offset:4096
	ds_read_b128 v[7:10], v0 offset:4112
	ds_read2_b32 v[21:22], v2 offset0:64 offset1:96
	ds_read_b128 v[11:14], v0 offset:4128
	ds_read_b128 v[15:18], v0 offset:4144
	ds_read2_b32 v[23:24], v2 offset0:128 offset1:160
	s_waitcnt lgkmcnt(0)
	s_mul_i32 s5, s9, s7
	v_fma_f32 v19, v19, v3, 0
	v_fmac_f32_e32 v19, v20, v4
	ds_read2_b32 v[3:4], v2 offset0:192 offset1:224
	v_fmac_f32_e32 v19, v21, v5
	v_fmac_f32_e32 v19, v22, v6
	;; [unrolled: 1-line block ×3, first 2 shown]
	v_add_u32_e32 v20, 0x400, v2
	ds_read2_b32 v[5:6], v20 offset1:32
	v_fmac_f32_e32 v19, v24, v8
	s_waitcnt lgkmcnt(1)
	v_fmac_f32_e32 v19, v3, v9
	v_fmac_f32_e32 v19, v4, v10
	ds_read2_b32 v[3:4], v20 offset0:64 offset1:96
	ds_read2_b32 v[7:8], v20 offset0:128 offset1:160
	s_waitcnt lgkmcnt(2)
	v_fmac_f32_e32 v19, v5, v11
	v_fmac_f32_e32 v19, v6, v12
	ds_read2_b32 v[9:10], v20 offset0:192 offset1:224
	s_waitcnt lgkmcnt(2)
	v_fmac_f32_e32 v19, v3, v13
	v_fmac_f32_e32 v19, v4, v14
	s_waitcnt lgkmcnt(1)
	v_fmac_f32_e32 v19, v7, v15
	v_fmac_f32_e32 v19, v8, v16
	s_waitcnt lgkmcnt(0)
	v_fmac_f32_e32 v19, v9, v17
	v_add_u32_e32 v17, 0x800, v2
	ds_read2_b32 v[11:12], v17 offset1:32
	ds_read_b128 v[3:6], v0 offset:4160
	v_fmac_f32_e32 v19, v10, v18
	ds_read2_b32 v[13:14], v17 offset0:64 offset1:96
	ds_read2_b32 v[15:16], v17 offset0:128 offset1:160
	ds_read_b128 v[7:10], v0 offset:4176
	s_mul_hi_u32 s9, s8, s7
	s_mul_i32 s4, s8, s7
	s_waitcnt lgkmcnt(3)
	v_fmac_f32_e32 v19, v11, v3
	v_fmac_f32_e32 v19, v12, v4
	s_waitcnt lgkmcnt(2)
	v_fmac_f32_e32 v19, v13, v5
	ds_read2_b32 v[11:12], v17 offset0:192 offset1:224
	v_fmac_f32_e32 v19, v14, v6
	s_waitcnt lgkmcnt(1)
	v_fmac_f32_e32 v19, v15, v7
	v_add_u32_e32 v15, 0xc00, v2
	ds_read2_b32 v[13:14], v15 offset1:32
	ds_read_b128 v[3:6], v0 offset:4192
	s_add_i32 s5, s9, s5
	v_fmac_f32_e32 v19, v16, v8
	s_lshl_b64 s[4:5], s[4:5], 2
	s_waitcnt lgkmcnt(2)
	v_fmac_f32_e32 v19, v11, v9
	s_mul_i32 s7, s2, s10
	s_add_u32 s4, s0, s4
	s_mul_hi_u32 s0, s2, s6
	v_fmac_f32_e32 v19, v12, v10
	ds_read2_b32 v[11:12], v15 offset0:64 offset1:96
	ds_read_b128 v[7:10], v0 offset:4208
	s_addc_u32 s5, s1, s5
	s_add_i32 s0, s0, s7
	s_mul_i32 s1, s3, s6
	s_add_i32 s1, s0, s1
	s_mul_i32 s0, s2, s6
	s_waitcnt lgkmcnt(2)
	v_fmac_f32_e32 v19, v13, v3
	s_lshl_b64 s[0:1], s[0:1], 2
	v_fmac_f32_e32 v19, v14, v4
	s_add_u32 s4, s4, s0
	s_waitcnt lgkmcnt(1)
	v_fmac_f32_e32 v19, v11, v5
	s_addc_u32 s5, s5, s1
	v_fmac_f32_e32 v19, v12, v6
	v_mad_u64_u32 v[5:6], s[0:1], s2, v1, 0
	ds_read2_b32 v[3:4], v15 offset0:128 offset1:160
	ds_read2_b32 v[11:12], v15 offset0:192 offset1:224
	v_mov_b32_e32 v0, v6
	v_mad_u64_u32 v[0:1], s[0:1], s3, v1, v[0:1]
	s_waitcnt lgkmcnt(1)
	v_fmac_f32_e32 v19, v3, v7
	v_fmac_f32_e32 v19, v4, v8
	v_mov_b32_e32 v6, v0
	v_lshlrev_b64 v[0:1], 2, v[5:6]
	v_mov_b32_e32 v4, s5
	v_add_co_u32_e32 v0, vcc, s4, v0
	s_waitcnt lgkmcnt(0)
	v_fmac_f32_e32 v19, v11, v9
	v_addc_co_u32_e32 v1, vcc, v4, v1, vcc
	v_fmac_f32_e32 v19, v12, v10
	v_add_co_u32_e32 v0, vcc, v0, v2
	v_mul_f32_e32 v3, s24, v19
	v_addc_co_u32_e32 v1, vcc, 0, v1, vcc
	global_store_dword v[0:1], v3, off
.LBB26_15:
	s_endpgm
	.section	.rodata,"a",@progbits
	.p2align	6, 0x0
	.amdhsa_kernel _ZL23rocblas_trmm_lTx_kernelILi32ELb0EfPKfS0_fEv13rocblas_fill_17rocblas_diagonal_iiT2_lPT3_llS6_llPT4_lli
		.amdhsa_group_segment_fixed_size 8192
		.amdhsa_private_segment_fixed_size 0
		.amdhsa_kernarg_size 108
		.amdhsa_user_sgpr_count 6
		.amdhsa_user_sgpr_private_segment_buffer 1
		.amdhsa_user_sgpr_dispatch_ptr 0
		.amdhsa_user_sgpr_queue_ptr 0
		.amdhsa_user_sgpr_kernarg_segment_ptr 1
		.amdhsa_user_sgpr_dispatch_id 0
		.amdhsa_user_sgpr_flat_scratch_init 0
		.amdhsa_user_sgpr_private_segment_size 0
		.amdhsa_uses_dynamic_stack 0
		.amdhsa_system_sgpr_private_segment_wavefront_offset 0
		.amdhsa_system_sgpr_workgroup_id_x 1
		.amdhsa_system_sgpr_workgroup_id_y 0
		.amdhsa_system_sgpr_workgroup_id_z 1
		.amdhsa_system_sgpr_workgroup_info 0
		.amdhsa_system_vgpr_workitem_id 1
		.amdhsa_next_free_vgpr 29
		.amdhsa_next_free_sgpr 61
		.amdhsa_reserve_vcc 1
		.amdhsa_reserve_flat_scratch 0
		.amdhsa_float_round_mode_32 0
		.amdhsa_float_round_mode_16_64 0
		.amdhsa_float_denorm_mode_32 3
		.amdhsa_float_denorm_mode_16_64 3
		.amdhsa_dx10_clamp 1
		.amdhsa_ieee_mode 1
		.amdhsa_fp16_overflow 0
		.amdhsa_exception_fp_ieee_invalid_op 0
		.amdhsa_exception_fp_denorm_src 0
		.amdhsa_exception_fp_ieee_div_zero 0
		.amdhsa_exception_fp_ieee_overflow 0
		.amdhsa_exception_fp_ieee_underflow 0
		.amdhsa_exception_fp_ieee_inexact 0
		.amdhsa_exception_int_div_zero 0
	.end_amdhsa_kernel
	.section	.text._ZL23rocblas_trmm_lTx_kernelILi32ELb0EfPKfS0_fEv13rocblas_fill_17rocblas_diagonal_iiT2_lPT3_llS6_llPT4_lli,"axG",@progbits,_ZL23rocblas_trmm_lTx_kernelILi32ELb0EfPKfS0_fEv13rocblas_fill_17rocblas_diagonal_iiT2_lPT3_llS6_llPT4_lli,comdat
.Lfunc_end26:
	.size	_ZL23rocblas_trmm_lTx_kernelILi32ELb0EfPKfS0_fEv13rocblas_fill_17rocblas_diagonal_iiT2_lPT3_llS6_llPT4_lli, .Lfunc_end26-_ZL23rocblas_trmm_lTx_kernelILi32ELb0EfPKfS0_fEv13rocblas_fill_17rocblas_diagonal_iiT2_lPT3_llS6_llPT4_lli
                                        ; -- End function
	.set _ZL23rocblas_trmm_lTx_kernelILi32ELb0EfPKfS0_fEv13rocblas_fill_17rocblas_diagonal_iiT2_lPT3_llS6_llPT4_lli.num_vgpr, 25
	.set _ZL23rocblas_trmm_lTx_kernelILi32ELb0EfPKfS0_fEv13rocblas_fill_17rocblas_diagonal_iiT2_lPT3_llS6_llPT4_lli.num_agpr, 0
	.set _ZL23rocblas_trmm_lTx_kernelILi32ELb0EfPKfS0_fEv13rocblas_fill_17rocblas_diagonal_iiT2_lPT3_llS6_llPT4_lli.numbered_sgpr, 25
	.set _ZL23rocblas_trmm_lTx_kernelILi32ELb0EfPKfS0_fEv13rocblas_fill_17rocblas_diagonal_iiT2_lPT3_llS6_llPT4_lli.num_named_barrier, 0
	.set _ZL23rocblas_trmm_lTx_kernelILi32ELb0EfPKfS0_fEv13rocblas_fill_17rocblas_diagonal_iiT2_lPT3_llS6_llPT4_lli.private_seg_size, 0
	.set _ZL23rocblas_trmm_lTx_kernelILi32ELb0EfPKfS0_fEv13rocblas_fill_17rocblas_diagonal_iiT2_lPT3_llS6_llPT4_lli.uses_vcc, 1
	.set _ZL23rocblas_trmm_lTx_kernelILi32ELb0EfPKfS0_fEv13rocblas_fill_17rocblas_diagonal_iiT2_lPT3_llS6_llPT4_lli.uses_flat_scratch, 0
	.set _ZL23rocblas_trmm_lTx_kernelILi32ELb0EfPKfS0_fEv13rocblas_fill_17rocblas_diagonal_iiT2_lPT3_llS6_llPT4_lli.has_dyn_sized_stack, 0
	.set _ZL23rocblas_trmm_lTx_kernelILi32ELb0EfPKfS0_fEv13rocblas_fill_17rocblas_diagonal_iiT2_lPT3_llS6_llPT4_lli.has_recursion, 0
	.set _ZL23rocblas_trmm_lTx_kernelILi32ELb0EfPKfS0_fEv13rocblas_fill_17rocblas_diagonal_iiT2_lPT3_llS6_llPT4_lli.has_indirect_call, 0
	.section	.AMDGPU.csdata,"",@progbits
; Kernel info:
; codeLenInByte = 1144
; TotalNumSgprs: 29
; NumVgprs: 25
; ScratchSize: 0
; MemoryBound: 0
; FloatMode: 240
; IeeeMode: 1
; LDSByteSize: 8192 bytes/workgroup (compile time only)
; SGPRBlocks: 8
; VGPRBlocks: 7
; NumSGPRsForWavesPerEU: 65
; NumVGPRsForWavesPerEU: 29
; Occupancy: 8
; WaveLimiterHint : 0
; COMPUTE_PGM_RSRC2:SCRATCH_EN: 0
; COMPUTE_PGM_RSRC2:USER_SGPR: 6
; COMPUTE_PGM_RSRC2:TRAP_HANDLER: 0
; COMPUTE_PGM_RSRC2:TGID_X_EN: 1
; COMPUTE_PGM_RSRC2:TGID_Y_EN: 0
; COMPUTE_PGM_RSRC2:TGID_Z_EN: 1
; COMPUTE_PGM_RSRC2:TIDIG_COMP_CNT: 1
	.section	.text._ZL23rocblas_trmm_lTx_kernelILi32ELb0EffKffEv13rocblas_fill_17rocblas_diagonal_iiT2_lPT3_llS5_llPT4_lli,"axG",@progbits,_ZL23rocblas_trmm_lTx_kernelILi32ELb0EffKffEv13rocblas_fill_17rocblas_diagonal_iiT2_lPT3_llS5_llPT4_lli,comdat
	.globl	_ZL23rocblas_trmm_lTx_kernelILi32ELb0EffKffEv13rocblas_fill_17rocblas_diagonal_iiT2_lPT3_llS5_llPT4_lli ; -- Begin function _ZL23rocblas_trmm_lTx_kernelILi32ELb0EffKffEv13rocblas_fill_17rocblas_diagonal_iiT2_lPT3_llS5_llPT4_lli
	.p2align	8
	.type	_ZL23rocblas_trmm_lTx_kernelILi32ELb0EffKffEv13rocblas_fill_17rocblas_diagonal_iiT2_lPT3_llS5_llPT4_lli,@function
_ZL23rocblas_trmm_lTx_kernelILi32ELb0EffKffEv13rocblas_fill_17rocblas_diagonal_iiT2_lPT3_llS5_llPT4_lli: ; @_ZL23rocblas_trmm_lTx_kernelILi32ELb0EffKffEv13rocblas_fill_17rocblas_diagonal_iiT2_lPT3_llS5_llPT4_lli
; %bb.0:
	s_load_dword s28, s[4:5], 0x10
	s_waitcnt lgkmcnt(0)
	v_cmp_eq_f32_e64 s[0:1], s28, 0
	s_and_b64 vcc, exec, s[0:1]
	s_cbranch_vccnz .LBB27_15
; %bb.1:
	s_load_dwordx4 s[24:27], s[4:5], 0x0
	s_load_dwordx16 s[8:23], s[4:5], 0x20
	v_lshlrev_b32_e32 v3, 5, v1
	v_add_lshl_u32 v4, v3, v0, 2
	v_mov_b32_e32 v2, 0
	s_waitcnt lgkmcnt(0)
	v_cmp_gt_i32_e64 s[0:1], s26, v1
	v_cmp_gt_i32_e32 vcc, s26, v0
	ds_write2st64_b32 v4, v2, v2 offset1:16
	s_and_b64 s[0:1], s[0:1], vcc
	v_lshlrev_b32_e32 v2, 2, v0
	s_waitcnt lgkmcnt(0)
	s_barrier
	s_and_saveexec_b64 s[2:3], s[0:1]
	s_cbranch_execz .LBB27_3
; %bb.2:
	v_mad_u64_u32 v[5:6], s[0:1], s10, v1, 0
	s_mul_i32 s13, s13, s7
	s_mul_hi_u32 s0, s12, s7
	v_mad_u64_u32 v[6:7], s[10:11], s11, v1, v[6:7]
	s_add_i32 s1, s0, s13
	s_mul_i32 s0, s12, s7
	s_lshl_b64 s[0:1], s[0:1], 2
	s_add_u32 s0, s8, s0
	v_lshlrev_b64 v[5:6], 2, v[5:6]
	s_addc_u32 s1, s9, s1
	v_mov_b32_e32 v7, s1
	v_add_co_u32_e64 v5, s[0:1], s0, v5
	v_addc_co_u32_e64 v6, s[0:1], v7, v6, s[0:1]
	v_add_co_u32_e64 v5, s[0:1], v5, v2
	v_addc_co_u32_e64 v6, s[0:1], 0, v6, s[0:1]
	global_load_dword v5, v[5:6], off
	v_lshlrev_b32_e32 v6, 2, v1
	v_lshl_add_u32 v6, v0, 7, v6
	s_waitcnt vmcnt(0)
	ds_write_b32 v6, v5
.LBB27_3:
	s_or_b64 exec, exec, s[2:3]
	s_add_i32 s0, s27, -1
	s_ashr_i32 s1, s0, 31
	s_lshr_b32 s1, s1, 27
	s_add_i32 s0, s0, s1
	s_ashr_i32 s1, s0, 5
	s_andn2_b32 s0, s0, 31
	s_sub_i32 s0, s27, s0
	s_cmp_ge_i32 s6, s1
	s_cselect_b32 s0, s0, 32
	s_lshl_b32 s6, s6, 5
	v_cmp_gt_i32_e64 s[0:1], s0, v1
	s_ashr_i32 s10, s6, 31
	s_and_b64 s[0:1], vcc, s[0:1]
	s_and_saveexec_b64 s[2:3], s[0:1]
	s_cbranch_execz .LBB27_5
; %bb.4:
	s_mul_i32 s8, s19, s7
	s_mul_hi_u32 s9, s18, s7
	s_add_i32 s9, s9, s8
	s_mul_i32 s8, s18, s7
	s_lshl_b64 s[8:9], s[8:9], 2
	s_add_u32 s11, s14, s8
	s_addc_u32 s14, s15, s9
	s_mul_i32 s8, s16, s10
	s_mul_hi_u32 s9, s16, s6
	s_add_i32 s12, s9, s8
	v_mad_u64_u32 v[5:6], s[8:9], s16, v1, 0
	s_mul_i32 s8, s17, s6
	s_add_i32 s9, s12, s8
	v_mad_u64_u32 v[6:7], s[12:13], s17, v1, v[6:7]
	s_mul_i32 s8, s16, s6
	s_lshl_b64 s[8:9], s[8:9], 2
	s_add_u32 s8, s11, s8
	v_lshlrev_b64 v[5:6], 2, v[5:6]
	s_addc_u32 s9, s14, s9
	v_mov_b32_e32 v7, s9
	v_add_co_u32_e32 v5, vcc, s8, v5
	v_addc_co_u32_e32 v6, vcc, v7, v6, vcc
	v_add_co_u32_e32 v5, vcc, v5, v2
	v_addc_co_u32_e32 v6, vcc, 0, v6, vcc
	global_load_dword v5, v[5:6], off
	v_add_u32_e32 v6, 0x1000, v4
	s_waitcnt vmcnt(0)
	ds_write_b32 v6, v5
.LBB27_5:
	s_or_b64 exec, exec, s[2:3]
	s_cmpk_eq_i32 s25, 0x84
	s_cselect_b64 s[2:3], -1, 0
	v_cmp_eq_u32_e32 vcc, v1, v0
	s_and_b64 s[8:9], vcc, s[2:3]
	s_and_saveexec_b64 s[2:3], s[8:9]
; %bb.6:
	v_mov_b32_e32 v5, 1.0
	ds_write_b32 v4, v5
; %bb.7:
	s_or_b64 exec, exec, s[2:3]
	s_cmpk_lg_i32 s24, 0x7a
	s_waitcnt lgkmcnt(0)
	s_barrier
	s_cbranch_scc0 .LBB27_9
; %bb.8:
	v_cmp_lt_u32_e32 vcc, v0, v1
	s_and_b64 s[2:3], vcc, exec
	s_cbranch_execz .LBB27_10
	s_branch .LBB27_11
.LBB27_9:
	s_mov_b64 s[2:3], 0
.LBB27_10:
	v_cmp_gt_u32_e32 vcc, v0, v1
	s_andn2_b64 s[2:3], s[2:3], exec
	s_and_b64 s[8:9], vcc, exec
	s_or_b64 s[2:3], s[2:3], s[8:9]
.LBB27_11:
	s_and_saveexec_b64 s[8:9], s[2:3]
; %bb.12:
	v_mov_b32_e32 v0, 0
	ds_write_b32 v4, v0
; %bb.13:
	s_or_b64 exec, exec, s[8:9]
	s_waitcnt lgkmcnt(0)
	s_barrier
	s_and_saveexec_b64 s[2:3], s[0:1]
	s_cbranch_execz .LBB27_15
; %bb.14:
	ds_read2_b32 v[19:20], v2 offset1:32
	v_lshlrev_b32_e32 v0, 2, v3
	ds_read_b128 v[3:6], v0 offset:4096
	ds_read_b128 v[7:10], v0 offset:4112
	ds_read2_b32 v[21:22], v2 offset0:64 offset1:96
	ds_read_b128 v[11:14], v0 offset:4128
	ds_read_b128 v[15:18], v0 offset:4144
	ds_read2_b32 v[23:24], v2 offset0:128 offset1:160
	s_load_dwordx2 s[0:1], s[4:5], 0x60
	s_waitcnt lgkmcnt(0)
	v_fma_f32 v19, v19, v3, 0
	v_fmac_f32_e32 v19, v20, v4
	ds_read2_b32 v[3:4], v2 offset0:192 offset1:224
	v_fmac_f32_e32 v19, v21, v5
	v_fmac_f32_e32 v19, v22, v6
	;; [unrolled: 1-line block ×3, first 2 shown]
	v_add_u32_e32 v20, 0x400, v2
	ds_read2_b32 v[5:6], v20 offset1:32
	v_fmac_f32_e32 v19, v24, v8
	s_waitcnt lgkmcnt(1)
	v_fmac_f32_e32 v19, v3, v9
	v_fmac_f32_e32 v19, v4, v10
	ds_read2_b32 v[3:4], v20 offset0:64 offset1:96
	ds_read2_b32 v[7:8], v20 offset0:128 offset1:160
	s_waitcnt lgkmcnt(2)
	v_fmac_f32_e32 v19, v5, v11
	v_fmac_f32_e32 v19, v6, v12
	ds_read2_b32 v[9:10], v20 offset0:192 offset1:224
	s_waitcnt lgkmcnt(2)
	v_fmac_f32_e32 v19, v3, v13
	v_fmac_f32_e32 v19, v4, v14
	s_waitcnt lgkmcnt(1)
	v_fmac_f32_e32 v19, v7, v15
	v_fmac_f32_e32 v19, v8, v16
	s_waitcnt lgkmcnt(0)
	v_fmac_f32_e32 v19, v9, v17
	v_add_u32_e32 v17, 0x800, v2
	ds_read2_b32 v[11:12], v17 offset1:32
	ds_read_b128 v[3:6], v0 offset:4160
	v_fmac_f32_e32 v19, v10, v18
	ds_read2_b32 v[13:14], v17 offset0:64 offset1:96
	ds_read2_b32 v[15:16], v17 offset0:128 offset1:160
	ds_read_b128 v[7:10], v0 offset:4176
	s_mul_i32 s1, s1, s7
	s_mul_hi_u32 s4, s0, s7
	s_waitcnt lgkmcnt(3)
	v_fmac_f32_e32 v19, v11, v3
	v_fmac_f32_e32 v19, v12, v4
	s_waitcnt lgkmcnt(2)
	v_fmac_f32_e32 v19, v13, v5
	ds_read2_b32 v[11:12], v17 offset0:192 offset1:224
	v_fmac_f32_e32 v19, v14, v6
	s_waitcnt lgkmcnt(1)
	v_fmac_f32_e32 v19, v15, v7
	v_add_u32_e32 v15, 0xc00, v2
	ds_read2_b32 v[13:14], v15 offset1:32
	ds_read_b128 v[3:6], v0 offset:4192
	s_mul_i32 s0, s0, s7
	s_add_i32 s1, s4, s1
	v_fmac_f32_e32 v19, v16, v8
	s_lshl_b64 s[0:1], s[0:1], 2
	s_waitcnt lgkmcnt(2)
	v_fmac_f32_e32 v19, v11, v9
	s_mul_i32 s2, s22, s10
	s_mul_hi_u32 s3, s22, s6
	s_add_u32 s4, s20, s0
	v_fmac_f32_e32 v19, v12, v10
	ds_read2_b32 v[11:12], v15 offset0:64 offset1:96
	ds_read_b128 v[7:10], v0 offset:4208
	s_addc_u32 s5, s21, s1
	s_add_i32 s0, s3, s2
	s_mul_i32 s1, s23, s6
	s_add_i32 s1, s0, s1
	s_mul_i32 s0, s22, s6
	s_waitcnt lgkmcnt(2)
	v_fmac_f32_e32 v19, v13, v3
	s_lshl_b64 s[0:1], s[0:1], 2
	v_fmac_f32_e32 v19, v14, v4
	s_add_u32 s2, s4, s0
	s_waitcnt lgkmcnt(1)
	v_fmac_f32_e32 v19, v11, v5
	s_addc_u32 s3, s5, s1
	v_fmac_f32_e32 v19, v12, v6
	v_mad_u64_u32 v[5:6], s[0:1], s22, v1, 0
	ds_read2_b32 v[3:4], v15 offset0:128 offset1:160
	ds_read2_b32 v[11:12], v15 offset0:192 offset1:224
	v_mov_b32_e32 v0, v6
	v_mad_u64_u32 v[0:1], s[0:1], s23, v1, v[0:1]
	s_waitcnt lgkmcnt(1)
	v_fmac_f32_e32 v19, v3, v7
	v_fmac_f32_e32 v19, v4, v8
	v_mov_b32_e32 v6, v0
	v_lshlrev_b64 v[0:1], 2, v[5:6]
	v_mov_b32_e32 v4, s3
	v_add_co_u32_e32 v0, vcc, s2, v0
	s_waitcnt lgkmcnt(0)
	v_fmac_f32_e32 v19, v11, v9
	v_addc_co_u32_e32 v1, vcc, v4, v1, vcc
	v_fmac_f32_e32 v19, v12, v10
	v_add_co_u32_e32 v0, vcc, v0, v2
	v_mul_f32_e32 v3, s28, v19
	v_addc_co_u32_e32 v1, vcc, 0, v1, vcc
	global_store_dword v[0:1], v3, off
.LBB27_15:
	s_endpgm
	.section	.rodata,"a",@progbits
	.p2align	6, 0x0
	.amdhsa_kernel _ZL23rocblas_trmm_lTx_kernelILi32ELb0EffKffEv13rocblas_fill_17rocblas_diagonal_iiT2_lPT3_llS5_llPT4_lli
		.amdhsa_group_segment_fixed_size 8192
		.amdhsa_private_segment_fixed_size 0
		.amdhsa_kernarg_size 108
		.amdhsa_user_sgpr_count 6
		.amdhsa_user_sgpr_private_segment_buffer 1
		.amdhsa_user_sgpr_dispatch_ptr 0
		.amdhsa_user_sgpr_queue_ptr 0
		.amdhsa_user_sgpr_kernarg_segment_ptr 1
		.amdhsa_user_sgpr_dispatch_id 0
		.amdhsa_user_sgpr_flat_scratch_init 0
		.amdhsa_user_sgpr_private_segment_size 0
		.amdhsa_uses_dynamic_stack 0
		.amdhsa_system_sgpr_private_segment_wavefront_offset 0
		.amdhsa_system_sgpr_workgroup_id_x 1
		.amdhsa_system_sgpr_workgroup_id_y 0
		.amdhsa_system_sgpr_workgroup_id_z 1
		.amdhsa_system_sgpr_workgroup_info 0
		.amdhsa_system_vgpr_workitem_id 1
		.amdhsa_next_free_vgpr 29
		.amdhsa_next_free_sgpr 61
		.amdhsa_reserve_vcc 1
		.amdhsa_reserve_flat_scratch 0
		.amdhsa_float_round_mode_32 0
		.amdhsa_float_round_mode_16_64 0
		.amdhsa_float_denorm_mode_32 3
		.amdhsa_float_denorm_mode_16_64 3
		.amdhsa_dx10_clamp 1
		.amdhsa_ieee_mode 1
		.amdhsa_fp16_overflow 0
		.amdhsa_exception_fp_ieee_invalid_op 0
		.amdhsa_exception_fp_denorm_src 0
		.amdhsa_exception_fp_ieee_div_zero 0
		.amdhsa_exception_fp_ieee_overflow 0
		.amdhsa_exception_fp_ieee_underflow 0
		.amdhsa_exception_fp_ieee_inexact 0
		.amdhsa_exception_int_div_zero 0
	.end_amdhsa_kernel
	.section	.text._ZL23rocblas_trmm_lTx_kernelILi32ELb0EffKffEv13rocblas_fill_17rocblas_diagonal_iiT2_lPT3_llS5_llPT4_lli,"axG",@progbits,_ZL23rocblas_trmm_lTx_kernelILi32ELb0EffKffEv13rocblas_fill_17rocblas_diagonal_iiT2_lPT3_llS5_llPT4_lli,comdat
.Lfunc_end27:
	.size	_ZL23rocblas_trmm_lTx_kernelILi32ELb0EffKffEv13rocblas_fill_17rocblas_diagonal_iiT2_lPT3_llS5_llPT4_lli, .Lfunc_end27-_ZL23rocblas_trmm_lTx_kernelILi32ELb0EffKffEv13rocblas_fill_17rocblas_diagonal_iiT2_lPT3_llS5_llPT4_lli
                                        ; -- End function
	.set _ZL23rocblas_trmm_lTx_kernelILi32ELb0EffKffEv13rocblas_fill_17rocblas_diagonal_iiT2_lPT3_llS5_llPT4_lli.num_vgpr, 25
	.set _ZL23rocblas_trmm_lTx_kernelILi32ELb0EffKffEv13rocblas_fill_17rocblas_diagonal_iiT2_lPT3_llS5_llPT4_lli.num_agpr, 0
	.set _ZL23rocblas_trmm_lTx_kernelILi32ELb0EffKffEv13rocblas_fill_17rocblas_diagonal_iiT2_lPT3_llS5_llPT4_lli.numbered_sgpr, 29
	.set _ZL23rocblas_trmm_lTx_kernelILi32ELb0EffKffEv13rocblas_fill_17rocblas_diagonal_iiT2_lPT3_llS5_llPT4_lli.num_named_barrier, 0
	.set _ZL23rocblas_trmm_lTx_kernelILi32ELb0EffKffEv13rocblas_fill_17rocblas_diagonal_iiT2_lPT3_llS5_llPT4_lli.private_seg_size, 0
	.set _ZL23rocblas_trmm_lTx_kernelILi32ELb0EffKffEv13rocblas_fill_17rocblas_diagonal_iiT2_lPT3_llS5_llPT4_lli.uses_vcc, 1
	.set _ZL23rocblas_trmm_lTx_kernelILi32ELb0EffKffEv13rocblas_fill_17rocblas_diagonal_iiT2_lPT3_llS5_llPT4_lli.uses_flat_scratch, 0
	.set _ZL23rocblas_trmm_lTx_kernelILi32ELb0EffKffEv13rocblas_fill_17rocblas_diagonal_iiT2_lPT3_llS5_llPT4_lli.has_dyn_sized_stack, 0
	.set _ZL23rocblas_trmm_lTx_kernelILi32ELb0EffKffEv13rocblas_fill_17rocblas_diagonal_iiT2_lPT3_llS5_llPT4_lli.has_recursion, 0
	.set _ZL23rocblas_trmm_lTx_kernelILi32ELb0EffKffEv13rocblas_fill_17rocblas_diagonal_iiT2_lPT3_llS5_llPT4_lli.has_indirect_call, 0
	.section	.AMDGPU.csdata,"",@progbits
; Kernel info:
; codeLenInByte = 1108
; TotalNumSgprs: 33
; NumVgprs: 25
; ScratchSize: 0
; MemoryBound: 0
; FloatMode: 240
; IeeeMode: 1
; LDSByteSize: 8192 bytes/workgroup (compile time only)
; SGPRBlocks: 8
; VGPRBlocks: 7
; NumSGPRsForWavesPerEU: 65
; NumVGPRsForWavesPerEU: 29
; Occupancy: 8
; WaveLimiterHint : 0
; COMPUTE_PGM_RSRC2:SCRATCH_EN: 0
; COMPUTE_PGM_RSRC2:USER_SGPR: 6
; COMPUTE_PGM_RSRC2:TRAP_HANDLER: 0
; COMPUTE_PGM_RSRC2:TGID_X_EN: 1
; COMPUTE_PGM_RSRC2:TGID_Y_EN: 0
; COMPUTE_PGM_RSRC2:TGID_Z_EN: 1
; COMPUTE_PGM_RSRC2:TIDIG_COMP_CNT: 1
	.section	.text._ZL23rocblas_trmm_lTx_kernelILi32ELb1EfPKfS0_fEv13rocblas_fill_17rocblas_diagonal_iiT2_lPT3_llS6_llPT4_lli,"axG",@progbits,_ZL23rocblas_trmm_lTx_kernelILi32ELb1EfPKfS0_fEv13rocblas_fill_17rocblas_diagonal_iiT2_lPT3_llS6_llPT4_lli,comdat
	.globl	_ZL23rocblas_trmm_lTx_kernelILi32ELb1EfPKfS0_fEv13rocblas_fill_17rocblas_diagonal_iiT2_lPT3_llS6_llPT4_lli ; -- Begin function _ZL23rocblas_trmm_lTx_kernelILi32ELb1EfPKfS0_fEv13rocblas_fill_17rocblas_diagonal_iiT2_lPT3_llS6_llPT4_lli
	.p2align	8
	.type	_ZL23rocblas_trmm_lTx_kernelILi32ELb1EfPKfS0_fEv13rocblas_fill_17rocblas_diagonal_iiT2_lPT3_llS6_llPT4_lli,@function
_ZL23rocblas_trmm_lTx_kernelILi32ELb1EfPKfS0_fEv13rocblas_fill_17rocblas_diagonal_iiT2_lPT3_llS6_llPT4_lli: ; @_ZL23rocblas_trmm_lTx_kernelILi32ELb1EfPKfS0_fEv13rocblas_fill_17rocblas_diagonal_iiT2_lPT3_llS6_llPT4_lli
; %bb.0:
	s_load_dwordx16 s[8:23], s[4:5], 0x10
	s_waitcnt lgkmcnt(0)
	s_mul_i32 s0, s11, s7
	s_mul_hi_u32 s1, s10, s7
	s_add_i32 s1, s1, s0
	s_mul_i32 s0, s10, s7
	s_lshl_b64 s[0:1], s[0:1], 2
	s_add_u32 s0, s8, s0
	s_addc_u32 s1, s9, s1
	s_load_dword s24, s[0:1], 0x0
	s_waitcnt lgkmcnt(0)
	v_cmp_eq_f32_e64 s[0:1], s24, 0
	s_and_b64 vcc, exec, s[0:1]
	s_cbranch_vccnz .LBB28_15
; %bb.1:
	s_load_dwordx4 s[8:11], s[4:5], 0x0
	v_lshlrev_b32_e32 v3, 5, v1
	v_add_lshl_u32 v4, v3, v0, 2
	v_mov_b32_e32 v2, 0
	ds_write2st64_b32 v4, v2, v2 offset1:16
	s_waitcnt lgkmcnt(0)
	v_cmp_gt_i32_e64 s[0:1], s10, v1
	v_cmp_gt_i32_e32 vcc, s10, v0
	s_and_b64 s[0:1], s[0:1], vcc
	v_lshlrev_b32_e32 v2, 2, v0
	s_barrier
	s_and_saveexec_b64 s[2:3], s[0:1]
	s_cbranch_execz .LBB28_3
; %bb.2:
	v_mad_u64_u32 v[5:6], s[0:1], s14, v1, 0
	s_mul_i32 s10, s17, s7
	s_mul_hi_u32 s0, s16, s7
	v_mad_u64_u32 v[6:7], s[14:15], s15, v1, v[6:7]
	s_add_i32 s1, s0, s10
	s_mul_i32 s0, s16, s7
	s_lshl_b64 s[0:1], s[0:1], 2
	s_add_u32 s0, s12, s0
	v_lshlrev_b64 v[5:6], 2, v[5:6]
	s_addc_u32 s1, s13, s1
	v_mov_b32_e32 v7, s1
	v_add_co_u32_e64 v5, s[0:1], s0, v5
	v_addc_co_u32_e64 v6, s[0:1], v7, v6, s[0:1]
	v_add_co_u32_e64 v5, s[0:1], v5, v2
	v_addc_co_u32_e64 v6, s[0:1], 0, v6, s[0:1]
	global_load_dword v5, v[5:6], off
	v_lshlrev_b32_e32 v6, 2, v1
	v_lshl_add_u32 v6, v0, 7, v6
	s_waitcnt vmcnt(0)
	ds_write_b32 v6, v5
.LBB28_3:
	s_or_b64 exec, exec, s[2:3]
	s_add_i32 s0, s11, -1
	s_ashr_i32 s1, s0, 31
	s_lshr_b32 s1, s1, 27
	s_add_i32 s0, s0, s1
	s_ashr_i32 s1, s0, 5
	s_andn2_b32 s0, s0, 31
	s_sub_i32 s0, s11, s0
	s_cmp_ge_i32 s6, s1
	s_cselect_b32 s0, s0, 32
	s_lshl_b32 s6, s6, 5
	v_cmp_gt_i32_e64 s[0:1], s0, v1
	s_ashr_i32 s10, s6, 31
	s_and_b64 s[0:1], vcc, s[0:1]
	s_and_saveexec_b64 s[2:3], s[0:1]
	s_cbranch_execz .LBB28_5
; %bb.4:
	s_mul_i32 s11, s23, s7
	s_mul_hi_u32 s12, s22, s7
	s_add_i32 s13, s12, s11
	s_mul_i32 s12, s22, s7
	s_lshl_b64 s[12:13], s[12:13], 2
	s_add_u32 s11, s18, s12
	s_addc_u32 s16, s19, s13
	s_mul_i32 s12, s20, s10
	s_mul_hi_u32 s13, s20, s6
	s_add_i32 s14, s13, s12
	v_mad_u64_u32 v[5:6], s[12:13], s20, v1, 0
	s_mul_i32 s12, s21, s6
	s_add_i32 s13, s14, s12
	v_mad_u64_u32 v[6:7], s[14:15], s21, v1, v[6:7]
	s_mul_i32 s12, s20, s6
	s_lshl_b64 s[12:13], s[12:13], 2
	s_add_u32 s11, s11, s12
	v_lshlrev_b64 v[5:6], 2, v[5:6]
	s_addc_u32 s12, s16, s13
	v_mov_b32_e32 v7, s12
	v_add_co_u32_e32 v5, vcc, s11, v5
	v_addc_co_u32_e32 v6, vcc, v7, v6, vcc
	v_add_co_u32_e32 v5, vcc, v5, v2
	v_addc_co_u32_e32 v6, vcc, 0, v6, vcc
	global_load_dword v5, v[5:6], off
	v_add_u32_e32 v6, 0x1000, v4
	s_waitcnt vmcnt(0)
	ds_write_b32 v6, v5
.LBB28_5:
	s_or_b64 exec, exec, s[2:3]
	s_cmpk_eq_i32 s9, 0x84
	s_cselect_b64 s[2:3], -1, 0
	v_cmp_eq_u32_e32 vcc, v1, v0
	s_and_b64 s[12:13], vcc, s[2:3]
	s_and_saveexec_b64 s[2:3], s[12:13]
; %bb.6:
	v_mov_b32_e32 v5, 1.0
	ds_write_b32 v4, v5
; %bb.7:
	s_or_b64 exec, exec, s[2:3]
	s_cmpk_lg_i32 s8, 0x7a
	s_waitcnt lgkmcnt(0)
	s_barrier
	s_cbranch_scc0 .LBB28_9
; %bb.8:
	v_cmp_lt_u32_e32 vcc, v0, v1
	s_and_b64 s[2:3], vcc, exec
	s_cbranch_execz .LBB28_10
	s_branch .LBB28_11
.LBB28_9:
	s_mov_b64 s[2:3], 0
.LBB28_10:
	v_cmp_gt_u32_e32 vcc, v0, v1
	s_andn2_b64 s[2:3], s[2:3], exec
	s_and_b64 s[8:9], vcc, exec
	s_or_b64 s[2:3], s[2:3], s[8:9]
.LBB28_11:
	s_and_saveexec_b64 s[8:9], s[2:3]
; %bb.12:
	v_mov_b32_e32 v0, 0
	ds_write_b32 v4, v0
; %bb.13:
	s_or_b64 exec, exec, s[8:9]
	s_waitcnt lgkmcnt(0)
	s_barrier
	s_and_saveexec_b64 s[2:3], s[0:1]
	s_cbranch_execz .LBB28_15
; %bb.14:
	s_load_dwordx2 s[8:9], s[4:5], 0x60
	s_load_dwordx4 s[0:3], s[4:5], 0x50
	ds_read2_b32 v[19:20], v2 offset1:32
	v_lshlrev_b32_e32 v0, 2, v3
	ds_read_b128 v[3:6], v0 offset:4096
	ds_read_b128 v[7:10], v0 offset:4112
	ds_read2_b32 v[21:22], v2 offset0:64 offset1:96
	ds_read_b128 v[11:14], v0 offset:4128
	ds_read_b128 v[15:18], v0 offset:4144
	ds_read2_b32 v[23:24], v2 offset0:128 offset1:160
	s_waitcnt lgkmcnt(0)
	s_mul_i32 s5, s9, s7
	v_fma_f32 v19, v19, v3, 0
	v_fmac_f32_e32 v19, v20, v4
	ds_read2_b32 v[3:4], v2 offset0:192 offset1:224
	v_fmac_f32_e32 v19, v21, v5
	v_fmac_f32_e32 v19, v22, v6
	;; [unrolled: 1-line block ×3, first 2 shown]
	v_add_u32_e32 v20, 0x400, v2
	ds_read2_b32 v[5:6], v20 offset1:32
	v_fmac_f32_e32 v19, v24, v8
	s_waitcnt lgkmcnt(1)
	v_fmac_f32_e32 v19, v3, v9
	v_fmac_f32_e32 v19, v4, v10
	ds_read2_b32 v[3:4], v20 offset0:64 offset1:96
	ds_read2_b32 v[7:8], v20 offset0:128 offset1:160
	s_waitcnt lgkmcnt(2)
	v_fmac_f32_e32 v19, v5, v11
	v_fmac_f32_e32 v19, v6, v12
	ds_read2_b32 v[9:10], v20 offset0:192 offset1:224
	s_waitcnt lgkmcnt(2)
	v_fmac_f32_e32 v19, v3, v13
	v_fmac_f32_e32 v19, v4, v14
	s_waitcnt lgkmcnt(1)
	v_fmac_f32_e32 v19, v7, v15
	v_fmac_f32_e32 v19, v8, v16
	s_waitcnt lgkmcnt(0)
	v_fmac_f32_e32 v19, v9, v17
	v_add_u32_e32 v17, 0x800, v2
	ds_read2_b32 v[11:12], v17 offset1:32
	ds_read_b128 v[3:6], v0 offset:4160
	v_fmac_f32_e32 v19, v10, v18
	ds_read2_b32 v[13:14], v17 offset0:64 offset1:96
	ds_read2_b32 v[15:16], v17 offset0:128 offset1:160
	ds_read_b128 v[7:10], v0 offset:4176
	s_mul_hi_u32 s9, s8, s7
	s_mul_i32 s4, s8, s7
	s_waitcnt lgkmcnt(3)
	v_fmac_f32_e32 v19, v11, v3
	v_fmac_f32_e32 v19, v12, v4
	s_waitcnt lgkmcnt(2)
	v_fmac_f32_e32 v19, v13, v5
	ds_read2_b32 v[11:12], v17 offset0:192 offset1:224
	v_fmac_f32_e32 v19, v14, v6
	s_waitcnt lgkmcnt(1)
	v_fmac_f32_e32 v19, v15, v7
	v_add_u32_e32 v15, 0xc00, v2
	ds_read2_b32 v[13:14], v15 offset1:32
	ds_read_b128 v[3:6], v0 offset:4192
	s_add_i32 s5, s9, s5
	v_fmac_f32_e32 v19, v16, v8
	s_lshl_b64 s[4:5], s[4:5], 2
	s_waitcnt lgkmcnt(2)
	v_fmac_f32_e32 v19, v11, v9
	s_mul_i32 s7, s2, s10
	s_add_u32 s4, s0, s4
	s_mul_hi_u32 s0, s2, s6
	v_fmac_f32_e32 v19, v12, v10
	ds_read2_b32 v[11:12], v15 offset0:64 offset1:96
	ds_read_b128 v[7:10], v0 offset:4208
	s_addc_u32 s5, s1, s5
	s_add_i32 s0, s0, s7
	s_mul_i32 s1, s3, s6
	s_add_i32 s1, s0, s1
	s_mul_i32 s0, s2, s6
	s_waitcnt lgkmcnt(2)
	v_fmac_f32_e32 v19, v13, v3
	s_lshl_b64 s[0:1], s[0:1], 2
	v_fmac_f32_e32 v19, v14, v4
	s_add_u32 s4, s4, s0
	s_waitcnt lgkmcnt(1)
	v_fmac_f32_e32 v19, v11, v5
	s_addc_u32 s5, s5, s1
	v_fmac_f32_e32 v19, v12, v6
	v_mad_u64_u32 v[5:6], s[0:1], s2, v1, 0
	ds_read2_b32 v[3:4], v15 offset0:128 offset1:160
	ds_read2_b32 v[11:12], v15 offset0:192 offset1:224
	v_mov_b32_e32 v0, v6
	v_mad_u64_u32 v[0:1], s[0:1], s3, v1, v[0:1]
	s_waitcnt lgkmcnt(1)
	v_fmac_f32_e32 v19, v3, v7
	v_fmac_f32_e32 v19, v4, v8
	v_mov_b32_e32 v6, v0
	v_lshlrev_b64 v[0:1], 2, v[5:6]
	v_mov_b32_e32 v4, s5
	v_add_co_u32_e32 v0, vcc, s4, v0
	s_waitcnt lgkmcnt(0)
	v_fmac_f32_e32 v19, v11, v9
	v_addc_co_u32_e32 v1, vcc, v4, v1, vcc
	v_fmac_f32_e32 v19, v12, v10
	v_add_co_u32_e32 v0, vcc, v0, v2
	v_mul_f32_e32 v3, s24, v19
	v_addc_co_u32_e32 v1, vcc, 0, v1, vcc
	global_store_dword v[0:1], v3, off
.LBB28_15:
	s_endpgm
	.section	.rodata,"a",@progbits
	.p2align	6, 0x0
	.amdhsa_kernel _ZL23rocblas_trmm_lTx_kernelILi32ELb1EfPKfS0_fEv13rocblas_fill_17rocblas_diagonal_iiT2_lPT3_llS6_llPT4_lli
		.amdhsa_group_segment_fixed_size 8192
		.amdhsa_private_segment_fixed_size 0
		.amdhsa_kernarg_size 108
		.amdhsa_user_sgpr_count 6
		.amdhsa_user_sgpr_private_segment_buffer 1
		.amdhsa_user_sgpr_dispatch_ptr 0
		.amdhsa_user_sgpr_queue_ptr 0
		.amdhsa_user_sgpr_kernarg_segment_ptr 1
		.amdhsa_user_sgpr_dispatch_id 0
		.amdhsa_user_sgpr_flat_scratch_init 0
		.amdhsa_user_sgpr_private_segment_size 0
		.amdhsa_uses_dynamic_stack 0
		.amdhsa_system_sgpr_private_segment_wavefront_offset 0
		.amdhsa_system_sgpr_workgroup_id_x 1
		.amdhsa_system_sgpr_workgroup_id_y 0
		.amdhsa_system_sgpr_workgroup_id_z 1
		.amdhsa_system_sgpr_workgroup_info 0
		.amdhsa_system_vgpr_workitem_id 1
		.amdhsa_next_free_vgpr 29
		.amdhsa_next_free_sgpr 61
		.amdhsa_reserve_vcc 1
		.amdhsa_reserve_flat_scratch 0
		.amdhsa_float_round_mode_32 0
		.amdhsa_float_round_mode_16_64 0
		.amdhsa_float_denorm_mode_32 3
		.amdhsa_float_denorm_mode_16_64 3
		.amdhsa_dx10_clamp 1
		.amdhsa_ieee_mode 1
		.amdhsa_fp16_overflow 0
		.amdhsa_exception_fp_ieee_invalid_op 0
		.amdhsa_exception_fp_denorm_src 0
		.amdhsa_exception_fp_ieee_div_zero 0
		.amdhsa_exception_fp_ieee_overflow 0
		.amdhsa_exception_fp_ieee_underflow 0
		.amdhsa_exception_fp_ieee_inexact 0
		.amdhsa_exception_int_div_zero 0
	.end_amdhsa_kernel
	.section	.text._ZL23rocblas_trmm_lTx_kernelILi32ELb1EfPKfS0_fEv13rocblas_fill_17rocblas_diagonal_iiT2_lPT3_llS6_llPT4_lli,"axG",@progbits,_ZL23rocblas_trmm_lTx_kernelILi32ELb1EfPKfS0_fEv13rocblas_fill_17rocblas_diagonal_iiT2_lPT3_llS6_llPT4_lli,comdat
.Lfunc_end28:
	.size	_ZL23rocblas_trmm_lTx_kernelILi32ELb1EfPKfS0_fEv13rocblas_fill_17rocblas_diagonal_iiT2_lPT3_llS6_llPT4_lli, .Lfunc_end28-_ZL23rocblas_trmm_lTx_kernelILi32ELb1EfPKfS0_fEv13rocblas_fill_17rocblas_diagonal_iiT2_lPT3_llS6_llPT4_lli
                                        ; -- End function
	.set _ZL23rocblas_trmm_lTx_kernelILi32ELb1EfPKfS0_fEv13rocblas_fill_17rocblas_diagonal_iiT2_lPT3_llS6_llPT4_lli.num_vgpr, 25
	.set _ZL23rocblas_trmm_lTx_kernelILi32ELb1EfPKfS0_fEv13rocblas_fill_17rocblas_diagonal_iiT2_lPT3_llS6_llPT4_lli.num_agpr, 0
	.set _ZL23rocblas_trmm_lTx_kernelILi32ELb1EfPKfS0_fEv13rocblas_fill_17rocblas_diagonal_iiT2_lPT3_llS6_llPT4_lli.numbered_sgpr, 25
	.set _ZL23rocblas_trmm_lTx_kernelILi32ELb1EfPKfS0_fEv13rocblas_fill_17rocblas_diagonal_iiT2_lPT3_llS6_llPT4_lli.num_named_barrier, 0
	.set _ZL23rocblas_trmm_lTx_kernelILi32ELb1EfPKfS0_fEv13rocblas_fill_17rocblas_diagonal_iiT2_lPT3_llS6_llPT4_lli.private_seg_size, 0
	.set _ZL23rocblas_trmm_lTx_kernelILi32ELb1EfPKfS0_fEv13rocblas_fill_17rocblas_diagonal_iiT2_lPT3_llS6_llPT4_lli.uses_vcc, 1
	.set _ZL23rocblas_trmm_lTx_kernelILi32ELb1EfPKfS0_fEv13rocblas_fill_17rocblas_diagonal_iiT2_lPT3_llS6_llPT4_lli.uses_flat_scratch, 0
	.set _ZL23rocblas_trmm_lTx_kernelILi32ELb1EfPKfS0_fEv13rocblas_fill_17rocblas_diagonal_iiT2_lPT3_llS6_llPT4_lli.has_dyn_sized_stack, 0
	.set _ZL23rocblas_trmm_lTx_kernelILi32ELb1EfPKfS0_fEv13rocblas_fill_17rocblas_diagonal_iiT2_lPT3_llS6_llPT4_lli.has_recursion, 0
	.set _ZL23rocblas_trmm_lTx_kernelILi32ELb1EfPKfS0_fEv13rocblas_fill_17rocblas_diagonal_iiT2_lPT3_llS6_llPT4_lli.has_indirect_call, 0
	.section	.AMDGPU.csdata,"",@progbits
; Kernel info:
; codeLenInByte = 1144
; TotalNumSgprs: 29
; NumVgprs: 25
; ScratchSize: 0
; MemoryBound: 0
; FloatMode: 240
; IeeeMode: 1
; LDSByteSize: 8192 bytes/workgroup (compile time only)
; SGPRBlocks: 8
; VGPRBlocks: 7
; NumSGPRsForWavesPerEU: 65
; NumVGPRsForWavesPerEU: 29
; Occupancy: 8
; WaveLimiterHint : 0
; COMPUTE_PGM_RSRC2:SCRATCH_EN: 0
; COMPUTE_PGM_RSRC2:USER_SGPR: 6
; COMPUTE_PGM_RSRC2:TRAP_HANDLER: 0
; COMPUTE_PGM_RSRC2:TGID_X_EN: 1
; COMPUTE_PGM_RSRC2:TGID_Y_EN: 0
; COMPUTE_PGM_RSRC2:TGID_Z_EN: 1
; COMPUTE_PGM_RSRC2:TIDIG_COMP_CNT: 1
	.section	.text._ZL23rocblas_trmm_lTx_kernelILi32ELb1EffKffEv13rocblas_fill_17rocblas_diagonal_iiT2_lPT3_llS5_llPT4_lli,"axG",@progbits,_ZL23rocblas_trmm_lTx_kernelILi32ELb1EffKffEv13rocblas_fill_17rocblas_diagonal_iiT2_lPT3_llS5_llPT4_lli,comdat
	.globl	_ZL23rocblas_trmm_lTx_kernelILi32ELb1EffKffEv13rocblas_fill_17rocblas_diagonal_iiT2_lPT3_llS5_llPT4_lli ; -- Begin function _ZL23rocblas_trmm_lTx_kernelILi32ELb1EffKffEv13rocblas_fill_17rocblas_diagonal_iiT2_lPT3_llS5_llPT4_lli
	.p2align	8
	.type	_ZL23rocblas_trmm_lTx_kernelILi32ELb1EffKffEv13rocblas_fill_17rocblas_diagonal_iiT2_lPT3_llS5_llPT4_lli,@function
_ZL23rocblas_trmm_lTx_kernelILi32ELb1EffKffEv13rocblas_fill_17rocblas_diagonal_iiT2_lPT3_llS5_llPT4_lli: ; @_ZL23rocblas_trmm_lTx_kernelILi32ELb1EffKffEv13rocblas_fill_17rocblas_diagonal_iiT2_lPT3_llS5_llPT4_lli
; %bb.0:
	s_load_dword s28, s[4:5], 0x10
	s_waitcnt lgkmcnt(0)
	v_cmp_eq_f32_e64 s[0:1], s28, 0
	s_and_b64 vcc, exec, s[0:1]
	s_cbranch_vccnz .LBB29_15
; %bb.1:
	s_load_dwordx4 s[24:27], s[4:5], 0x0
	s_load_dwordx16 s[8:23], s[4:5], 0x20
	v_lshlrev_b32_e32 v3, 5, v1
	v_add_lshl_u32 v4, v3, v0, 2
	v_mov_b32_e32 v2, 0
	s_waitcnt lgkmcnt(0)
	v_cmp_gt_i32_e64 s[0:1], s26, v1
	v_cmp_gt_i32_e32 vcc, s26, v0
	ds_write2st64_b32 v4, v2, v2 offset1:16
	s_and_b64 s[0:1], s[0:1], vcc
	v_lshlrev_b32_e32 v2, 2, v0
	s_waitcnt lgkmcnt(0)
	s_barrier
	s_and_saveexec_b64 s[2:3], s[0:1]
	s_cbranch_execz .LBB29_3
; %bb.2:
	v_mad_u64_u32 v[5:6], s[0:1], s10, v1, 0
	s_mul_i32 s13, s13, s7
	s_mul_hi_u32 s0, s12, s7
	v_mad_u64_u32 v[6:7], s[10:11], s11, v1, v[6:7]
	s_add_i32 s1, s0, s13
	s_mul_i32 s0, s12, s7
	s_lshl_b64 s[0:1], s[0:1], 2
	s_add_u32 s0, s8, s0
	v_lshlrev_b64 v[5:6], 2, v[5:6]
	s_addc_u32 s1, s9, s1
	v_mov_b32_e32 v7, s1
	v_add_co_u32_e64 v5, s[0:1], s0, v5
	v_addc_co_u32_e64 v6, s[0:1], v7, v6, s[0:1]
	v_add_co_u32_e64 v5, s[0:1], v5, v2
	v_addc_co_u32_e64 v6, s[0:1], 0, v6, s[0:1]
	global_load_dword v5, v[5:6], off
	v_lshlrev_b32_e32 v6, 2, v1
	v_lshl_add_u32 v6, v0, 7, v6
	s_waitcnt vmcnt(0)
	ds_write_b32 v6, v5
.LBB29_3:
	s_or_b64 exec, exec, s[2:3]
	s_add_i32 s0, s27, -1
	s_ashr_i32 s1, s0, 31
	s_lshr_b32 s1, s1, 27
	s_add_i32 s0, s0, s1
	s_ashr_i32 s1, s0, 5
	s_andn2_b32 s0, s0, 31
	s_sub_i32 s0, s27, s0
	s_cmp_ge_i32 s6, s1
	s_cselect_b32 s0, s0, 32
	s_lshl_b32 s6, s6, 5
	v_cmp_gt_i32_e64 s[0:1], s0, v1
	s_ashr_i32 s10, s6, 31
	s_and_b64 s[0:1], vcc, s[0:1]
	s_and_saveexec_b64 s[2:3], s[0:1]
	s_cbranch_execz .LBB29_5
; %bb.4:
	s_mul_i32 s8, s19, s7
	s_mul_hi_u32 s9, s18, s7
	s_add_i32 s9, s9, s8
	s_mul_i32 s8, s18, s7
	s_lshl_b64 s[8:9], s[8:9], 2
	s_add_u32 s11, s14, s8
	s_addc_u32 s14, s15, s9
	s_mul_i32 s8, s16, s10
	s_mul_hi_u32 s9, s16, s6
	s_add_i32 s12, s9, s8
	v_mad_u64_u32 v[5:6], s[8:9], s16, v1, 0
	s_mul_i32 s8, s17, s6
	s_add_i32 s9, s12, s8
	v_mad_u64_u32 v[6:7], s[12:13], s17, v1, v[6:7]
	s_mul_i32 s8, s16, s6
	s_lshl_b64 s[8:9], s[8:9], 2
	s_add_u32 s8, s11, s8
	v_lshlrev_b64 v[5:6], 2, v[5:6]
	s_addc_u32 s9, s14, s9
	v_mov_b32_e32 v7, s9
	v_add_co_u32_e32 v5, vcc, s8, v5
	v_addc_co_u32_e32 v6, vcc, v7, v6, vcc
	v_add_co_u32_e32 v5, vcc, v5, v2
	v_addc_co_u32_e32 v6, vcc, 0, v6, vcc
	global_load_dword v5, v[5:6], off
	v_add_u32_e32 v6, 0x1000, v4
	s_waitcnt vmcnt(0)
	ds_write_b32 v6, v5
.LBB29_5:
	s_or_b64 exec, exec, s[2:3]
	s_cmpk_eq_i32 s25, 0x84
	s_cselect_b64 s[2:3], -1, 0
	v_cmp_eq_u32_e32 vcc, v1, v0
	s_and_b64 s[8:9], vcc, s[2:3]
	s_and_saveexec_b64 s[2:3], s[8:9]
; %bb.6:
	v_mov_b32_e32 v5, 1.0
	ds_write_b32 v4, v5
; %bb.7:
	s_or_b64 exec, exec, s[2:3]
	s_cmpk_lg_i32 s24, 0x7a
	s_waitcnt lgkmcnt(0)
	s_barrier
	s_cbranch_scc0 .LBB29_9
; %bb.8:
	v_cmp_lt_u32_e32 vcc, v0, v1
	s_and_b64 s[2:3], vcc, exec
	s_cbranch_execz .LBB29_10
	s_branch .LBB29_11
.LBB29_9:
	s_mov_b64 s[2:3], 0
.LBB29_10:
	v_cmp_gt_u32_e32 vcc, v0, v1
	s_andn2_b64 s[2:3], s[2:3], exec
	s_and_b64 s[8:9], vcc, exec
	s_or_b64 s[2:3], s[2:3], s[8:9]
.LBB29_11:
	s_and_saveexec_b64 s[8:9], s[2:3]
; %bb.12:
	v_mov_b32_e32 v0, 0
	ds_write_b32 v4, v0
; %bb.13:
	s_or_b64 exec, exec, s[8:9]
	s_waitcnt lgkmcnt(0)
	s_barrier
	s_and_saveexec_b64 s[2:3], s[0:1]
	s_cbranch_execz .LBB29_15
; %bb.14:
	ds_read2_b32 v[19:20], v2 offset1:32
	v_lshlrev_b32_e32 v0, 2, v3
	ds_read_b128 v[3:6], v0 offset:4096
	ds_read_b128 v[7:10], v0 offset:4112
	ds_read2_b32 v[21:22], v2 offset0:64 offset1:96
	ds_read_b128 v[11:14], v0 offset:4128
	ds_read_b128 v[15:18], v0 offset:4144
	ds_read2_b32 v[23:24], v2 offset0:128 offset1:160
	s_load_dwordx2 s[0:1], s[4:5], 0x60
	s_waitcnt lgkmcnt(0)
	v_fma_f32 v19, v19, v3, 0
	v_fmac_f32_e32 v19, v20, v4
	ds_read2_b32 v[3:4], v2 offset0:192 offset1:224
	v_fmac_f32_e32 v19, v21, v5
	v_fmac_f32_e32 v19, v22, v6
	;; [unrolled: 1-line block ×3, first 2 shown]
	v_add_u32_e32 v20, 0x400, v2
	ds_read2_b32 v[5:6], v20 offset1:32
	v_fmac_f32_e32 v19, v24, v8
	s_waitcnt lgkmcnt(1)
	v_fmac_f32_e32 v19, v3, v9
	v_fmac_f32_e32 v19, v4, v10
	ds_read2_b32 v[3:4], v20 offset0:64 offset1:96
	ds_read2_b32 v[7:8], v20 offset0:128 offset1:160
	s_waitcnt lgkmcnt(2)
	v_fmac_f32_e32 v19, v5, v11
	v_fmac_f32_e32 v19, v6, v12
	ds_read2_b32 v[9:10], v20 offset0:192 offset1:224
	s_waitcnt lgkmcnt(2)
	v_fmac_f32_e32 v19, v3, v13
	v_fmac_f32_e32 v19, v4, v14
	s_waitcnt lgkmcnt(1)
	v_fmac_f32_e32 v19, v7, v15
	v_fmac_f32_e32 v19, v8, v16
	s_waitcnt lgkmcnt(0)
	v_fmac_f32_e32 v19, v9, v17
	v_add_u32_e32 v17, 0x800, v2
	ds_read2_b32 v[11:12], v17 offset1:32
	ds_read_b128 v[3:6], v0 offset:4160
	v_fmac_f32_e32 v19, v10, v18
	ds_read2_b32 v[13:14], v17 offset0:64 offset1:96
	ds_read2_b32 v[15:16], v17 offset0:128 offset1:160
	ds_read_b128 v[7:10], v0 offset:4176
	s_mul_i32 s1, s1, s7
	s_mul_hi_u32 s4, s0, s7
	s_waitcnt lgkmcnt(3)
	v_fmac_f32_e32 v19, v11, v3
	v_fmac_f32_e32 v19, v12, v4
	s_waitcnt lgkmcnt(2)
	v_fmac_f32_e32 v19, v13, v5
	ds_read2_b32 v[11:12], v17 offset0:192 offset1:224
	v_fmac_f32_e32 v19, v14, v6
	s_waitcnt lgkmcnt(1)
	v_fmac_f32_e32 v19, v15, v7
	v_add_u32_e32 v15, 0xc00, v2
	ds_read2_b32 v[13:14], v15 offset1:32
	ds_read_b128 v[3:6], v0 offset:4192
	s_mul_i32 s0, s0, s7
	s_add_i32 s1, s4, s1
	v_fmac_f32_e32 v19, v16, v8
	s_lshl_b64 s[0:1], s[0:1], 2
	s_waitcnt lgkmcnt(2)
	v_fmac_f32_e32 v19, v11, v9
	s_mul_i32 s2, s22, s10
	s_mul_hi_u32 s3, s22, s6
	s_add_u32 s4, s20, s0
	v_fmac_f32_e32 v19, v12, v10
	ds_read2_b32 v[11:12], v15 offset0:64 offset1:96
	ds_read_b128 v[7:10], v0 offset:4208
	s_addc_u32 s5, s21, s1
	s_add_i32 s0, s3, s2
	s_mul_i32 s1, s23, s6
	s_add_i32 s1, s0, s1
	s_mul_i32 s0, s22, s6
	s_waitcnt lgkmcnt(2)
	v_fmac_f32_e32 v19, v13, v3
	s_lshl_b64 s[0:1], s[0:1], 2
	v_fmac_f32_e32 v19, v14, v4
	s_add_u32 s2, s4, s0
	s_waitcnt lgkmcnt(1)
	v_fmac_f32_e32 v19, v11, v5
	s_addc_u32 s3, s5, s1
	v_fmac_f32_e32 v19, v12, v6
	v_mad_u64_u32 v[5:6], s[0:1], s22, v1, 0
	ds_read2_b32 v[3:4], v15 offset0:128 offset1:160
	ds_read2_b32 v[11:12], v15 offset0:192 offset1:224
	v_mov_b32_e32 v0, v6
	v_mad_u64_u32 v[0:1], s[0:1], s23, v1, v[0:1]
	s_waitcnt lgkmcnt(1)
	v_fmac_f32_e32 v19, v3, v7
	v_fmac_f32_e32 v19, v4, v8
	v_mov_b32_e32 v6, v0
	v_lshlrev_b64 v[0:1], 2, v[5:6]
	v_mov_b32_e32 v4, s3
	v_add_co_u32_e32 v0, vcc, s2, v0
	s_waitcnt lgkmcnt(0)
	v_fmac_f32_e32 v19, v11, v9
	v_addc_co_u32_e32 v1, vcc, v4, v1, vcc
	v_fmac_f32_e32 v19, v12, v10
	v_add_co_u32_e32 v0, vcc, v0, v2
	v_mul_f32_e32 v3, s28, v19
	v_addc_co_u32_e32 v1, vcc, 0, v1, vcc
	global_store_dword v[0:1], v3, off
.LBB29_15:
	s_endpgm
	.section	.rodata,"a",@progbits
	.p2align	6, 0x0
	.amdhsa_kernel _ZL23rocblas_trmm_lTx_kernelILi32ELb1EffKffEv13rocblas_fill_17rocblas_diagonal_iiT2_lPT3_llS5_llPT4_lli
		.amdhsa_group_segment_fixed_size 8192
		.amdhsa_private_segment_fixed_size 0
		.amdhsa_kernarg_size 108
		.amdhsa_user_sgpr_count 6
		.amdhsa_user_sgpr_private_segment_buffer 1
		.amdhsa_user_sgpr_dispatch_ptr 0
		.amdhsa_user_sgpr_queue_ptr 0
		.amdhsa_user_sgpr_kernarg_segment_ptr 1
		.amdhsa_user_sgpr_dispatch_id 0
		.amdhsa_user_sgpr_flat_scratch_init 0
		.amdhsa_user_sgpr_private_segment_size 0
		.amdhsa_uses_dynamic_stack 0
		.amdhsa_system_sgpr_private_segment_wavefront_offset 0
		.amdhsa_system_sgpr_workgroup_id_x 1
		.amdhsa_system_sgpr_workgroup_id_y 0
		.amdhsa_system_sgpr_workgroup_id_z 1
		.amdhsa_system_sgpr_workgroup_info 0
		.amdhsa_system_vgpr_workitem_id 1
		.amdhsa_next_free_vgpr 29
		.amdhsa_next_free_sgpr 61
		.amdhsa_reserve_vcc 1
		.amdhsa_reserve_flat_scratch 0
		.amdhsa_float_round_mode_32 0
		.amdhsa_float_round_mode_16_64 0
		.amdhsa_float_denorm_mode_32 3
		.amdhsa_float_denorm_mode_16_64 3
		.amdhsa_dx10_clamp 1
		.amdhsa_ieee_mode 1
		.amdhsa_fp16_overflow 0
		.amdhsa_exception_fp_ieee_invalid_op 0
		.amdhsa_exception_fp_denorm_src 0
		.amdhsa_exception_fp_ieee_div_zero 0
		.amdhsa_exception_fp_ieee_overflow 0
		.amdhsa_exception_fp_ieee_underflow 0
		.amdhsa_exception_fp_ieee_inexact 0
		.amdhsa_exception_int_div_zero 0
	.end_amdhsa_kernel
	.section	.text._ZL23rocblas_trmm_lTx_kernelILi32ELb1EffKffEv13rocblas_fill_17rocblas_diagonal_iiT2_lPT3_llS5_llPT4_lli,"axG",@progbits,_ZL23rocblas_trmm_lTx_kernelILi32ELb1EffKffEv13rocblas_fill_17rocblas_diagonal_iiT2_lPT3_llS5_llPT4_lli,comdat
.Lfunc_end29:
	.size	_ZL23rocblas_trmm_lTx_kernelILi32ELb1EffKffEv13rocblas_fill_17rocblas_diagonal_iiT2_lPT3_llS5_llPT4_lli, .Lfunc_end29-_ZL23rocblas_trmm_lTx_kernelILi32ELb1EffKffEv13rocblas_fill_17rocblas_diagonal_iiT2_lPT3_llS5_llPT4_lli
                                        ; -- End function
	.set _ZL23rocblas_trmm_lTx_kernelILi32ELb1EffKffEv13rocblas_fill_17rocblas_diagonal_iiT2_lPT3_llS5_llPT4_lli.num_vgpr, 25
	.set _ZL23rocblas_trmm_lTx_kernelILi32ELb1EffKffEv13rocblas_fill_17rocblas_diagonal_iiT2_lPT3_llS5_llPT4_lli.num_agpr, 0
	.set _ZL23rocblas_trmm_lTx_kernelILi32ELb1EffKffEv13rocblas_fill_17rocblas_diagonal_iiT2_lPT3_llS5_llPT4_lli.numbered_sgpr, 29
	.set _ZL23rocblas_trmm_lTx_kernelILi32ELb1EffKffEv13rocblas_fill_17rocblas_diagonal_iiT2_lPT3_llS5_llPT4_lli.num_named_barrier, 0
	.set _ZL23rocblas_trmm_lTx_kernelILi32ELb1EffKffEv13rocblas_fill_17rocblas_diagonal_iiT2_lPT3_llS5_llPT4_lli.private_seg_size, 0
	.set _ZL23rocblas_trmm_lTx_kernelILi32ELb1EffKffEv13rocblas_fill_17rocblas_diagonal_iiT2_lPT3_llS5_llPT4_lli.uses_vcc, 1
	.set _ZL23rocblas_trmm_lTx_kernelILi32ELb1EffKffEv13rocblas_fill_17rocblas_diagonal_iiT2_lPT3_llS5_llPT4_lli.uses_flat_scratch, 0
	.set _ZL23rocblas_trmm_lTx_kernelILi32ELb1EffKffEv13rocblas_fill_17rocblas_diagonal_iiT2_lPT3_llS5_llPT4_lli.has_dyn_sized_stack, 0
	.set _ZL23rocblas_trmm_lTx_kernelILi32ELb1EffKffEv13rocblas_fill_17rocblas_diagonal_iiT2_lPT3_llS5_llPT4_lli.has_recursion, 0
	.set _ZL23rocblas_trmm_lTx_kernelILi32ELb1EffKffEv13rocblas_fill_17rocblas_diagonal_iiT2_lPT3_llS5_llPT4_lli.has_indirect_call, 0
	.section	.AMDGPU.csdata,"",@progbits
; Kernel info:
; codeLenInByte = 1108
; TotalNumSgprs: 33
; NumVgprs: 25
; ScratchSize: 0
; MemoryBound: 0
; FloatMode: 240
; IeeeMode: 1
; LDSByteSize: 8192 bytes/workgroup (compile time only)
; SGPRBlocks: 8
; VGPRBlocks: 7
; NumSGPRsForWavesPerEU: 65
; NumVGPRsForWavesPerEU: 29
; Occupancy: 8
; WaveLimiterHint : 0
; COMPUTE_PGM_RSRC2:SCRATCH_EN: 0
; COMPUTE_PGM_RSRC2:USER_SGPR: 6
; COMPUTE_PGM_RSRC2:TRAP_HANDLER: 0
; COMPUTE_PGM_RSRC2:TGID_X_EN: 1
; COMPUTE_PGM_RSRC2:TGID_Y_EN: 0
; COMPUTE_PGM_RSRC2:TGID_Z_EN: 1
; COMPUTE_PGM_RSRC2:TIDIG_COMP_CNT: 1
	.section	.text._ZL23rocblas_trmm_rNx_kernelILi32EfPKfS0_fEv13rocblas_fill_17rocblas_diagonal_iiT1_lPT2_llS6_llPT3_lli,"axG",@progbits,_ZL23rocblas_trmm_rNx_kernelILi32EfPKfS0_fEv13rocblas_fill_17rocblas_diagonal_iiT1_lPT2_llS6_llPT3_lli,comdat
	.globl	_ZL23rocblas_trmm_rNx_kernelILi32EfPKfS0_fEv13rocblas_fill_17rocblas_diagonal_iiT1_lPT2_llS6_llPT3_lli ; -- Begin function _ZL23rocblas_trmm_rNx_kernelILi32EfPKfS0_fEv13rocblas_fill_17rocblas_diagonal_iiT1_lPT2_llS6_llPT3_lli
	.p2align	8
	.type	_ZL23rocblas_trmm_rNx_kernelILi32EfPKfS0_fEv13rocblas_fill_17rocblas_diagonal_iiT1_lPT2_llS6_llPT3_lli,@function
_ZL23rocblas_trmm_rNx_kernelILi32EfPKfS0_fEv13rocblas_fill_17rocblas_diagonal_iiT1_lPT2_llS6_llPT3_lli: ; @_ZL23rocblas_trmm_rNx_kernelILi32EfPKfS0_fEv13rocblas_fill_17rocblas_diagonal_iiT1_lPT2_llS6_llPT3_lli
; %bb.0:
	s_load_dwordx16 s[8:23], s[4:5], 0x10
	s_waitcnt lgkmcnt(0)
	s_mul_i32 s0, s11, s7
	s_mul_hi_u32 s1, s10, s7
	s_add_i32 s1, s1, s0
	s_mul_i32 s0, s10, s7
	s_lshl_b64 s[0:1], s[0:1], 2
	s_add_u32 s0, s8, s0
	s_addc_u32 s1, s9, s1
	s_load_dword s24, s[0:1], 0x0
	s_waitcnt lgkmcnt(0)
	v_cmp_eq_f32_e64 s[0:1], s24, 0
	s_and_b64 vcc, exec, s[0:1]
	s_cbranch_vccnz .LBB30_15
; %bb.1:
	s_load_dwordx4 s[8:11], s[4:5], 0x0
	v_lshlrev_b32_e32 v3, 5, v1
	v_mov_b32_e32 v2, 0
	v_add_lshl_u32 v4, v3, v0, 2
	ds_write2st64_b32 v4, v2, v2 offset1:16
	s_waitcnt lgkmcnt(0)
	v_cmp_gt_i32_e32 vcc, s11, v1
	v_cmp_gt_i32_e64 s[0:1], s11, v0
	s_and_b64 s[0:1], vcc, s[0:1]
	v_lshlrev_b32_e32 v2, 2, v0
	s_and_saveexec_b64 s[2:3], s[0:1]
	s_cbranch_execz .LBB30_3
; %bb.2:
	v_mad_u64_u32 v[5:6], s[0:1], s14, v1, 0
	s_mul_i32 s11, s17, s7
	s_mul_hi_u32 s0, s16, s7
	v_mad_u64_u32 v[6:7], s[14:15], s15, v1, v[6:7]
	s_add_i32 s1, s0, s11
	s_mul_i32 s0, s16, s7
	s_lshl_b64 s[0:1], s[0:1], 2
	s_add_u32 s0, s12, s0
	v_lshlrev_b64 v[5:6], 2, v[5:6]
	s_addc_u32 s1, s13, s1
	v_mov_b32_e32 v7, s1
	v_add_co_u32_e64 v5, s[0:1], s0, v5
	v_addc_co_u32_e64 v6, s[0:1], v7, v6, s[0:1]
	v_add_co_u32_e64 v5, s[0:1], v5, v2
	v_addc_co_u32_e64 v6, s[0:1], 0, v6, s[0:1]
	global_load_dword v5, v[5:6], off
	s_waitcnt vmcnt(0)
	ds_write_b32 v4, v5
.LBB30_3:
	s_or_b64 exec, exec, s[2:3]
	s_add_i32 s0, s10, -1
	s_ashr_i32 s1, s0, 31
	s_lshr_b32 s1, s1, 27
	s_add_i32 s0, s0, s1
	s_ashr_i32 s1, s0, 5
	s_andn2_b32 s0, s0, 31
	s_sub_i32 s0, s10, s0
	s_cmp_ge_i32 s6, s1
	s_cselect_b32 s0, s0, 32
	s_lshl_b32 s10, s6, 5
	v_cmp_gt_i32_e64 s[0:1], s0, v0
	s_ashr_i32 s11, s10, 31
	s_and_b64 s[0:1], vcc, s[0:1]
	s_and_saveexec_b64 s[2:3], s[0:1]
	s_cbranch_execz .LBB30_5
; %bb.4:
	s_mul_i32 s6, s23, s7
	s_mul_hi_u32 s12, s22, s7
	v_mad_u64_u32 v[5:6], s[14:15], s20, v1, 0
	s_add_i32 s13, s12, s6
	s_mul_i32 s12, s22, s7
	s_lshl_b64 s[12:13], s[12:13], 2
	s_add_u32 s6, s18, s12
	s_addc_u32 s14, s19, s13
	v_mad_u64_u32 v[6:7], s[12:13], s21, v1, v[6:7]
	s_lshl_b64 s[12:13], s[10:11], 2
	s_add_u32 s6, s6, s12
	v_lshlrev_b64 v[5:6], 2, v[5:6]
	s_addc_u32 s12, s14, s13
	v_mov_b32_e32 v7, s12
	v_add_co_u32_e32 v5, vcc, s6, v5
	v_addc_co_u32_e32 v6, vcc, v7, v6, vcc
	v_add_co_u32_e32 v5, vcc, v5, v2
	v_addc_co_u32_e32 v6, vcc, 0, v6, vcc
	global_load_dword v5, v[5:6], off
	v_add_u32_e32 v6, 0x1000, v4
	s_waitcnt vmcnt(0)
	ds_write_b32 v6, v5
.LBB30_5:
	s_or_b64 exec, exec, s[2:3]
	s_cmpk_eq_i32 s9, 0x84
	s_cselect_b64 s[2:3], -1, 0
	v_cmp_eq_u32_e32 vcc, v1, v0
	s_and_b64 s[12:13], vcc, s[2:3]
	s_and_saveexec_b64 s[2:3], s[12:13]
; %bb.6:
	v_mov_b32_e32 v5, 1.0
	ds_write_b32 v4, v5
; %bb.7:
	s_or_b64 exec, exec, s[2:3]
	s_cmpk_lg_i32 s8, 0x79
	s_cbranch_scc0 .LBB30_9
; %bb.8:
	v_cmp_lt_u32_e32 vcc, v0, v1
	s_and_b64 s[2:3], vcc, exec
	s_cbranch_execz .LBB30_10
	s_branch .LBB30_11
.LBB30_9:
	s_mov_b64 s[2:3], 0
.LBB30_10:
	v_cmp_gt_u32_e32 vcc, v0, v1
	s_andn2_b64 s[2:3], s[2:3], exec
	s_and_b64 s[8:9], vcc, exec
	s_or_b64 s[2:3], s[2:3], s[8:9]
.LBB30_11:
	s_and_saveexec_b64 s[8:9], s[2:3]
; %bb.12:
	v_mov_b32_e32 v0, 0
	ds_write_b32 v4, v0
; %bb.13:
	s_or_b64 exec, exec, s[8:9]
	s_waitcnt lgkmcnt(0)
	s_barrier
	s_and_saveexec_b64 s[2:3], s[0:1]
	s_cbranch_execz .LBB30_15
; %bb.14:
	v_add_u32_e32 v0, 0x1000, v2
	s_load_dwordx2 s[8:9], s[4:5], 0x60
	s_load_dwordx4 s[0:3], s[4:5], 0x50
	ds_read2_b32 v[19:20], v0 offset1:32
	v_lshlrev_b32_e32 v25, 2, v3
	ds_read_b128 v[3:6], v25
	ds_read_b128 v[7:10], v25 offset:16
	ds_read2_b32 v[21:22], v0 offset0:64 offset1:96
	ds_read_b128 v[11:14], v25 offset:32
	ds_read_b128 v[15:18], v25 offset:48
	ds_read2_b32 v[23:24], v0 offset0:128 offset1:160
	s_waitcnt lgkmcnt(0)
	s_mul_i32 s5, s9, s7
	v_fma_f32 v19, v19, v3, 0
	v_fmac_f32_e32 v19, v20, v4
	ds_read2_b32 v[3:4], v0 offset0:192 offset1:224
	v_fmac_f32_e32 v19, v21, v5
	v_fmac_f32_e32 v19, v22, v6
	;; [unrolled: 1-line block ×3, first 2 shown]
	v_add_u32_e32 v0, 0x1400, v2
	ds_read2_b32 v[5:6], v0 offset1:32
	v_fmac_f32_e32 v19, v24, v8
	s_waitcnt lgkmcnt(1)
	v_fmac_f32_e32 v19, v3, v9
	v_fmac_f32_e32 v19, v4, v10
	ds_read2_b32 v[3:4], v0 offset0:64 offset1:96
	ds_read2_b32 v[7:8], v0 offset0:128 offset1:160
	s_waitcnt lgkmcnt(2)
	v_fmac_f32_e32 v19, v5, v11
	v_fmac_f32_e32 v19, v6, v12
	ds_read2_b32 v[9:10], v0 offset0:192 offset1:224
	s_waitcnt lgkmcnt(2)
	v_fmac_f32_e32 v19, v3, v13
	v_add_u32_e32 v0, 0x1800, v2
	v_fmac_f32_e32 v19, v4, v14
	ds_read2_b32 v[11:12], v0 offset1:32
	ds_read_b128 v[3:6], v25 offset:64
	s_waitcnt lgkmcnt(3)
	v_fmac_f32_e32 v19, v7, v15
	v_fmac_f32_e32 v19, v8, v16
	s_waitcnt lgkmcnt(2)
	v_fmac_f32_e32 v19, v9, v17
	v_fmac_f32_e32 v19, v10, v18
	ds_read2_b32 v[13:14], v0 offset0:64 offset1:96
	ds_read2_b32 v[15:16], v0 offset0:128 offset1:160
	ds_read_b128 v[7:10], v25 offset:80
	s_waitcnt lgkmcnt(3)
	v_fmac_f32_e32 v19, v11, v3
	v_fmac_f32_e32 v19, v12, v4
	ds_read2_b32 v[11:12], v0 offset0:192 offset1:224
	s_waitcnt lgkmcnt(3)
	v_fmac_f32_e32 v19, v13, v5
	v_fmac_f32_e32 v19, v14, v6
	v_add_u32_e32 v0, 0x1c00, v2
	s_waitcnt lgkmcnt(1)
	v_fmac_f32_e32 v19, v15, v7
	ds_read2_b32 v[13:14], v0 offset1:32
	ds_read_b128 v[3:6], v25 offset:96
	v_fmac_f32_e32 v19, v16, v8
	s_mul_hi_u32 s6, s8, s7
	s_waitcnt lgkmcnt(2)
	v_fmac_f32_e32 v19, v11, v9
	s_mul_i32 s4, s8, s7
	s_add_i32 s5, s6, s5
	v_fmac_f32_e32 v19, v12, v10
	ds_read2_b32 v[11:12], v0 offset0:64 offset1:96
	ds_read_b128 v[7:10], v25 offset:112
	s_lshl_b64 s[4:5], s[4:5], 2
	s_add_u32 s4, s0, s4
	s_waitcnt lgkmcnt(2)
	v_fmac_f32_e32 v19, v13, v3
	s_addc_u32 s5, s1, s5
	s_lshl_b64 s[0:1], s[10:11], 2
	v_fmac_f32_e32 v19, v14, v4
	s_add_u32 s4, s4, s0
	s_waitcnt lgkmcnt(1)
	v_fmac_f32_e32 v19, v11, v5
	s_addc_u32 s5, s5, s1
	v_fmac_f32_e32 v19, v12, v6
	v_mad_u64_u32 v[5:6], s[0:1], s2, v1, 0
	ds_read2_b32 v[3:4], v0 offset0:128 offset1:160
	ds_read2_b32 v[11:12], v0 offset0:192 offset1:224
	v_mov_b32_e32 v0, v6
	v_mad_u64_u32 v[0:1], s[0:1], s3, v1, v[0:1]
	s_waitcnt lgkmcnt(1)
	v_fmac_f32_e32 v19, v3, v7
	v_fmac_f32_e32 v19, v4, v8
	v_mov_b32_e32 v6, v0
	v_lshlrev_b64 v[0:1], 2, v[5:6]
	v_mov_b32_e32 v4, s5
	v_add_co_u32_e32 v0, vcc, s4, v0
	s_waitcnt lgkmcnt(0)
	v_fmac_f32_e32 v19, v11, v9
	v_addc_co_u32_e32 v1, vcc, v4, v1, vcc
	v_fmac_f32_e32 v19, v12, v10
	v_add_co_u32_e32 v0, vcc, v0, v2
	v_mul_f32_e32 v3, s24, v19
	v_addc_co_u32_e32 v1, vcc, 0, v1, vcc
	global_store_dword v[0:1], v3, off
.LBB30_15:
	s_endpgm
	.section	.rodata,"a",@progbits
	.p2align	6, 0x0
	.amdhsa_kernel _ZL23rocblas_trmm_rNx_kernelILi32EfPKfS0_fEv13rocblas_fill_17rocblas_diagonal_iiT1_lPT2_llS6_llPT3_lli
		.amdhsa_group_segment_fixed_size 8192
		.amdhsa_private_segment_fixed_size 0
		.amdhsa_kernarg_size 108
		.amdhsa_user_sgpr_count 6
		.amdhsa_user_sgpr_private_segment_buffer 1
		.amdhsa_user_sgpr_dispatch_ptr 0
		.amdhsa_user_sgpr_queue_ptr 0
		.amdhsa_user_sgpr_kernarg_segment_ptr 1
		.amdhsa_user_sgpr_dispatch_id 0
		.amdhsa_user_sgpr_flat_scratch_init 0
		.amdhsa_user_sgpr_private_segment_size 0
		.amdhsa_uses_dynamic_stack 0
		.amdhsa_system_sgpr_private_segment_wavefront_offset 0
		.amdhsa_system_sgpr_workgroup_id_x 1
		.amdhsa_system_sgpr_workgroup_id_y 0
		.amdhsa_system_sgpr_workgroup_id_z 1
		.amdhsa_system_sgpr_workgroup_info 0
		.amdhsa_system_vgpr_workitem_id 1
		.amdhsa_next_free_vgpr 29
		.amdhsa_next_free_sgpr 61
		.amdhsa_reserve_vcc 1
		.amdhsa_reserve_flat_scratch 0
		.amdhsa_float_round_mode_32 0
		.amdhsa_float_round_mode_16_64 0
		.amdhsa_float_denorm_mode_32 3
		.amdhsa_float_denorm_mode_16_64 3
		.amdhsa_dx10_clamp 1
		.amdhsa_ieee_mode 1
		.amdhsa_fp16_overflow 0
		.amdhsa_exception_fp_ieee_invalid_op 0
		.amdhsa_exception_fp_denorm_src 0
		.amdhsa_exception_fp_ieee_div_zero 0
		.amdhsa_exception_fp_ieee_overflow 0
		.amdhsa_exception_fp_ieee_underflow 0
		.amdhsa_exception_fp_ieee_inexact 0
		.amdhsa_exception_int_div_zero 0
	.end_amdhsa_kernel
	.section	.text._ZL23rocblas_trmm_rNx_kernelILi32EfPKfS0_fEv13rocblas_fill_17rocblas_diagonal_iiT1_lPT2_llS6_llPT3_lli,"axG",@progbits,_ZL23rocblas_trmm_rNx_kernelILi32EfPKfS0_fEv13rocblas_fill_17rocblas_diagonal_iiT1_lPT2_llS6_llPT3_lli,comdat
.Lfunc_end30:
	.size	_ZL23rocblas_trmm_rNx_kernelILi32EfPKfS0_fEv13rocblas_fill_17rocblas_diagonal_iiT1_lPT2_llS6_llPT3_lli, .Lfunc_end30-_ZL23rocblas_trmm_rNx_kernelILi32EfPKfS0_fEv13rocblas_fill_17rocblas_diagonal_iiT1_lPT2_llS6_llPT3_lli
                                        ; -- End function
	.set _ZL23rocblas_trmm_rNx_kernelILi32EfPKfS0_fEv13rocblas_fill_17rocblas_diagonal_iiT1_lPT2_llS6_llPT3_lli.num_vgpr, 26
	.set _ZL23rocblas_trmm_rNx_kernelILi32EfPKfS0_fEv13rocblas_fill_17rocblas_diagonal_iiT1_lPT2_llS6_llPT3_lli.num_agpr, 0
	.set _ZL23rocblas_trmm_rNx_kernelILi32EfPKfS0_fEv13rocblas_fill_17rocblas_diagonal_iiT1_lPT2_llS6_llPT3_lli.numbered_sgpr, 25
	.set _ZL23rocblas_trmm_rNx_kernelILi32EfPKfS0_fEv13rocblas_fill_17rocblas_diagonal_iiT1_lPT2_llS6_llPT3_lli.num_named_barrier, 0
	.set _ZL23rocblas_trmm_rNx_kernelILi32EfPKfS0_fEv13rocblas_fill_17rocblas_diagonal_iiT1_lPT2_llS6_llPT3_lli.private_seg_size, 0
	.set _ZL23rocblas_trmm_rNx_kernelILi32EfPKfS0_fEv13rocblas_fill_17rocblas_diagonal_iiT1_lPT2_llS6_llPT3_lli.uses_vcc, 1
	.set _ZL23rocblas_trmm_rNx_kernelILi32EfPKfS0_fEv13rocblas_fill_17rocblas_diagonal_iiT1_lPT2_llS6_llPT3_lli.uses_flat_scratch, 0
	.set _ZL23rocblas_trmm_rNx_kernelILi32EfPKfS0_fEv13rocblas_fill_17rocblas_diagonal_iiT1_lPT2_llS6_llPT3_lli.has_dyn_sized_stack, 0
	.set _ZL23rocblas_trmm_rNx_kernelILi32EfPKfS0_fEv13rocblas_fill_17rocblas_diagonal_iiT1_lPT2_llS6_llPT3_lli.has_recursion, 0
	.set _ZL23rocblas_trmm_rNx_kernelILi32EfPKfS0_fEv13rocblas_fill_17rocblas_diagonal_iiT1_lPT2_llS6_llPT3_lli.has_indirect_call, 0
	.section	.AMDGPU.csdata,"",@progbits
; Kernel info:
; codeLenInByte = 1080
; TotalNumSgprs: 29
; NumVgprs: 26
; ScratchSize: 0
; MemoryBound: 0
; FloatMode: 240
; IeeeMode: 1
; LDSByteSize: 8192 bytes/workgroup (compile time only)
; SGPRBlocks: 8
; VGPRBlocks: 7
; NumSGPRsForWavesPerEU: 65
; NumVGPRsForWavesPerEU: 29
; Occupancy: 8
; WaveLimiterHint : 0
; COMPUTE_PGM_RSRC2:SCRATCH_EN: 0
; COMPUTE_PGM_RSRC2:USER_SGPR: 6
; COMPUTE_PGM_RSRC2:TRAP_HANDLER: 0
; COMPUTE_PGM_RSRC2:TGID_X_EN: 1
; COMPUTE_PGM_RSRC2:TGID_Y_EN: 0
; COMPUTE_PGM_RSRC2:TGID_Z_EN: 1
; COMPUTE_PGM_RSRC2:TIDIG_COMP_CNT: 1
	.section	.text._ZL23rocblas_trmm_rNx_kernelILi32EffKffEv13rocblas_fill_17rocblas_diagonal_iiT1_lPT2_llS5_llPT3_lli,"axG",@progbits,_ZL23rocblas_trmm_rNx_kernelILi32EffKffEv13rocblas_fill_17rocblas_diagonal_iiT1_lPT2_llS5_llPT3_lli,comdat
	.globl	_ZL23rocblas_trmm_rNx_kernelILi32EffKffEv13rocblas_fill_17rocblas_diagonal_iiT1_lPT2_llS5_llPT3_lli ; -- Begin function _ZL23rocblas_trmm_rNx_kernelILi32EffKffEv13rocblas_fill_17rocblas_diagonal_iiT1_lPT2_llS5_llPT3_lli
	.p2align	8
	.type	_ZL23rocblas_trmm_rNx_kernelILi32EffKffEv13rocblas_fill_17rocblas_diagonal_iiT1_lPT2_llS5_llPT3_lli,@function
_ZL23rocblas_trmm_rNx_kernelILi32EffKffEv13rocblas_fill_17rocblas_diagonal_iiT1_lPT2_llS5_llPT3_lli: ; @_ZL23rocblas_trmm_rNx_kernelILi32EffKffEv13rocblas_fill_17rocblas_diagonal_iiT1_lPT2_llS5_llPT3_lli
; %bb.0:
	s_load_dword s28, s[4:5], 0x10
	s_waitcnt lgkmcnt(0)
	v_cmp_eq_f32_e64 s[0:1], s28, 0
	s_and_b64 vcc, exec, s[0:1]
	s_cbranch_vccnz .LBB31_15
; %bb.1:
	s_load_dwordx4 s[24:27], s[4:5], 0x0
	s_load_dwordx16 s[8:23], s[4:5], 0x20
	v_lshlrev_b32_e32 v3, 5, v1
	v_add_lshl_u32 v4, v3, v0, 2
	v_mov_b32_e32 v2, 0
	s_waitcnt lgkmcnt(0)
	v_cmp_gt_i32_e32 vcc, s27, v1
	v_cmp_gt_i32_e64 s[0:1], s27, v0
	ds_write2st64_b32 v4, v2, v2 offset1:16
	s_and_b64 s[0:1], vcc, s[0:1]
	v_lshlrev_b32_e32 v2, 2, v0
	s_and_saveexec_b64 s[2:3], s[0:1]
	s_cbranch_execz .LBB31_3
; %bb.2:
	v_mad_u64_u32 v[5:6], s[0:1], s10, v1, 0
	s_mul_i32 s13, s13, s7
	s_mul_hi_u32 s0, s12, s7
	v_mad_u64_u32 v[6:7], s[10:11], s11, v1, v[6:7]
	s_add_i32 s1, s0, s13
	s_mul_i32 s0, s12, s7
	s_lshl_b64 s[0:1], s[0:1], 2
	s_add_u32 s0, s8, s0
	v_lshlrev_b64 v[5:6], 2, v[5:6]
	s_addc_u32 s1, s9, s1
	v_mov_b32_e32 v7, s1
	v_add_co_u32_e64 v5, s[0:1], s0, v5
	v_addc_co_u32_e64 v6, s[0:1], v7, v6, s[0:1]
	v_add_co_u32_e64 v5, s[0:1], v5, v2
	v_addc_co_u32_e64 v6, s[0:1], 0, v6, s[0:1]
	global_load_dword v5, v[5:6], off
	s_waitcnt vmcnt(0)
	ds_write_b32 v4, v5
.LBB31_3:
	s_or_b64 exec, exec, s[2:3]
	s_add_i32 s0, s26, -1
	s_ashr_i32 s1, s0, 31
	s_lshr_b32 s1, s1, 27
	s_add_i32 s0, s0, s1
	s_ashr_i32 s1, s0, 5
	s_andn2_b32 s0, s0, 31
	s_sub_i32 s0, s26, s0
	s_cmp_ge_i32 s6, s1
	s_cselect_b32 s0, s0, 32
	s_lshl_b32 s2, s6, 5
	v_cmp_gt_i32_e64 s[0:1], s0, v0
	s_ashr_i32 s3, s2, 31
	s_and_b64 s[0:1], vcc, s[0:1]
	s_and_saveexec_b64 s[8:9], s[0:1]
	s_cbranch_execz .LBB31_5
; %bb.4:
	s_mul_i32 s6, s19, s7
	s_mul_hi_u32 s10, s18, s7
	v_mad_u64_u32 v[5:6], s[12:13], s16, v1, 0
	s_add_i32 s11, s10, s6
	s_mul_i32 s10, s18, s7
	s_lshl_b64 s[10:11], s[10:11], 2
	s_add_u32 s6, s14, s10
	s_addc_u32 s12, s15, s11
	v_mad_u64_u32 v[6:7], s[10:11], s17, v1, v[6:7]
	s_lshl_b64 s[10:11], s[2:3], 2
	s_add_u32 s6, s6, s10
	v_lshlrev_b64 v[5:6], 2, v[5:6]
	s_addc_u32 s10, s12, s11
	v_mov_b32_e32 v7, s10
	v_add_co_u32_e32 v5, vcc, s6, v5
	v_addc_co_u32_e32 v6, vcc, v7, v6, vcc
	v_add_co_u32_e32 v5, vcc, v5, v2
	v_addc_co_u32_e32 v6, vcc, 0, v6, vcc
	global_load_dword v5, v[5:6], off
	v_add_u32_e32 v6, 0x1000, v4
	s_waitcnt vmcnt(0)
	ds_write_b32 v6, v5
.LBB31_5:
	s_or_b64 exec, exec, s[8:9]
	s_cmpk_eq_i32 s25, 0x84
	s_cselect_b64 s[8:9], -1, 0
	v_cmp_eq_u32_e32 vcc, v1, v0
	s_and_b64 s[10:11], vcc, s[8:9]
	s_and_saveexec_b64 s[8:9], s[10:11]
; %bb.6:
	v_mov_b32_e32 v5, 1.0
	ds_write_b32 v4, v5
; %bb.7:
	s_or_b64 exec, exec, s[8:9]
	s_cmpk_lg_i32 s24, 0x79
	s_cbranch_scc0 .LBB31_9
; %bb.8:
	v_cmp_lt_u32_e32 vcc, v0, v1
	s_and_b64 s[8:9], vcc, exec
	s_cbranch_execz .LBB31_10
	s_branch .LBB31_11
.LBB31_9:
	s_mov_b64 s[8:9], 0
.LBB31_10:
	v_cmp_gt_u32_e32 vcc, v0, v1
	s_andn2_b64 s[8:9], s[8:9], exec
	s_and_b64 s[10:11], vcc, exec
	s_or_b64 s[8:9], s[8:9], s[10:11]
.LBB31_11:
	s_and_saveexec_b64 s[10:11], s[8:9]
; %bb.12:
	v_mov_b32_e32 v0, 0
	ds_write_b32 v4, v0
; %bb.13:
	s_or_b64 exec, exec, s[10:11]
	s_waitcnt lgkmcnt(0)
	s_barrier
	s_and_saveexec_b64 s[8:9], s[0:1]
	s_cbranch_execz .LBB31_15
; %bb.14:
	v_add_u32_e32 v0, 0x1000, v2
	ds_read2_b32 v[19:20], v0 offset1:32
	v_lshlrev_b32_e32 v25, 2, v3
	ds_read_b128 v[3:6], v25
	ds_read_b128 v[7:10], v25 offset:16
	ds_read2_b32 v[21:22], v0 offset0:64 offset1:96
	ds_read_b128 v[11:14], v25 offset:32
	ds_read_b128 v[15:18], v25 offset:48
	ds_read2_b32 v[23:24], v0 offset0:128 offset1:160
	s_load_dwordx2 s[0:1], s[4:5], 0x60
	s_waitcnt lgkmcnt(0)
	v_fma_f32 v19, v19, v3, 0
	v_fmac_f32_e32 v19, v20, v4
	ds_read2_b32 v[3:4], v0 offset0:192 offset1:224
	v_fmac_f32_e32 v19, v21, v5
	v_fmac_f32_e32 v19, v22, v6
	;; [unrolled: 1-line block ×3, first 2 shown]
	v_add_u32_e32 v0, 0x1400, v2
	ds_read2_b32 v[5:6], v0 offset1:32
	v_fmac_f32_e32 v19, v24, v8
	s_waitcnt lgkmcnt(1)
	v_fmac_f32_e32 v19, v3, v9
	v_fmac_f32_e32 v19, v4, v10
	ds_read2_b32 v[3:4], v0 offset0:64 offset1:96
	ds_read2_b32 v[7:8], v0 offset0:128 offset1:160
	s_waitcnt lgkmcnt(2)
	v_fmac_f32_e32 v19, v5, v11
	v_fmac_f32_e32 v19, v6, v12
	ds_read2_b32 v[9:10], v0 offset0:192 offset1:224
	s_waitcnt lgkmcnt(2)
	v_fmac_f32_e32 v19, v3, v13
	v_add_u32_e32 v0, 0x1800, v2
	v_fmac_f32_e32 v19, v4, v14
	ds_read2_b32 v[11:12], v0 offset1:32
	ds_read_b128 v[3:6], v25 offset:64
	s_waitcnt lgkmcnt(3)
	v_fmac_f32_e32 v19, v7, v15
	v_fmac_f32_e32 v19, v8, v16
	s_waitcnt lgkmcnt(2)
	v_fmac_f32_e32 v19, v9, v17
	v_fmac_f32_e32 v19, v10, v18
	ds_read2_b32 v[13:14], v0 offset0:64 offset1:96
	ds_read2_b32 v[15:16], v0 offset0:128 offset1:160
	ds_read_b128 v[7:10], v25 offset:80
	s_waitcnt lgkmcnt(3)
	v_fmac_f32_e32 v19, v11, v3
	v_fmac_f32_e32 v19, v12, v4
	ds_read2_b32 v[11:12], v0 offset0:192 offset1:224
	s_waitcnt lgkmcnt(3)
	v_fmac_f32_e32 v19, v13, v5
	v_fmac_f32_e32 v19, v14, v6
	v_add_u32_e32 v0, 0x1c00, v2
	s_waitcnt lgkmcnt(1)
	v_fmac_f32_e32 v19, v15, v7
	ds_read2_b32 v[13:14], v0 offset1:32
	ds_read_b128 v[3:6], v25 offset:96
	v_fmac_f32_e32 v19, v16, v8
	s_mul_i32 s1, s1, s7
	s_mul_hi_u32 s4, s0, s7
	s_waitcnt lgkmcnt(2)
	v_fmac_f32_e32 v19, v11, v9
	s_mul_i32 s0, s0, s7
	s_add_i32 s1, s4, s1
	v_fmac_f32_e32 v19, v12, v10
	ds_read2_b32 v[11:12], v0 offset0:64 offset1:96
	ds_read_b128 v[7:10], v25 offset:112
	s_lshl_b64 s[0:1], s[0:1], 2
	s_add_u32 s4, s20, s0
	s_waitcnt lgkmcnt(2)
	v_fmac_f32_e32 v19, v13, v3
	s_addc_u32 s5, s21, s1
	s_lshl_b64 s[0:1], s[2:3], 2
	v_fmac_f32_e32 v19, v14, v4
	s_add_u32 s2, s4, s0
	s_waitcnt lgkmcnt(1)
	v_fmac_f32_e32 v19, v11, v5
	s_addc_u32 s3, s5, s1
	v_fmac_f32_e32 v19, v12, v6
	v_mad_u64_u32 v[5:6], s[0:1], s22, v1, 0
	ds_read2_b32 v[3:4], v0 offset0:128 offset1:160
	ds_read2_b32 v[11:12], v0 offset0:192 offset1:224
	v_mov_b32_e32 v0, v6
	v_mad_u64_u32 v[0:1], s[0:1], s23, v1, v[0:1]
	s_waitcnt lgkmcnt(1)
	v_fmac_f32_e32 v19, v3, v7
	v_fmac_f32_e32 v19, v4, v8
	v_mov_b32_e32 v6, v0
	v_lshlrev_b64 v[0:1], 2, v[5:6]
	v_mov_b32_e32 v4, s3
	v_add_co_u32_e32 v0, vcc, s2, v0
	s_waitcnt lgkmcnt(0)
	v_fmac_f32_e32 v19, v11, v9
	v_addc_co_u32_e32 v1, vcc, v4, v1, vcc
	v_fmac_f32_e32 v19, v12, v10
	v_add_co_u32_e32 v0, vcc, v0, v2
	v_mul_f32_e32 v3, s28, v19
	v_addc_co_u32_e32 v1, vcc, 0, v1, vcc
	global_store_dword v[0:1], v3, off
.LBB31_15:
	s_endpgm
	.section	.rodata,"a",@progbits
	.p2align	6, 0x0
	.amdhsa_kernel _ZL23rocblas_trmm_rNx_kernelILi32EffKffEv13rocblas_fill_17rocblas_diagonal_iiT1_lPT2_llS5_llPT3_lli
		.amdhsa_group_segment_fixed_size 8192
		.amdhsa_private_segment_fixed_size 0
		.amdhsa_kernarg_size 108
		.amdhsa_user_sgpr_count 6
		.amdhsa_user_sgpr_private_segment_buffer 1
		.amdhsa_user_sgpr_dispatch_ptr 0
		.amdhsa_user_sgpr_queue_ptr 0
		.amdhsa_user_sgpr_kernarg_segment_ptr 1
		.amdhsa_user_sgpr_dispatch_id 0
		.amdhsa_user_sgpr_flat_scratch_init 0
		.amdhsa_user_sgpr_private_segment_size 0
		.amdhsa_uses_dynamic_stack 0
		.amdhsa_system_sgpr_private_segment_wavefront_offset 0
		.amdhsa_system_sgpr_workgroup_id_x 1
		.amdhsa_system_sgpr_workgroup_id_y 0
		.amdhsa_system_sgpr_workgroup_id_z 1
		.amdhsa_system_sgpr_workgroup_info 0
		.amdhsa_system_vgpr_workitem_id 1
		.amdhsa_next_free_vgpr 29
		.amdhsa_next_free_sgpr 61
		.amdhsa_reserve_vcc 1
		.amdhsa_reserve_flat_scratch 0
		.amdhsa_float_round_mode_32 0
		.amdhsa_float_round_mode_16_64 0
		.amdhsa_float_denorm_mode_32 3
		.amdhsa_float_denorm_mode_16_64 3
		.amdhsa_dx10_clamp 1
		.amdhsa_ieee_mode 1
		.amdhsa_fp16_overflow 0
		.amdhsa_exception_fp_ieee_invalid_op 0
		.amdhsa_exception_fp_denorm_src 0
		.amdhsa_exception_fp_ieee_div_zero 0
		.amdhsa_exception_fp_ieee_overflow 0
		.amdhsa_exception_fp_ieee_underflow 0
		.amdhsa_exception_fp_ieee_inexact 0
		.amdhsa_exception_int_div_zero 0
	.end_amdhsa_kernel
	.section	.text._ZL23rocblas_trmm_rNx_kernelILi32EffKffEv13rocblas_fill_17rocblas_diagonal_iiT1_lPT2_llS5_llPT3_lli,"axG",@progbits,_ZL23rocblas_trmm_rNx_kernelILi32EffKffEv13rocblas_fill_17rocblas_diagonal_iiT1_lPT2_llS5_llPT3_lli,comdat
.Lfunc_end31:
	.size	_ZL23rocblas_trmm_rNx_kernelILi32EffKffEv13rocblas_fill_17rocblas_diagonal_iiT1_lPT2_llS5_llPT3_lli, .Lfunc_end31-_ZL23rocblas_trmm_rNx_kernelILi32EffKffEv13rocblas_fill_17rocblas_diagonal_iiT1_lPT2_llS5_llPT3_lli
                                        ; -- End function
	.set _ZL23rocblas_trmm_rNx_kernelILi32EffKffEv13rocblas_fill_17rocblas_diagonal_iiT1_lPT2_llS5_llPT3_lli.num_vgpr, 26
	.set _ZL23rocblas_trmm_rNx_kernelILi32EffKffEv13rocblas_fill_17rocblas_diagonal_iiT1_lPT2_llS5_llPT3_lli.num_agpr, 0
	.set _ZL23rocblas_trmm_rNx_kernelILi32EffKffEv13rocblas_fill_17rocblas_diagonal_iiT1_lPT2_llS5_llPT3_lli.numbered_sgpr, 29
	.set _ZL23rocblas_trmm_rNx_kernelILi32EffKffEv13rocblas_fill_17rocblas_diagonal_iiT1_lPT2_llS5_llPT3_lli.num_named_barrier, 0
	.set _ZL23rocblas_trmm_rNx_kernelILi32EffKffEv13rocblas_fill_17rocblas_diagonal_iiT1_lPT2_llS5_llPT3_lli.private_seg_size, 0
	.set _ZL23rocblas_trmm_rNx_kernelILi32EffKffEv13rocblas_fill_17rocblas_diagonal_iiT1_lPT2_llS5_llPT3_lli.uses_vcc, 1
	.set _ZL23rocblas_trmm_rNx_kernelILi32EffKffEv13rocblas_fill_17rocblas_diagonal_iiT1_lPT2_llS5_llPT3_lli.uses_flat_scratch, 0
	.set _ZL23rocblas_trmm_rNx_kernelILi32EffKffEv13rocblas_fill_17rocblas_diagonal_iiT1_lPT2_llS5_llPT3_lli.has_dyn_sized_stack, 0
	.set _ZL23rocblas_trmm_rNx_kernelILi32EffKffEv13rocblas_fill_17rocblas_diagonal_iiT1_lPT2_llS5_llPT3_lli.has_recursion, 0
	.set _ZL23rocblas_trmm_rNx_kernelILi32EffKffEv13rocblas_fill_17rocblas_diagonal_iiT1_lPT2_llS5_llPT3_lli.has_indirect_call, 0
	.section	.AMDGPU.csdata,"",@progbits
; Kernel info:
; codeLenInByte = 1040
; TotalNumSgprs: 33
; NumVgprs: 26
; ScratchSize: 0
; MemoryBound: 0
; FloatMode: 240
; IeeeMode: 1
; LDSByteSize: 8192 bytes/workgroup (compile time only)
; SGPRBlocks: 8
; VGPRBlocks: 7
; NumSGPRsForWavesPerEU: 65
; NumVGPRsForWavesPerEU: 29
; Occupancy: 8
; WaveLimiterHint : 0
; COMPUTE_PGM_RSRC2:SCRATCH_EN: 0
; COMPUTE_PGM_RSRC2:USER_SGPR: 6
; COMPUTE_PGM_RSRC2:TRAP_HANDLER: 0
; COMPUTE_PGM_RSRC2:TGID_X_EN: 1
; COMPUTE_PGM_RSRC2:TGID_Y_EN: 0
; COMPUTE_PGM_RSRC2:TGID_Z_EN: 1
; COMPUTE_PGM_RSRC2:TIDIG_COMP_CNT: 1
	.section	.text._ZL23rocblas_trmm_rTx_kernelILi32ELb0EfPKfS0_fEv13rocblas_fill_17rocblas_diagonal_iiT2_lPT3_llS6_llPT4_lli,"axG",@progbits,_ZL23rocblas_trmm_rTx_kernelILi32ELb0EfPKfS0_fEv13rocblas_fill_17rocblas_diagonal_iiT2_lPT3_llS6_llPT4_lli,comdat
	.globl	_ZL23rocblas_trmm_rTx_kernelILi32ELb0EfPKfS0_fEv13rocblas_fill_17rocblas_diagonal_iiT2_lPT3_llS6_llPT4_lli ; -- Begin function _ZL23rocblas_trmm_rTx_kernelILi32ELb0EfPKfS0_fEv13rocblas_fill_17rocblas_diagonal_iiT2_lPT3_llS6_llPT4_lli
	.p2align	8
	.type	_ZL23rocblas_trmm_rTx_kernelILi32ELb0EfPKfS0_fEv13rocblas_fill_17rocblas_diagonal_iiT2_lPT3_llS6_llPT4_lli,@function
_ZL23rocblas_trmm_rTx_kernelILi32ELb0EfPKfS0_fEv13rocblas_fill_17rocblas_diagonal_iiT2_lPT3_llS6_llPT4_lli: ; @_ZL23rocblas_trmm_rTx_kernelILi32ELb0EfPKfS0_fEv13rocblas_fill_17rocblas_diagonal_iiT2_lPT3_llS6_llPT4_lli
; %bb.0:
	s_load_dwordx16 s[8:23], s[4:5], 0x10
	s_waitcnt lgkmcnt(0)
	s_mul_i32 s0, s11, s7
	s_mul_hi_u32 s1, s10, s7
	s_add_i32 s1, s1, s0
	s_mul_i32 s0, s10, s7
	s_lshl_b64 s[0:1], s[0:1], 2
	s_add_u32 s0, s8, s0
	s_addc_u32 s1, s9, s1
	s_load_dword s24, s[0:1], 0x0
	s_waitcnt lgkmcnt(0)
	v_cmp_eq_f32_e64 s[0:1], s24, 0
	s_and_b64 vcc, exec, s[0:1]
	s_cbranch_vccnz .LBB32_15
; %bb.1:
	s_load_dwordx4 s[8:11], s[4:5], 0x0
	v_lshlrev_b32_e32 v2, 5, v1
	v_mov_b32_e32 v4, 0
	v_add_lshl_u32 v3, v2, v0, 2
	v_lshlrev_b32_e32 v2, 2, v0
	s_waitcnt lgkmcnt(0)
	v_cmp_gt_i32_e32 vcc, s11, v1
	v_cmp_gt_i32_e64 s[0:1], s11, v0
	s_and_b64 s[0:1], vcc, s[0:1]
	ds_write2st64_b32 v3, v4, v4 offset1:16
	s_and_saveexec_b64 s[2:3], s[0:1]
	s_cbranch_execz .LBB32_3
; %bb.2:
	v_mad_u64_u32 v[4:5], s[0:1], s14, v1, 0
	s_mul_i32 s11, s17, s7
	s_mul_hi_u32 s0, s16, s7
	v_mad_u64_u32 v[5:6], s[14:15], s15, v1, v[5:6]
	s_add_i32 s1, s0, s11
	s_mul_i32 s0, s16, s7
	s_lshl_b64 s[0:1], s[0:1], 2
	s_add_u32 s0, s12, s0
	v_lshlrev_b64 v[4:5], 2, v[4:5]
	s_addc_u32 s1, s13, s1
	v_mov_b32_e32 v6, s1
	v_add_co_u32_e64 v4, s[0:1], s0, v4
	v_addc_co_u32_e64 v5, s[0:1], v6, v5, s[0:1]
	v_add_co_u32_e64 v4, s[0:1], v4, v2
	v_addc_co_u32_e64 v5, s[0:1], 0, v5, s[0:1]
	global_load_dword v4, v[4:5], off
	s_waitcnt vmcnt(0)
	ds_write_b32 v3, v4
.LBB32_3:
	s_or_b64 exec, exec, s[2:3]
	s_add_i32 s0, s10, -1
	s_ashr_i32 s1, s0, 31
	s_lshr_b32 s1, s1, 27
	s_add_i32 s0, s0, s1
	s_ashr_i32 s1, s0, 5
	s_andn2_b32 s0, s0, 31
	s_sub_i32 s0, s10, s0
	s_cmp_ge_i32 s6, s1
	s_cselect_b32 s0, s0, 32
	s_lshl_b32 s10, s6, 5
	v_cmp_gt_i32_e64 s[0:1], s0, v0
	s_ashr_i32 s11, s10, 31
	s_and_b64 s[0:1], vcc, s[0:1]
	s_and_saveexec_b64 s[2:3], s[0:1]
	s_cbranch_execz .LBB32_5
; %bb.4:
	s_mul_i32 s6, s23, s7
	s_mul_hi_u32 s12, s22, s7
	v_mad_u64_u32 v[4:5], s[14:15], s20, v1, 0
	s_add_i32 s13, s12, s6
	s_mul_i32 s12, s22, s7
	s_lshl_b64 s[12:13], s[12:13], 2
	s_add_u32 s6, s18, s12
	s_addc_u32 s14, s19, s13
	v_mad_u64_u32 v[5:6], s[12:13], s21, v1, v[5:6]
	s_lshl_b64 s[12:13], s[10:11], 2
	s_add_u32 s6, s6, s12
	v_lshlrev_b64 v[4:5], 2, v[4:5]
	s_addc_u32 s12, s14, s13
	v_mov_b32_e32 v6, s12
	v_add_co_u32_e32 v4, vcc, s6, v4
	v_addc_co_u32_e32 v5, vcc, v6, v5, vcc
	v_add_co_u32_e32 v4, vcc, v4, v2
	v_addc_co_u32_e32 v5, vcc, 0, v5, vcc
	global_load_dword v4, v[4:5], off
	v_add_u32_e32 v5, 0x1000, v3
	s_waitcnt vmcnt(0)
	ds_write_b32 v5, v4
.LBB32_5:
	s_or_b64 exec, exec, s[2:3]
	s_cmpk_eq_i32 s9, 0x84
	s_cselect_b64 s[2:3], -1, 0
	v_cmp_eq_u32_e32 vcc, v1, v0
	s_and_b64 s[12:13], vcc, s[2:3]
	s_and_saveexec_b64 s[2:3], s[12:13]
; %bb.6:
	v_mov_b32_e32 v4, 1.0
	ds_write_b32 v3, v4
; %bb.7:
	s_or_b64 exec, exec, s[2:3]
	s_cmpk_lg_i32 s8, 0x79
	s_cbranch_scc0 .LBB32_9
; %bb.8:
	v_cmp_lt_u32_e32 vcc, v0, v1
	s_and_b64 s[2:3], vcc, exec
	s_cbranch_execz .LBB32_10
	s_branch .LBB32_11
.LBB32_9:
	s_mov_b64 s[2:3], 0
.LBB32_10:
	v_cmp_gt_u32_e32 vcc, v0, v1
	s_andn2_b64 s[2:3], s[2:3], exec
	s_and_b64 s[8:9], vcc, exec
	s_or_b64 s[2:3], s[2:3], s[8:9]
.LBB32_11:
	s_and_saveexec_b64 s[8:9], s[2:3]
; %bb.12:
	v_mov_b32_e32 v0, 0
	ds_write_b32 v3, v0
; %bb.13:
	s_or_b64 exec, exec, s[8:9]
	s_waitcnt lgkmcnt(0)
	s_barrier
	s_and_saveexec_b64 s[2:3], s[0:1]
	s_cbranch_execz .LBB32_15
; %bb.14:
	v_add_u32_e32 v0, 0x1000, v2
	s_load_dwordx2 s[8:9], s[4:5], 0x60
	s_load_dwordx4 s[0:3], s[4:5], 0x50
	ds_read2_b32 v[3:4], v0 offset1:32
	v_lshlrev_b32_e32 v15, 2, v1
	ds_read2_b32 v[5:6], v15 offset1:32
	ds_read2_b32 v[7:8], v0 offset0:64 offset1:96
	ds_read2_b32 v[9:10], v15 offset0:64 offset1:96
	;; [unrolled: 1-line block ×4, first 2 shown]
	v_add_u32_e32 v17, 0x400, v15
	s_waitcnt lgkmcnt(0)
	s_mul_i32 s5, s9, s7
	v_fma_f32 v16, v3, v5, 0
	v_fmac_f32_e32 v16, v4, v6
	ds_read2_b32 v[3:4], v0 offset0:192 offset1:224
	ds_read2_b32 v[5:6], v15 offset0:192 offset1:224
	v_fmac_f32_e32 v16, v7, v9
	v_add_u32_e32 v0, 0x1400, v2
	v_fmac_f32_e32 v16, v8, v10
	ds_read2_b32 v[7:8], v0 offset1:32
	v_fmac_f32_e32 v16, v11, v13
	v_fmac_f32_e32 v16, v12, v14
	ds_read2_b32 v[9:10], v17 offset1:32
	ds_read2_b32 v[11:12], v0 offset0:64 offset1:96
	ds_read2_b32 v[13:14], v17 offset0:64 offset1:96
	s_waitcnt lgkmcnt(4)
	v_fmac_f32_e32 v16, v3, v5
	v_fmac_f32_e32 v16, v4, v6
	s_waitcnt lgkmcnt(2)
	v_fmac_f32_e32 v16, v7, v9
	v_fmac_f32_e32 v16, v8, v10
	ds_read2_b32 v[3:4], v0 offset0:128 offset1:160
	ds_read2_b32 v[5:6], v17 offset0:128 offset1:160
	;; [unrolled: 1-line block ×4, first 2 shown]
	s_waitcnt lgkmcnt(4)
	v_fmac_f32_e32 v16, v11, v13
	v_add_u32_e32 v0, 0x1800, v2
	v_add_u32_e32 v17, 0x800, v15
	v_fmac_f32_e32 v16, v12, v14
	ds_read2_b32 v[11:12], v0 offset1:32
	ds_read2_b32 v[13:14], v17 offset1:32
	s_waitcnt lgkmcnt(4)
	v_fmac_f32_e32 v16, v3, v5
	v_fmac_f32_e32 v16, v4, v6
	s_waitcnt lgkmcnt(2)
	v_fmac_f32_e32 v16, v7, v9
	v_fmac_f32_e32 v16, v8, v10
	s_waitcnt lgkmcnt(0)
	v_fmac_f32_e32 v16, v11, v13
	v_fmac_f32_e32 v16, v12, v14
	ds_read2_b32 v[3:4], v0 offset0:64 offset1:96
	ds_read2_b32 v[5:6], v17 offset0:64 offset1:96
	;; [unrolled: 1-line block ×6, first 2 shown]
	s_waitcnt lgkmcnt(4)
	v_fmac_f32_e32 v16, v3, v5
	v_add_u32_e32 v0, 0x1c00, v2
	s_mul_hi_u32 s6, s8, s7
	v_fmac_f32_e32 v16, v4, v6
	ds_read2_b32 v[3:4], v0 offset1:32
	s_mul_i32 s4, s8, s7
	s_add_i32 s5, s6, s5
	s_waitcnt lgkmcnt(3)
	v_fmac_f32_e32 v16, v7, v9
	s_lshl_b64 s[4:5], s[4:5], 2
	v_fmac_f32_e32 v16, v8, v10
	s_add_u32 s4, s0, s4
	s_waitcnt lgkmcnt(1)
	v_fmac_f32_e32 v16, v11, v13
	v_add_u32_e32 v15, 0xc00, v15
	s_addc_u32 s5, s1, s5
	s_lshl_b64 s[0:1], s[10:11], 2
	v_fmac_f32_e32 v16, v12, v14
	ds_read2_b32 v[5:6], v15 offset1:32
	ds_read2_b32 v[7:8], v0 offset0:64 offset1:96
	ds_read2_b32 v[9:10], v15 offset0:64 offset1:96
	;; [unrolled: 1-line block ×4, first 2 shown]
	s_add_u32 s4, s4, s0
	s_waitcnt lgkmcnt(4)
	v_fmac_f32_e32 v16, v3, v5
	s_addc_u32 s5, s5, s1
	v_fmac_f32_e32 v16, v4, v6
	v_mad_u64_u32 v[3:4], s[0:1], s2, v1, 0
	s_waitcnt lgkmcnt(2)
	v_fmac_f32_e32 v16, v7, v9
	v_fmac_f32_e32 v16, v8, v10
	ds_read2_b32 v[5:6], v0 offset0:192 offset1:224
	ds_read2_b32 v[7:8], v15 offset0:192 offset1:224
	v_mov_b32_e32 v0, v4
	v_mad_u64_u32 v[0:1], s[0:1], s3, v1, v[0:1]
	s_waitcnt lgkmcnt(2)
	v_fmac_f32_e32 v16, v11, v13
	v_fmac_f32_e32 v16, v12, v14
	v_mov_b32_e32 v4, v0
	v_lshlrev_b64 v[0:1], 2, v[3:4]
	v_mov_b32_e32 v3, s5
	v_add_co_u32_e32 v0, vcc, s4, v0
	s_waitcnt lgkmcnt(0)
	v_fmac_f32_e32 v16, v5, v7
	v_addc_co_u32_e32 v1, vcc, v3, v1, vcc
	v_fmac_f32_e32 v16, v6, v8
	v_add_co_u32_e32 v0, vcc, v0, v2
	v_mul_f32_e32 v5, s24, v16
	v_addc_co_u32_e32 v1, vcc, 0, v1, vcc
	global_store_dword v[0:1], v5, off
.LBB32_15:
	s_endpgm
	.section	.rodata,"a",@progbits
	.p2align	6, 0x0
	.amdhsa_kernel _ZL23rocblas_trmm_rTx_kernelILi32ELb0EfPKfS0_fEv13rocblas_fill_17rocblas_diagonal_iiT2_lPT3_llS6_llPT4_lli
		.amdhsa_group_segment_fixed_size 8192
		.amdhsa_private_segment_fixed_size 0
		.amdhsa_kernarg_size 108
		.amdhsa_user_sgpr_count 6
		.amdhsa_user_sgpr_private_segment_buffer 1
		.amdhsa_user_sgpr_dispatch_ptr 0
		.amdhsa_user_sgpr_queue_ptr 0
		.amdhsa_user_sgpr_kernarg_segment_ptr 1
		.amdhsa_user_sgpr_dispatch_id 0
		.amdhsa_user_sgpr_flat_scratch_init 0
		.amdhsa_user_sgpr_private_segment_size 0
		.amdhsa_uses_dynamic_stack 0
		.amdhsa_system_sgpr_private_segment_wavefront_offset 0
		.amdhsa_system_sgpr_workgroup_id_x 1
		.amdhsa_system_sgpr_workgroup_id_y 0
		.amdhsa_system_sgpr_workgroup_id_z 1
		.amdhsa_system_sgpr_workgroup_info 0
		.amdhsa_system_vgpr_workitem_id 1
		.amdhsa_next_free_vgpr 29
		.amdhsa_next_free_sgpr 61
		.amdhsa_reserve_vcc 1
		.amdhsa_reserve_flat_scratch 0
		.amdhsa_float_round_mode_32 0
		.amdhsa_float_round_mode_16_64 0
		.amdhsa_float_denorm_mode_32 3
		.amdhsa_float_denorm_mode_16_64 3
		.amdhsa_dx10_clamp 1
		.amdhsa_ieee_mode 1
		.amdhsa_fp16_overflow 0
		.amdhsa_exception_fp_ieee_invalid_op 0
		.amdhsa_exception_fp_denorm_src 0
		.amdhsa_exception_fp_ieee_div_zero 0
		.amdhsa_exception_fp_ieee_overflow 0
		.amdhsa_exception_fp_ieee_underflow 0
		.amdhsa_exception_fp_ieee_inexact 0
		.amdhsa_exception_int_div_zero 0
	.end_amdhsa_kernel
	.section	.text._ZL23rocblas_trmm_rTx_kernelILi32ELb0EfPKfS0_fEv13rocblas_fill_17rocblas_diagonal_iiT2_lPT3_llS6_llPT4_lli,"axG",@progbits,_ZL23rocblas_trmm_rTx_kernelILi32ELb0EfPKfS0_fEv13rocblas_fill_17rocblas_diagonal_iiT2_lPT3_llS6_llPT4_lli,comdat
.Lfunc_end32:
	.size	_ZL23rocblas_trmm_rTx_kernelILi32ELb0EfPKfS0_fEv13rocblas_fill_17rocblas_diagonal_iiT2_lPT3_llS6_llPT4_lli, .Lfunc_end32-_ZL23rocblas_trmm_rTx_kernelILi32ELb0EfPKfS0_fEv13rocblas_fill_17rocblas_diagonal_iiT2_lPT3_llS6_llPT4_lli
                                        ; -- End function
	.set _ZL23rocblas_trmm_rTx_kernelILi32ELb0EfPKfS0_fEv13rocblas_fill_17rocblas_diagonal_iiT2_lPT3_llS6_llPT4_lli.num_vgpr, 18
	.set _ZL23rocblas_trmm_rTx_kernelILi32ELb0EfPKfS0_fEv13rocblas_fill_17rocblas_diagonal_iiT2_lPT3_llS6_llPT4_lli.num_agpr, 0
	.set _ZL23rocblas_trmm_rTx_kernelILi32ELb0EfPKfS0_fEv13rocblas_fill_17rocblas_diagonal_iiT2_lPT3_llS6_llPT4_lli.numbered_sgpr, 25
	.set _ZL23rocblas_trmm_rTx_kernelILi32ELb0EfPKfS0_fEv13rocblas_fill_17rocblas_diagonal_iiT2_lPT3_llS6_llPT4_lli.num_named_barrier, 0
	.set _ZL23rocblas_trmm_rTx_kernelILi32ELb0EfPKfS0_fEv13rocblas_fill_17rocblas_diagonal_iiT2_lPT3_llS6_llPT4_lli.private_seg_size, 0
	.set _ZL23rocblas_trmm_rTx_kernelILi32ELb0EfPKfS0_fEv13rocblas_fill_17rocblas_diagonal_iiT2_lPT3_llS6_llPT4_lli.uses_vcc, 1
	.set _ZL23rocblas_trmm_rTx_kernelILi32ELb0EfPKfS0_fEv13rocblas_fill_17rocblas_diagonal_iiT2_lPT3_llS6_llPT4_lli.uses_flat_scratch, 0
	.set _ZL23rocblas_trmm_rTx_kernelILi32ELb0EfPKfS0_fEv13rocblas_fill_17rocblas_diagonal_iiT2_lPT3_llS6_llPT4_lli.has_dyn_sized_stack, 0
	.set _ZL23rocblas_trmm_rTx_kernelILi32ELb0EfPKfS0_fEv13rocblas_fill_17rocblas_diagonal_iiT2_lPT3_llS6_llPT4_lli.has_recursion, 0
	.set _ZL23rocblas_trmm_rTx_kernelILi32ELb0EfPKfS0_fEv13rocblas_fill_17rocblas_diagonal_iiT2_lPT3_llS6_llPT4_lli.has_indirect_call, 0
	.section	.AMDGPU.csdata,"",@progbits
; Kernel info:
; codeLenInByte = 1168
; TotalNumSgprs: 29
; NumVgprs: 18
; ScratchSize: 0
; MemoryBound: 0
; FloatMode: 240
; IeeeMode: 1
; LDSByteSize: 8192 bytes/workgroup (compile time only)
; SGPRBlocks: 8
; VGPRBlocks: 7
; NumSGPRsForWavesPerEU: 65
; NumVGPRsForWavesPerEU: 29
; Occupancy: 8
; WaveLimiterHint : 0
; COMPUTE_PGM_RSRC2:SCRATCH_EN: 0
; COMPUTE_PGM_RSRC2:USER_SGPR: 6
; COMPUTE_PGM_RSRC2:TRAP_HANDLER: 0
; COMPUTE_PGM_RSRC2:TGID_X_EN: 1
; COMPUTE_PGM_RSRC2:TGID_Y_EN: 0
; COMPUTE_PGM_RSRC2:TGID_Z_EN: 1
; COMPUTE_PGM_RSRC2:TIDIG_COMP_CNT: 1
	.section	.text._ZL23rocblas_trmm_rTx_kernelILi32ELb0EffKffEv13rocblas_fill_17rocblas_diagonal_iiT2_lPT3_llS5_llPT4_lli,"axG",@progbits,_ZL23rocblas_trmm_rTx_kernelILi32ELb0EffKffEv13rocblas_fill_17rocblas_diagonal_iiT2_lPT3_llS5_llPT4_lli,comdat
	.globl	_ZL23rocblas_trmm_rTx_kernelILi32ELb0EffKffEv13rocblas_fill_17rocblas_diagonal_iiT2_lPT3_llS5_llPT4_lli ; -- Begin function _ZL23rocblas_trmm_rTx_kernelILi32ELb0EffKffEv13rocblas_fill_17rocblas_diagonal_iiT2_lPT3_llS5_llPT4_lli
	.p2align	8
	.type	_ZL23rocblas_trmm_rTx_kernelILi32ELb0EffKffEv13rocblas_fill_17rocblas_diagonal_iiT2_lPT3_llS5_llPT4_lli,@function
_ZL23rocblas_trmm_rTx_kernelILi32ELb0EffKffEv13rocblas_fill_17rocblas_diagonal_iiT2_lPT3_llS5_llPT4_lli: ; @_ZL23rocblas_trmm_rTx_kernelILi32ELb0EffKffEv13rocblas_fill_17rocblas_diagonal_iiT2_lPT3_llS5_llPT4_lli
; %bb.0:
	s_load_dword s28, s[4:5], 0x10
	s_waitcnt lgkmcnt(0)
	v_cmp_eq_f32_e64 s[0:1], s28, 0
	s_and_b64 vcc, exec, s[0:1]
	s_cbranch_vccnz .LBB33_15
; %bb.1:
	s_load_dwordx4 s[24:27], s[4:5], 0x0
	s_load_dwordx16 s[8:23], s[4:5], 0x20
	v_lshlrev_b32_e32 v2, 5, v1
	v_add_lshl_u32 v3, v2, v0, 2
	v_mov_b32_e32 v2, 0
	s_waitcnt lgkmcnt(0)
	v_cmp_gt_i32_e32 vcc, s27, v1
	v_cmp_gt_i32_e64 s[0:1], s27, v0
	ds_write2st64_b32 v3, v2, v2 offset1:16
	s_and_b64 s[0:1], vcc, s[0:1]
	v_lshlrev_b32_e32 v2, 2, v0
	s_and_saveexec_b64 s[2:3], s[0:1]
	s_cbranch_execz .LBB33_3
; %bb.2:
	v_mad_u64_u32 v[4:5], s[0:1], s10, v1, 0
	s_mul_i32 s13, s13, s7
	s_mul_hi_u32 s0, s12, s7
	v_mad_u64_u32 v[5:6], s[10:11], s11, v1, v[5:6]
	s_add_i32 s1, s0, s13
	s_mul_i32 s0, s12, s7
	s_lshl_b64 s[0:1], s[0:1], 2
	s_add_u32 s0, s8, s0
	v_lshlrev_b64 v[4:5], 2, v[4:5]
	s_addc_u32 s1, s9, s1
	v_mov_b32_e32 v6, s1
	v_add_co_u32_e64 v4, s[0:1], s0, v4
	v_addc_co_u32_e64 v5, s[0:1], v6, v5, s[0:1]
	v_add_co_u32_e64 v4, s[0:1], v4, v2
	v_addc_co_u32_e64 v5, s[0:1], 0, v5, s[0:1]
	global_load_dword v4, v[4:5], off
	s_waitcnt vmcnt(0)
	ds_write_b32 v3, v4
.LBB33_3:
	s_or_b64 exec, exec, s[2:3]
	s_add_i32 s0, s26, -1
	s_ashr_i32 s1, s0, 31
	s_lshr_b32 s1, s1, 27
	s_add_i32 s0, s0, s1
	s_ashr_i32 s1, s0, 5
	s_andn2_b32 s0, s0, 31
	s_sub_i32 s0, s26, s0
	s_cmp_ge_i32 s6, s1
	s_cselect_b32 s0, s0, 32
	s_lshl_b32 s2, s6, 5
	v_cmp_gt_i32_e64 s[0:1], s0, v0
	s_ashr_i32 s3, s2, 31
	s_and_b64 s[0:1], vcc, s[0:1]
	s_and_saveexec_b64 s[8:9], s[0:1]
	s_cbranch_execz .LBB33_5
; %bb.4:
	s_mul_i32 s6, s19, s7
	s_mul_hi_u32 s10, s18, s7
	v_mad_u64_u32 v[4:5], s[12:13], s16, v1, 0
	s_add_i32 s11, s10, s6
	s_mul_i32 s10, s18, s7
	s_lshl_b64 s[10:11], s[10:11], 2
	s_add_u32 s6, s14, s10
	s_addc_u32 s12, s15, s11
	v_mad_u64_u32 v[5:6], s[10:11], s17, v1, v[5:6]
	s_lshl_b64 s[10:11], s[2:3], 2
	s_add_u32 s6, s6, s10
	v_lshlrev_b64 v[4:5], 2, v[4:5]
	s_addc_u32 s10, s12, s11
	v_mov_b32_e32 v6, s10
	v_add_co_u32_e32 v4, vcc, s6, v4
	v_addc_co_u32_e32 v5, vcc, v6, v5, vcc
	v_add_co_u32_e32 v4, vcc, v4, v2
	v_addc_co_u32_e32 v5, vcc, 0, v5, vcc
	global_load_dword v4, v[4:5], off
	v_add_u32_e32 v5, 0x1000, v3
	s_waitcnt vmcnt(0)
	ds_write_b32 v5, v4
.LBB33_5:
	s_or_b64 exec, exec, s[8:9]
	s_cmpk_eq_i32 s25, 0x84
	s_cselect_b64 s[8:9], -1, 0
	v_cmp_eq_u32_e32 vcc, v1, v0
	s_and_b64 s[10:11], vcc, s[8:9]
	s_and_saveexec_b64 s[8:9], s[10:11]
; %bb.6:
	v_mov_b32_e32 v4, 1.0
	ds_write_b32 v3, v4
; %bb.7:
	s_or_b64 exec, exec, s[8:9]
	s_cmpk_lg_i32 s24, 0x79
	s_cbranch_scc0 .LBB33_9
; %bb.8:
	v_cmp_lt_u32_e32 vcc, v0, v1
	s_and_b64 s[8:9], vcc, exec
	s_cbranch_execz .LBB33_10
	s_branch .LBB33_11
.LBB33_9:
	s_mov_b64 s[8:9], 0
.LBB33_10:
	v_cmp_gt_u32_e32 vcc, v0, v1
	s_andn2_b64 s[8:9], s[8:9], exec
	s_and_b64 s[10:11], vcc, exec
	s_or_b64 s[8:9], s[8:9], s[10:11]
.LBB33_11:
	s_and_saveexec_b64 s[10:11], s[8:9]
; %bb.12:
	v_mov_b32_e32 v0, 0
	ds_write_b32 v3, v0
; %bb.13:
	s_or_b64 exec, exec, s[10:11]
	s_waitcnt lgkmcnt(0)
	s_barrier
	s_and_saveexec_b64 s[8:9], s[0:1]
	s_cbranch_execz .LBB33_15
; %bb.14:
	v_add_u32_e32 v0, 0x1000, v2
	ds_read2_b32 v[3:4], v0 offset1:32
	v_lshlrev_b32_e32 v15, 2, v1
	ds_read2_b32 v[5:6], v15 offset1:32
	ds_read2_b32 v[7:8], v0 offset0:64 offset1:96
	ds_read2_b32 v[9:10], v15 offset0:64 offset1:96
	;; [unrolled: 1-line block ×4, first 2 shown]
	v_add_u32_e32 v17, 0x400, v15
	s_load_dwordx2 s[0:1], s[4:5], 0x60
	s_waitcnt lgkmcnt(0)
	v_fma_f32 v16, v3, v5, 0
	v_fmac_f32_e32 v16, v4, v6
	ds_read2_b32 v[3:4], v0 offset0:192 offset1:224
	ds_read2_b32 v[5:6], v15 offset0:192 offset1:224
	v_fmac_f32_e32 v16, v7, v9
	v_add_u32_e32 v0, 0x1400, v2
	v_fmac_f32_e32 v16, v8, v10
	ds_read2_b32 v[7:8], v0 offset1:32
	v_fmac_f32_e32 v16, v11, v13
	v_fmac_f32_e32 v16, v12, v14
	ds_read2_b32 v[9:10], v17 offset1:32
	ds_read2_b32 v[11:12], v0 offset0:64 offset1:96
	ds_read2_b32 v[13:14], v17 offset0:64 offset1:96
	s_waitcnt lgkmcnt(4)
	v_fmac_f32_e32 v16, v3, v5
	v_fmac_f32_e32 v16, v4, v6
	s_waitcnt lgkmcnt(2)
	v_fmac_f32_e32 v16, v7, v9
	v_fmac_f32_e32 v16, v8, v10
	ds_read2_b32 v[3:4], v0 offset0:128 offset1:160
	ds_read2_b32 v[5:6], v17 offset0:128 offset1:160
	;; [unrolled: 1-line block ×4, first 2 shown]
	s_waitcnt lgkmcnt(4)
	v_fmac_f32_e32 v16, v11, v13
	v_add_u32_e32 v0, 0x1800, v2
	v_add_u32_e32 v17, 0x800, v15
	v_fmac_f32_e32 v16, v12, v14
	ds_read2_b32 v[11:12], v0 offset1:32
	ds_read2_b32 v[13:14], v17 offset1:32
	s_waitcnt lgkmcnt(4)
	v_fmac_f32_e32 v16, v3, v5
	v_fmac_f32_e32 v16, v4, v6
	s_waitcnt lgkmcnt(2)
	v_fmac_f32_e32 v16, v7, v9
	v_fmac_f32_e32 v16, v8, v10
	s_waitcnt lgkmcnt(0)
	v_fmac_f32_e32 v16, v11, v13
	v_fmac_f32_e32 v16, v12, v14
	ds_read2_b32 v[3:4], v0 offset0:64 offset1:96
	ds_read2_b32 v[5:6], v17 offset0:64 offset1:96
	;; [unrolled: 1-line block ×6, first 2 shown]
	s_waitcnt lgkmcnt(4)
	v_fmac_f32_e32 v16, v3, v5
	v_add_u32_e32 v0, 0x1c00, v2
	s_mul_i32 s1, s1, s7
	s_mul_hi_u32 s4, s0, s7
	v_fmac_f32_e32 v16, v4, v6
	ds_read2_b32 v[3:4], v0 offset1:32
	s_mul_i32 s0, s0, s7
	s_add_i32 s1, s4, s1
	s_waitcnt lgkmcnt(3)
	v_fmac_f32_e32 v16, v7, v9
	s_lshl_b64 s[0:1], s[0:1], 2
	v_fmac_f32_e32 v16, v8, v10
	s_add_u32 s4, s20, s0
	s_waitcnt lgkmcnt(1)
	v_fmac_f32_e32 v16, v11, v13
	v_add_u32_e32 v15, 0xc00, v15
	s_addc_u32 s5, s21, s1
	s_lshl_b64 s[0:1], s[2:3], 2
	v_fmac_f32_e32 v16, v12, v14
	ds_read2_b32 v[5:6], v15 offset1:32
	ds_read2_b32 v[7:8], v0 offset0:64 offset1:96
	ds_read2_b32 v[9:10], v15 offset0:64 offset1:96
	;; [unrolled: 1-line block ×4, first 2 shown]
	s_add_u32 s2, s4, s0
	s_waitcnt lgkmcnt(4)
	v_fmac_f32_e32 v16, v3, v5
	s_addc_u32 s3, s5, s1
	v_fmac_f32_e32 v16, v4, v6
	v_mad_u64_u32 v[3:4], s[0:1], s22, v1, 0
	s_waitcnt lgkmcnt(2)
	v_fmac_f32_e32 v16, v7, v9
	v_fmac_f32_e32 v16, v8, v10
	ds_read2_b32 v[5:6], v0 offset0:192 offset1:224
	ds_read2_b32 v[7:8], v15 offset0:192 offset1:224
	v_mov_b32_e32 v0, v4
	v_mad_u64_u32 v[0:1], s[0:1], s23, v1, v[0:1]
	s_waitcnt lgkmcnt(2)
	v_fmac_f32_e32 v16, v11, v13
	v_fmac_f32_e32 v16, v12, v14
	v_mov_b32_e32 v4, v0
	v_lshlrev_b64 v[0:1], 2, v[3:4]
	v_mov_b32_e32 v3, s3
	v_add_co_u32_e32 v0, vcc, s2, v0
	s_waitcnt lgkmcnt(0)
	v_fmac_f32_e32 v16, v5, v7
	v_addc_co_u32_e32 v1, vcc, v3, v1, vcc
	v_fmac_f32_e32 v16, v6, v8
	v_add_co_u32_e32 v0, vcc, v0, v2
	v_mul_f32_e32 v5, s28, v16
	v_addc_co_u32_e32 v1, vcc, 0, v1, vcc
	global_store_dword v[0:1], v5, off
.LBB33_15:
	s_endpgm
	.section	.rodata,"a",@progbits
	.p2align	6, 0x0
	.amdhsa_kernel _ZL23rocblas_trmm_rTx_kernelILi32ELb0EffKffEv13rocblas_fill_17rocblas_diagonal_iiT2_lPT3_llS5_llPT4_lli
		.amdhsa_group_segment_fixed_size 8192
		.amdhsa_private_segment_fixed_size 0
		.amdhsa_kernarg_size 108
		.amdhsa_user_sgpr_count 6
		.amdhsa_user_sgpr_private_segment_buffer 1
		.amdhsa_user_sgpr_dispatch_ptr 0
		.amdhsa_user_sgpr_queue_ptr 0
		.amdhsa_user_sgpr_kernarg_segment_ptr 1
		.amdhsa_user_sgpr_dispatch_id 0
		.amdhsa_user_sgpr_flat_scratch_init 0
		.amdhsa_user_sgpr_private_segment_size 0
		.amdhsa_uses_dynamic_stack 0
		.amdhsa_system_sgpr_private_segment_wavefront_offset 0
		.amdhsa_system_sgpr_workgroup_id_x 1
		.amdhsa_system_sgpr_workgroup_id_y 0
		.amdhsa_system_sgpr_workgroup_id_z 1
		.amdhsa_system_sgpr_workgroup_info 0
		.amdhsa_system_vgpr_workitem_id 1
		.amdhsa_next_free_vgpr 29
		.amdhsa_next_free_sgpr 61
		.amdhsa_reserve_vcc 1
		.amdhsa_reserve_flat_scratch 0
		.amdhsa_float_round_mode_32 0
		.amdhsa_float_round_mode_16_64 0
		.amdhsa_float_denorm_mode_32 3
		.amdhsa_float_denorm_mode_16_64 3
		.amdhsa_dx10_clamp 1
		.amdhsa_ieee_mode 1
		.amdhsa_fp16_overflow 0
		.amdhsa_exception_fp_ieee_invalid_op 0
		.amdhsa_exception_fp_denorm_src 0
		.amdhsa_exception_fp_ieee_div_zero 0
		.amdhsa_exception_fp_ieee_overflow 0
		.amdhsa_exception_fp_ieee_underflow 0
		.amdhsa_exception_fp_ieee_inexact 0
		.amdhsa_exception_int_div_zero 0
	.end_amdhsa_kernel
	.section	.text._ZL23rocblas_trmm_rTx_kernelILi32ELb0EffKffEv13rocblas_fill_17rocblas_diagonal_iiT2_lPT3_llS5_llPT4_lli,"axG",@progbits,_ZL23rocblas_trmm_rTx_kernelILi32ELb0EffKffEv13rocblas_fill_17rocblas_diagonal_iiT2_lPT3_llS5_llPT4_lli,comdat
.Lfunc_end33:
	.size	_ZL23rocblas_trmm_rTx_kernelILi32ELb0EffKffEv13rocblas_fill_17rocblas_diagonal_iiT2_lPT3_llS5_llPT4_lli, .Lfunc_end33-_ZL23rocblas_trmm_rTx_kernelILi32ELb0EffKffEv13rocblas_fill_17rocblas_diagonal_iiT2_lPT3_llS5_llPT4_lli
                                        ; -- End function
	.set _ZL23rocblas_trmm_rTx_kernelILi32ELb0EffKffEv13rocblas_fill_17rocblas_diagonal_iiT2_lPT3_llS5_llPT4_lli.num_vgpr, 18
	.set _ZL23rocblas_trmm_rTx_kernelILi32ELb0EffKffEv13rocblas_fill_17rocblas_diagonal_iiT2_lPT3_llS5_llPT4_lli.num_agpr, 0
	.set _ZL23rocblas_trmm_rTx_kernelILi32ELb0EffKffEv13rocblas_fill_17rocblas_diagonal_iiT2_lPT3_llS5_llPT4_lli.numbered_sgpr, 29
	.set _ZL23rocblas_trmm_rTx_kernelILi32ELb0EffKffEv13rocblas_fill_17rocblas_diagonal_iiT2_lPT3_llS5_llPT4_lli.num_named_barrier, 0
	.set _ZL23rocblas_trmm_rTx_kernelILi32ELb0EffKffEv13rocblas_fill_17rocblas_diagonal_iiT2_lPT3_llS5_llPT4_lli.private_seg_size, 0
	.set _ZL23rocblas_trmm_rTx_kernelILi32ELb0EffKffEv13rocblas_fill_17rocblas_diagonal_iiT2_lPT3_llS5_llPT4_lli.uses_vcc, 1
	.set _ZL23rocblas_trmm_rTx_kernelILi32ELb0EffKffEv13rocblas_fill_17rocblas_diagonal_iiT2_lPT3_llS5_llPT4_lli.uses_flat_scratch, 0
	.set _ZL23rocblas_trmm_rTx_kernelILi32ELb0EffKffEv13rocblas_fill_17rocblas_diagonal_iiT2_lPT3_llS5_llPT4_lli.has_dyn_sized_stack, 0
	.set _ZL23rocblas_trmm_rTx_kernelILi32ELb0EffKffEv13rocblas_fill_17rocblas_diagonal_iiT2_lPT3_llS5_llPT4_lli.has_recursion, 0
	.set _ZL23rocblas_trmm_rTx_kernelILi32ELb0EffKffEv13rocblas_fill_17rocblas_diagonal_iiT2_lPT3_llS5_llPT4_lli.has_indirect_call, 0
	.section	.AMDGPU.csdata,"",@progbits
; Kernel info:
; codeLenInByte = 1128
; TotalNumSgprs: 33
; NumVgprs: 18
; ScratchSize: 0
; MemoryBound: 0
; FloatMode: 240
; IeeeMode: 1
; LDSByteSize: 8192 bytes/workgroup (compile time only)
; SGPRBlocks: 8
; VGPRBlocks: 7
; NumSGPRsForWavesPerEU: 65
; NumVGPRsForWavesPerEU: 29
; Occupancy: 8
; WaveLimiterHint : 0
; COMPUTE_PGM_RSRC2:SCRATCH_EN: 0
; COMPUTE_PGM_RSRC2:USER_SGPR: 6
; COMPUTE_PGM_RSRC2:TRAP_HANDLER: 0
; COMPUTE_PGM_RSRC2:TGID_X_EN: 1
; COMPUTE_PGM_RSRC2:TGID_Y_EN: 0
; COMPUTE_PGM_RSRC2:TGID_Z_EN: 1
; COMPUTE_PGM_RSRC2:TIDIG_COMP_CNT: 1
	.section	.text._ZL23rocblas_trmm_rTx_kernelILi32ELb1EfPKfS0_fEv13rocblas_fill_17rocblas_diagonal_iiT2_lPT3_llS6_llPT4_lli,"axG",@progbits,_ZL23rocblas_trmm_rTx_kernelILi32ELb1EfPKfS0_fEv13rocblas_fill_17rocblas_diagonal_iiT2_lPT3_llS6_llPT4_lli,comdat
	.globl	_ZL23rocblas_trmm_rTx_kernelILi32ELb1EfPKfS0_fEv13rocblas_fill_17rocblas_diagonal_iiT2_lPT3_llS6_llPT4_lli ; -- Begin function _ZL23rocblas_trmm_rTx_kernelILi32ELb1EfPKfS0_fEv13rocblas_fill_17rocblas_diagonal_iiT2_lPT3_llS6_llPT4_lli
	.p2align	8
	.type	_ZL23rocblas_trmm_rTx_kernelILi32ELb1EfPKfS0_fEv13rocblas_fill_17rocblas_diagonal_iiT2_lPT3_llS6_llPT4_lli,@function
_ZL23rocblas_trmm_rTx_kernelILi32ELb1EfPKfS0_fEv13rocblas_fill_17rocblas_diagonal_iiT2_lPT3_llS6_llPT4_lli: ; @_ZL23rocblas_trmm_rTx_kernelILi32ELb1EfPKfS0_fEv13rocblas_fill_17rocblas_diagonal_iiT2_lPT3_llS6_llPT4_lli
; %bb.0:
	s_load_dwordx16 s[8:23], s[4:5], 0x10
	s_waitcnt lgkmcnt(0)
	s_mul_i32 s0, s11, s7
	s_mul_hi_u32 s1, s10, s7
	s_add_i32 s1, s1, s0
	s_mul_i32 s0, s10, s7
	s_lshl_b64 s[0:1], s[0:1], 2
	s_add_u32 s0, s8, s0
	s_addc_u32 s1, s9, s1
	s_load_dword s24, s[0:1], 0x0
	s_waitcnt lgkmcnt(0)
	v_cmp_eq_f32_e64 s[0:1], s24, 0
	s_and_b64 vcc, exec, s[0:1]
	s_cbranch_vccnz .LBB34_15
; %bb.1:
	s_load_dwordx4 s[8:11], s[4:5], 0x0
	v_lshlrev_b32_e32 v2, 5, v1
	v_mov_b32_e32 v4, 0
	v_add_lshl_u32 v3, v2, v0, 2
	v_lshlrev_b32_e32 v2, 2, v0
	s_waitcnt lgkmcnt(0)
	v_cmp_gt_i32_e32 vcc, s11, v1
	v_cmp_gt_i32_e64 s[0:1], s11, v0
	s_and_b64 s[0:1], vcc, s[0:1]
	ds_write2st64_b32 v3, v4, v4 offset1:16
	s_and_saveexec_b64 s[2:3], s[0:1]
	s_cbranch_execz .LBB34_3
; %bb.2:
	v_mad_u64_u32 v[4:5], s[0:1], s14, v1, 0
	s_mul_i32 s11, s17, s7
	s_mul_hi_u32 s0, s16, s7
	v_mad_u64_u32 v[5:6], s[14:15], s15, v1, v[5:6]
	s_add_i32 s1, s0, s11
	s_mul_i32 s0, s16, s7
	s_lshl_b64 s[0:1], s[0:1], 2
	s_add_u32 s0, s12, s0
	v_lshlrev_b64 v[4:5], 2, v[4:5]
	s_addc_u32 s1, s13, s1
	v_mov_b32_e32 v6, s1
	v_add_co_u32_e64 v4, s[0:1], s0, v4
	v_addc_co_u32_e64 v5, s[0:1], v6, v5, s[0:1]
	v_add_co_u32_e64 v4, s[0:1], v4, v2
	v_addc_co_u32_e64 v5, s[0:1], 0, v5, s[0:1]
	global_load_dword v4, v[4:5], off
	s_waitcnt vmcnt(0)
	ds_write_b32 v3, v4
.LBB34_3:
	s_or_b64 exec, exec, s[2:3]
	s_add_i32 s0, s10, -1
	s_ashr_i32 s1, s0, 31
	s_lshr_b32 s1, s1, 27
	s_add_i32 s0, s0, s1
	s_ashr_i32 s1, s0, 5
	s_andn2_b32 s0, s0, 31
	s_sub_i32 s0, s10, s0
	s_cmp_ge_i32 s6, s1
	s_cselect_b32 s0, s0, 32
	s_lshl_b32 s10, s6, 5
	v_cmp_gt_i32_e64 s[0:1], s0, v0
	s_ashr_i32 s11, s10, 31
	s_and_b64 s[0:1], vcc, s[0:1]
	s_and_saveexec_b64 s[2:3], s[0:1]
	s_cbranch_execz .LBB34_5
; %bb.4:
	s_mul_i32 s6, s23, s7
	s_mul_hi_u32 s12, s22, s7
	v_mad_u64_u32 v[4:5], s[14:15], s20, v1, 0
	s_add_i32 s13, s12, s6
	s_mul_i32 s12, s22, s7
	s_lshl_b64 s[12:13], s[12:13], 2
	s_add_u32 s6, s18, s12
	s_addc_u32 s14, s19, s13
	v_mad_u64_u32 v[5:6], s[12:13], s21, v1, v[5:6]
	s_lshl_b64 s[12:13], s[10:11], 2
	s_add_u32 s6, s6, s12
	v_lshlrev_b64 v[4:5], 2, v[4:5]
	s_addc_u32 s12, s14, s13
	v_mov_b32_e32 v6, s12
	v_add_co_u32_e32 v4, vcc, s6, v4
	v_addc_co_u32_e32 v5, vcc, v6, v5, vcc
	v_add_co_u32_e32 v4, vcc, v4, v2
	v_addc_co_u32_e32 v5, vcc, 0, v5, vcc
	global_load_dword v4, v[4:5], off
	v_add_u32_e32 v5, 0x1000, v3
	s_waitcnt vmcnt(0)
	ds_write_b32 v5, v4
.LBB34_5:
	s_or_b64 exec, exec, s[2:3]
	s_cmpk_eq_i32 s9, 0x84
	s_cselect_b64 s[2:3], -1, 0
	v_cmp_eq_u32_e32 vcc, v1, v0
	s_and_b64 s[12:13], vcc, s[2:3]
	s_and_saveexec_b64 s[2:3], s[12:13]
; %bb.6:
	v_mov_b32_e32 v4, 1.0
	ds_write_b32 v3, v4
; %bb.7:
	s_or_b64 exec, exec, s[2:3]
	s_cmpk_lg_i32 s8, 0x79
	s_cbranch_scc0 .LBB34_9
; %bb.8:
	v_cmp_lt_u32_e32 vcc, v0, v1
	s_and_b64 s[2:3], vcc, exec
	s_cbranch_execz .LBB34_10
	s_branch .LBB34_11
.LBB34_9:
	s_mov_b64 s[2:3], 0
.LBB34_10:
	v_cmp_gt_u32_e32 vcc, v0, v1
	s_andn2_b64 s[2:3], s[2:3], exec
	s_and_b64 s[8:9], vcc, exec
	s_or_b64 s[2:3], s[2:3], s[8:9]
.LBB34_11:
	s_and_saveexec_b64 s[8:9], s[2:3]
; %bb.12:
	v_mov_b32_e32 v0, 0
	ds_write_b32 v3, v0
; %bb.13:
	s_or_b64 exec, exec, s[8:9]
	s_waitcnt lgkmcnt(0)
	s_barrier
	s_and_saveexec_b64 s[2:3], s[0:1]
	s_cbranch_execz .LBB34_15
; %bb.14:
	v_add_u32_e32 v0, 0x1000, v2
	s_load_dwordx2 s[8:9], s[4:5], 0x60
	s_load_dwordx4 s[0:3], s[4:5], 0x50
	ds_read2_b32 v[3:4], v0 offset1:32
	v_lshlrev_b32_e32 v15, 2, v1
	ds_read2_b32 v[5:6], v15 offset1:32
	ds_read2_b32 v[7:8], v0 offset0:64 offset1:96
	ds_read2_b32 v[9:10], v15 offset0:64 offset1:96
	;; [unrolled: 1-line block ×4, first 2 shown]
	v_add_u32_e32 v17, 0x400, v15
	s_waitcnt lgkmcnt(0)
	s_mul_i32 s5, s9, s7
	v_fma_f32 v16, v3, v5, 0
	v_fmac_f32_e32 v16, v4, v6
	ds_read2_b32 v[3:4], v0 offset0:192 offset1:224
	ds_read2_b32 v[5:6], v15 offset0:192 offset1:224
	v_fmac_f32_e32 v16, v7, v9
	v_add_u32_e32 v0, 0x1400, v2
	v_fmac_f32_e32 v16, v8, v10
	ds_read2_b32 v[7:8], v0 offset1:32
	v_fmac_f32_e32 v16, v11, v13
	v_fmac_f32_e32 v16, v12, v14
	ds_read2_b32 v[9:10], v17 offset1:32
	ds_read2_b32 v[11:12], v0 offset0:64 offset1:96
	ds_read2_b32 v[13:14], v17 offset0:64 offset1:96
	s_waitcnt lgkmcnt(4)
	v_fmac_f32_e32 v16, v3, v5
	v_fmac_f32_e32 v16, v4, v6
	s_waitcnt lgkmcnt(2)
	v_fmac_f32_e32 v16, v7, v9
	v_fmac_f32_e32 v16, v8, v10
	ds_read2_b32 v[3:4], v0 offset0:128 offset1:160
	ds_read2_b32 v[5:6], v17 offset0:128 offset1:160
	;; [unrolled: 1-line block ×4, first 2 shown]
	s_waitcnt lgkmcnt(4)
	v_fmac_f32_e32 v16, v11, v13
	v_add_u32_e32 v0, 0x1800, v2
	v_add_u32_e32 v17, 0x800, v15
	v_fmac_f32_e32 v16, v12, v14
	ds_read2_b32 v[11:12], v0 offset1:32
	ds_read2_b32 v[13:14], v17 offset1:32
	s_waitcnt lgkmcnt(4)
	v_fmac_f32_e32 v16, v3, v5
	v_fmac_f32_e32 v16, v4, v6
	s_waitcnt lgkmcnt(2)
	v_fmac_f32_e32 v16, v7, v9
	v_fmac_f32_e32 v16, v8, v10
	;; [unrolled: 3-line block ×3, first 2 shown]
	ds_read2_b32 v[3:4], v0 offset0:64 offset1:96
	ds_read2_b32 v[5:6], v17 offset0:64 offset1:96
	;; [unrolled: 1-line block ×6, first 2 shown]
	s_waitcnt lgkmcnt(4)
	v_fmac_f32_e32 v16, v3, v5
	v_add_u32_e32 v0, 0x1c00, v2
	s_mul_hi_u32 s6, s8, s7
	v_fmac_f32_e32 v16, v4, v6
	ds_read2_b32 v[3:4], v0 offset1:32
	s_mul_i32 s4, s8, s7
	s_add_i32 s5, s6, s5
	s_waitcnt lgkmcnt(3)
	v_fmac_f32_e32 v16, v7, v9
	s_lshl_b64 s[4:5], s[4:5], 2
	v_fmac_f32_e32 v16, v8, v10
	s_add_u32 s4, s0, s4
	s_waitcnt lgkmcnt(1)
	v_fmac_f32_e32 v16, v11, v13
	v_add_u32_e32 v15, 0xc00, v15
	s_addc_u32 s5, s1, s5
	s_lshl_b64 s[0:1], s[10:11], 2
	v_fmac_f32_e32 v16, v12, v14
	ds_read2_b32 v[5:6], v15 offset1:32
	ds_read2_b32 v[7:8], v0 offset0:64 offset1:96
	ds_read2_b32 v[9:10], v15 offset0:64 offset1:96
	;; [unrolled: 1-line block ×4, first 2 shown]
	s_add_u32 s4, s4, s0
	s_waitcnt lgkmcnt(4)
	v_fmac_f32_e32 v16, v3, v5
	s_addc_u32 s5, s5, s1
	v_fmac_f32_e32 v16, v4, v6
	v_mad_u64_u32 v[3:4], s[0:1], s2, v1, 0
	s_waitcnt lgkmcnt(2)
	v_fmac_f32_e32 v16, v7, v9
	v_fmac_f32_e32 v16, v8, v10
	ds_read2_b32 v[5:6], v0 offset0:192 offset1:224
	ds_read2_b32 v[7:8], v15 offset0:192 offset1:224
	v_mov_b32_e32 v0, v4
	v_mad_u64_u32 v[0:1], s[0:1], s3, v1, v[0:1]
	s_waitcnt lgkmcnt(2)
	v_fmac_f32_e32 v16, v11, v13
	v_fmac_f32_e32 v16, v12, v14
	v_mov_b32_e32 v4, v0
	v_lshlrev_b64 v[0:1], 2, v[3:4]
	v_mov_b32_e32 v3, s5
	v_add_co_u32_e32 v0, vcc, s4, v0
	s_waitcnt lgkmcnt(0)
	v_fmac_f32_e32 v16, v5, v7
	v_addc_co_u32_e32 v1, vcc, v3, v1, vcc
	v_fmac_f32_e32 v16, v6, v8
	v_add_co_u32_e32 v0, vcc, v0, v2
	v_mul_f32_e32 v5, s24, v16
	v_addc_co_u32_e32 v1, vcc, 0, v1, vcc
	global_store_dword v[0:1], v5, off
.LBB34_15:
	s_endpgm
	.section	.rodata,"a",@progbits
	.p2align	6, 0x0
	.amdhsa_kernel _ZL23rocblas_trmm_rTx_kernelILi32ELb1EfPKfS0_fEv13rocblas_fill_17rocblas_diagonal_iiT2_lPT3_llS6_llPT4_lli
		.amdhsa_group_segment_fixed_size 8192
		.amdhsa_private_segment_fixed_size 0
		.amdhsa_kernarg_size 108
		.amdhsa_user_sgpr_count 6
		.amdhsa_user_sgpr_private_segment_buffer 1
		.amdhsa_user_sgpr_dispatch_ptr 0
		.amdhsa_user_sgpr_queue_ptr 0
		.amdhsa_user_sgpr_kernarg_segment_ptr 1
		.amdhsa_user_sgpr_dispatch_id 0
		.amdhsa_user_sgpr_flat_scratch_init 0
		.amdhsa_user_sgpr_private_segment_size 0
		.amdhsa_uses_dynamic_stack 0
		.amdhsa_system_sgpr_private_segment_wavefront_offset 0
		.amdhsa_system_sgpr_workgroup_id_x 1
		.amdhsa_system_sgpr_workgroup_id_y 0
		.amdhsa_system_sgpr_workgroup_id_z 1
		.amdhsa_system_sgpr_workgroup_info 0
		.amdhsa_system_vgpr_workitem_id 1
		.amdhsa_next_free_vgpr 29
		.amdhsa_next_free_sgpr 61
		.amdhsa_reserve_vcc 1
		.amdhsa_reserve_flat_scratch 0
		.amdhsa_float_round_mode_32 0
		.amdhsa_float_round_mode_16_64 0
		.amdhsa_float_denorm_mode_32 3
		.amdhsa_float_denorm_mode_16_64 3
		.amdhsa_dx10_clamp 1
		.amdhsa_ieee_mode 1
		.amdhsa_fp16_overflow 0
		.amdhsa_exception_fp_ieee_invalid_op 0
		.amdhsa_exception_fp_denorm_src 0
		.amdhsa_exception_fp_ieee_div_zero 0
		.amdhsa_exception_fp_ieee_overflow 0
		.amdhsa_exception_fp_ieee_underflow 0
		.amdhsa_exception_fp_ieee_inexact 0
		.amdhsa_exception_int_div_zero 0
	.end_amdhsa_kernel
	.section	.text._ZL23rocblas_trmm_rTx_kernelILi32ELb1EfPKfS0_fEv13rocblas_fill_17rocblas_diagonal_iiT2_lPT3_llS6_llPT4_lli,"axG",@progbits,_ZL23rocblas_trmm_rTx_kernelILi32ELb1EfPKfS0_fEv13rocblas_fill_17rocblas_diagonal_iiT2_lPT3_llS6_llPT4_lli,comdat
.Lfunc_end34:
	.size	_ZL23rocblas_trmm_rTx_kernelILi32ELb1EfPKfS0_fEv13rocblas_fill_17rocblas_diagonal_iiT2_lPT3_llS6_llPT4_lli, .Lfunc_end34-_ZL23rocblas_trmm_rTx_kernelILi32ELb1EfPKfS0_fEv13rocblas_fill_17rocblas_diagonal_iiT2_lPT3_llS6_llPT4_lli
                                        ; -- End function
	.set _ZL23rocblas_trmm_rTx_kernelILi32ELb1EfPKfS0_fEv13rocblas_fill_17rocblas_diagonal_iiT2_lPT3_llS6_llPT4_lli.num_vgpr, 18
	.set _ZL23rocblas_trmm_rTx_kernelILi32ELb1EfPKfS0_fEv13rocblas_fill_17rocblas_diagonal_iiT2_lPT3_llS6_llPT4_lli.num_agpr, 0
	.set _ZL23rocblas_trmm_rTx_kernelILi32ELb1EfPKfS0_fEv13rocblas_fill_17rocblas_diagonal_iiT2_lPT3_llS6_llPT4_lli.numbered_sgpr, 25
	.set _ZL23rocblas_trmm_rTx_kernelILi32ELb1EfPKfS0_fEv13rocblas_fill_17rocblas_diagonal_iiT2_lPT3_llS6_llPT4_lli.num_named_barrier, 0
	.set _ZL23rocblas_trmm_rTx_kernelILi32ELb1EfPKfS0_fEv13rocblas_fill_17rocblas_diagonal_iiT2_lPT3_llS6_llPT4_lli.private_seg_size, 0
	.set _ZL23rocblas_trmm_rTx_kernelILi32ELb1EfPKfS0_fEv13rocblas_fill_17rocblas_diagonal_iiT2_lPT3_llS6_llPT4_lli.uses_vcc, 1
	.set _ZL23rocblas_trmm_rTx_kernelILi32ELb1EfPKfS0_fEv13rocblas_fill_17rocblas_diagonal_iiT2_lPT3_llS6_llPT4_lli.uses_flat_scratch, 0
	.set _ZL23rocblas_trmm_rTx_kernelILi32ELb1EfPKfS0_fEv13rocblas_fill_17rocblas_diagonal_iiT2_lPT3_llS6_llPT4_lli.has_dyn_sized_stack, 0
	.set _ZL23rocblas_trmm_rTx_kernelILi32ELb1EfPKfS0_fEv13rocblas_fill_17rocblas_diagonal_iiT2_lPT3_llS6_llPT4_lli.has_recursion, 0
	.set _ZL23rocblas_trmm_rTx_kernelILi32ELb1EfPKfS0_fEv13rocblas_fill_17rocblas_diagonal_iiT2_lPT3_llS6_llPT4_lli.has_indirect_call, 0
	.section	.AMDGPU.csdata,"",@progbits
; Kernel info:
; codeLenInByte = 1168
; TotalNumSgprs: 29
; NumVgprs: 18
; ScratchSize: 0
; MemoryBound: 0
; FloatMode: 240
; IeeeMode: 1
; LDSByteSize: 8192 bytes/workgroup (compile time only)
; SGPRBlocks: 8
; VGPRBlocks: 7
; NumSGPRsForWavesPerEU: 65
; NumVGPRsForWavesPerEU: 29
; Occupancy: 8
; WaveLimiterHint : 0
; COMPUTE_PGM_RSRC2:SCRATCH_EN: 0
; COMPUTE_PGM_RSRC2:USER_SGPR: 6
; COMPUTE_PGM_RSRC2:TRAP_HANDLER: 0
; COMPUTE_PGM_RSRC2:TGID_X_EN: 1
; COMPUTE_PGM_RSRC2:TGID_Y_EN: 0
; COMPUTE_PGM_RSRC2:TGID_Z_EN: 1
; COMPUTE_PGM_RSRC2:TIDIG_COMP_CNT: 1
	.section	.text._ZL23rocblas_trmm_rTx_kernelILi32ELb1EffKffEv13rocblas_fill_17rocblas_diagonal_iiT2_lPT3_llS5_llPT4_lli,"axG",@progbits,_ZL23rocblas_trmm_rTx_kernelILi32ELb1EffKffEv13rocblas_fill_17rocblas_diagonal_iiT2_lPT3_llS5_llPT4_lli,comdat
	.globl	_ZL23rocblas_trmm_rTx_kernelILi32ELb1EffKffEv13rocblas_fill_17rocblas_diagonal_iiT2_lPT3_llS5_llPT4_lli ; -- Begin function _ZL23rocblas_trmm_rTx_kernelILi32ELb1EffKffEv13rocblas_fill_17rocblas_diagonal_iiT2_lPT3_llS5_llPT4_lli
	.p2align	8
	.type	_ZL23rocblas_trmm_rTx_kernelILi32ELb1EffKffEv13rocblas_fill_17rocblas_diagonal_iiT2_lPT3_llS5_llPT4_lli,@function
_ZL23rocblas_trmm_rTx_kernelILi32ELb1EffKffEv13rocblas_fill_17rocblas_diagonal_iiT2_lPT3_llS5_llPT4_lli: ; @_ZL23rocblas_trmm_rTx_kernelILi32ELb1EffKffEv13rocblas_fill_17rocblas_diagonal_iiT2_lPT3_llS5_llPT4_lli
; %bb.0:
	s_load_dword s28, s[4:5], 0x10
	s_waitcnt lgkmcnt(0)
	v_cmp_eq_f32_e64 s[0:1], s28, 0
	s_and_b64 vcc, exec, s[0:1]
	s_cbranch_vccnz .LBB35_15
; %bb.1:
	s_load_dwordx4 s[24:27], s[4:5], 0x0
	s_load_dwordx16 s[8:23], s[4:5], 0x20
	v_lshlrev_b32_e32 v2, 5, v1
	v_add_lshl_u32 v3, v2, v0, 2
	v_mov_b32_e32 v2, 0
	s_waitcnt lgkmcnt(0)
	v_cmp_gt_i32_e32 vcc, s27, v1
	v_cmp_gt_i32_e64 s[0:1], s27, v0
	ds_write2st64_b32 v3, v2, v2 offset1:16
	s_and_b64 s[0:1], vcc, s[0:1]
	v_lshlrev_b32_e32 v2, 2, v0
	s_and_saveexec_b64 s[2:3], s[0:1]
	s_cbranch_execz .LBB35_3
; %bb.2:
	v_mad_u64_u32 v[4:5], s[0:1], s10, v1, 0
	s_mul_i32 s13, s13, s7
	s_mul_hi_u32 s0, s12, s7
	v_mad_u64_u32 v[5:6], s[10:11], s11, v1, v[5:6]
	s_add_i32 s1, s0, s13
	s_mul_i32 s0, s12, s7
	s_lshl_b64 s[0:1], s[0:1], 2
	s_add_u32 s0, s8, s0
	v_lshlrev_b64 v[4:5], 2, v[4:5]
	s_addc_u32 s1, s9, s1
	v_mov_b32_e32 v6, s1
	v_add_co_u32_e64 v4, s[0:1], s0, v4
	v_addc_co_u32_e64 v5, s[0:1], v6, v5, s[0:1]
	v_add_co_u32_e64 v4, s[0:1], v4, v2
	v_addc_co_u32_e64 v5, s[0:1], 0, v5, s[0:1]
	global_load_dword v4, v[4:5], off
	s_waitcnt vmcnt(0)
	ds_write_b32 v3, v4
.LBB35_3:
	s_or_b64 exec, exec, s[2:3]
	s_add_i32 s0, s26, -1
	s_ashr_i32 s1, s0, 31
	s_lshr_b32 s1, s1, 27
	s_add_i32 s0, s0, s1
	s_ashr_i32 s1, s0, 5
	s_andn2_b32 s0, s0, 31
	s_sub_i32 s0, s26, s0
	s_cmp_ge_i32 s6, s1
	s_cselect_b32 s0, s0, 32
	s_lshl_b32 s2, s6, 5
	v_cmp_gt_i32_e64 s[0:1], s0, v0
	s_ashr_i32 s3, s2, 31
	s_and_b64 s[0:1], vcc, s[0:1]
	s_and_saveexec_b64 s[8:9], s[0:1]
	s_cbranch_execz .LBB35_5
; %bb.4:
	s_mul_i32 s6, s19, s7
	s_mul_hi_u32 s10, s18, s7
	v_mad_u64_u32 v[4:5], s[12:13], s16, v1, 0
	s_add_i32 s11, s10, s6
	s_mul_i32 s10, s18, s7
	s_lshl_b64 s[10:11], s[10:11], 2
	s_add_u32 s6, s14, s10
	s_addc_u32 s12, s15, s11
	v_mad_u64_u32 v[5:6], s[10:11], s17, v1, v[5:6]
	s_lshl_b64 s[10:11], s[2:3], 2
	s_add_u32 s6, s6, s10
	v_lshlrev_b64 v[4:5], 2, v[4:5]
	s_addc_u32 s10, s12, s11
	v_mov_b32_e32 v6, s10
	v_add_co_u32_e32 v4, vcc, s6, v4
	v_addc_co_u32_e32 v5, vcc, v6, v5, vcc
	v_add_co_u32_e32 v4, vcc, v4, v2
	v_addc_co_u32_e32 v5, vcc, 0, v5, vcc
	global_load_dword v4, v[4:5], off
	v_add_u32_e32 v5, 0x1000, v3
	s_waitcnt vmcnt(0)
	ds_write_b32 v5, v4
.LBB35_5:
	s_or_b64 exec, exec, s[8:9]
	s_cmpk_eq_i32 s25, 0x84
	s_cselect_b64 s[8:9], -1, 0
	v_cmp_eq_u32_e32 vcc, v1, v0
	s_and_b64 s[10:11], vcc, s[8:9]
	s_and_saveexec_b64 s[8:9], s[10:11]
; %bb.6:
	v_mov_b32_e32 v4, 1.0
	ds_write_b32 v3, v4
; %bb.7:
	s_or_b64 exec, exec, s[8:9]
	s_cmpk_lg_i32 s24, 0x79
	s_cbranch_scc0 .LBB35_9
; %bb.8:
	v_cmp_lt_u32_e32 vcc, v0, v1
	s_and_b64 s[8:9], vcc, exec
	s_cbranch_execz .LBB35_10
	s_branch .LBB35_11
.LBB35_9:
	s_mov_b64 s[8:9], 0
.LBB35_10:
	v_cmp_gt_u32_e32 vcc, v0, v1
	s_andn2_b64 s[8:9], s[8:9], exec
	s_and_b64 s[10:11], vcc, exec
	s_or_b64 s[8:9], s[8:9], s[10:11]
.LBB35_11:
	s_and_saveexec_b64 s[10:11], s[8:9]
; %bb.12:
	v_mov_b32_e32 v0, 0
	ds_write_b32 v3, v0
; %bb.13:
	s_or_b64 exec, exec, s[10:11]
	s_waitcnt lgkmcnt(0)
	s_barrier
	s_and_saveexec_b64 s[8:9], s[0:1]
	s_cbranch_execz .LBB35_15
; %bb.14:
	v_add_u32_e32 v0, 0x1000, v2
	ds_read2_b32 v[3:4], v0 offset1:32
	v_lshlrev_b32_e32 v15, 2, v1
	ds_read2_b32 v[5:6], v15 offset1:32
	ds_read2_b32 v[7:8], v0 offset0:64 offset1:96
	ds_read2_b32 v[9:10], v15 offset0:64 offset1:96
	;; [unrolled: 1-line block ×4, first 2 shown]
	v_add_u32_e32 v17, 0x400, v15
	s_load_dwordx2 s[0:1], s[4:5], 0x60
	s_waitcnt lgkmcnt(0)
	v_fma_f32 v16, v3, v5, 0
	v_fmac_f32_e32 v16, v4, v6
	ds_read2_b32 v[3:4], v0 offset0:192 offset1:224
	ds_read2_b32 v[5:6], v15 offset0:192 offset1:224
	v_fmac_f32_e32 v16, v7, v9
	v_add_u32_e32 v0, 0x1400, v2
	v_fmac_f32_e32 v16, v8, v10
	ds_read2_b32 v[7:8], v0 offset1:32
	v_fmac_f32_e32 v16, v11, v13
	v_fmac_f32_e32 v16, v12, v14
	ds_read2_b32 v[9:10], v17 offset1:32
	ds_read2_b32 v[11:12], v0 offset0:64 offset1:96
	ds_read2_b32 v[13:14], v17 offset0:64 offset1:96
	s_waitcnt lgkmcnt(4)
	v_fmac_f32_e32 v16, v3, v5
	v_fmac_f32_e32 v16, v4, v6
	s_waitcnt lgkmcnt(2)
	v_fmac_f32_e32 v16, v7, v9
	v_fmac_f32_e32 v16, v8, v10
	ds_read2_b32 v[3:4], v0 offset0:128 offset1:160
	ds_read2_b32 v[5:6], v17 offset0:128 offset1:160
	;; [unrolled: 1-line block ×4, first 2 shown]
	s_waitcnt lgkmcnt(4)
	v_fmac_f32_e32 v16, v11, v13
	v_add_u32_e32 v0, 0x1800, v2
	v_add_u32_e32 v17, 0x800, v15
	v_fmac_f32_e32 v16, v12, v14
	ds_read2_b32 v[11:12], v0 offset1:32
	ds_read2_b32 v[13:14], v17 offset1:32
	s_waitcnt lgkmcnt(4)
	v_fmac_f32_e32 v16, v3, v5
	v_fmac_f32_e32 v16, v4, v6
	s_waitcnt lgkmcnt(2)
	v_fmac_f32_e32 v16, v7, v9
	v_fmac_f32_e32 v16, v8, v10
	;; [unrolled: 3-line block ×3, first 2 shown]
	ds_read2_b32 v[3:4], v0 offset0:64 offset1:96
	ds_read2_b32 v[5:6], v17 offset0:64 offset1:96
	;; [unrolled: 1-line block ×6, first 2 shown]
	s_waitcnt lgkmcnt(4)
	v_fmac_f32_e32 v16, v3, v5
	v_add_u32_e32 v0, 0x1c00, v2
	s_mul_i32 s1, s1, s7
	s_mul_hi_u32 s4, s0, s7
	v_fmac_f32_e32 v16, v4, v6
	ds_read2_b32 v[3:4], v0 offset1:32
	s_mul_i32 s0, s0, s7
	s_add_i32 s1, s4, s1
	s_waitcnt lgkmcnt(3)
	v_fmac_f32_e32 v16, v7, v9
	s_lshl_b64 s[0:1], s[0:1], 2
	v_fmac_f32_e32 v16, v8, v10
	s_add_u32 s4, s20, s0
	s_waitcnt lgkmcnt(1)
	v_fmac_f32_e32 v16, v11, v13
	v_add_u32_e32 v15, 0xc00, v15
	s_addc_u32 s5, s21, s1
	s_lshl_b64 s[0:1], s[2:3], 2
	v_fmac_f32_e32 v16, v12, v14
	ds_read2_b32 v[5:6], v15 offset1:32
	ds_read2_b32 v[7:8], v0 offset0:64 offset1:96
	ds_read2_b32 v[9:10], v15 offset0:64 offset1:96
	;; [unrolled: 1-line block ×4, first 2 shown]
	s_add_u32 s2, s4, s0
	s_waitcnt lgkmcnt(4)
	v_fmac_f32_e32 v16, v3, v5
	s_addc_u32 s3, s5, s1
	v_fmac_f32_e32 v16, v4, v6
	v_mad_u64_u32 v[3:4], s[0:1], s22, v1, 0
	s_waitcnt lgkmcnt(2)
	v_fmac_f32_e32 v16, v7, v9
	v_fmac_f32_e32 v16, v8, v10
	ds_read2_b32 v[5:6], v0 offset0:192 offset1:224
	ds_read2_b32 v[7:8], v15 offset0:192 offset1:224
	v_mov_b32_e32 v0, v4
	v_mad_u64_u32 v[0:1], s[0:1], s23, v1, v[0:1]
	s_waitcnt lgkmcnt(2)
	v_fmac_f32_e32 v16, v11, v13
	v_fmac_f32_e32 v16, v12, v14
	v_mov_b32_e32 v4, v0
	v_lshlrev_b64 v[0:1], 2, v[3:4]
	v_mov_b32_e32 v3, s3
	v_add_co_u32_e32 v0, vcc, s2, v0
	s_waitcnt lgkmcnt(0)
	v_fmac_f32_e32 v16, v5, v7
	v_addc_co_u32_e32 v1, vcc, v3, v1, vcc
	v_fmac_f32_e32 v16, v6, v8
	v_add_co_u32_e32 v0, vcc, v0, v2
	v_mul_f32_e32 v5, s28, v16
	v_addc_co_u32_e32 v1, vcc, 0, v1, vcc
	global_store_dword v[0:1], v5, off
.LBB35_15:
	s_endpgm
	.section	.rodata,"a",@progbits
	.p2align	6, 0x0
	.amdhsa_kernel _ZL23rocblas_trmm_rTx_kernelILi32ELb1EffKffEv13rocblas_fill_17rocblas_diagonal_iiT2_lPT3_llS5_llPT4_lli
		.amdhsa_group_segment_fixed_size 8192
		.amdhsa_private_segment_fixed_size 0
		.amdhsa_kernarg_size 108
		.amdhsa_user_sgpr_count 6
		.amdhsa_user_sgpr_private_segment_buffer 1
		.amdhsa_user_sgpr_dispatch_ptr 0
		.amdhsa_user_sgpr_queue_ptr 0
		.amdhsa_user_sgpr_kernarg_segment_ptr 1
		.amdhsa_user_sgpr_dispatch_id 0
		.amdhsa_user_sgpr_flat_scratch_init 0
		.amdhsa_user_sgpr_private_segment_size 0
		.amdhsa_uses_dynamic_stack 0
		.amdhsa_system_sgpr_private_segment_wavefront_offset 0
		.amdhsa_system_sgpr_workgroup_id_x 1
		.amdhsa_system_sgpr_workgroup_id_y 0
		.amdhsa_system_sgpr_workgroup_id_z 1
		.amdhsa_system_sgpr_workgroup_info 0
		.amdhsa_system_vgpr_workitem_id 1
		.amdhsa_next_free_vgpr 29
		.amdhsa_next_free_sgpr 61
		.amdhsa_reserve_vcc 1
		.amdhsa_reserve_flat_scratch 0
		.amdhsa_float_round_mode_32 0
		.amdhsa_float_round_mode_16_64 0
		.amdhsa_float_denorm_mode_32 3
		.amdhsa_float_denorm_mode_16_64 3
		.amdhsa_dx10_clamp 1
		.amdhsa_ieee_mode 1
		.amdhsa_fp16_overflow 0
		.amdhsa_exception_fp_ieee_invalid_op 0
		.amdhsa_exception_fp_denorm_src 0
		.amdhsa_exception_fp_ieee_div_zero 0
		.amdhsa_exception_fp_ieee_overflow 0
		.amdhsa_exception_fp_ieee_underflow 0
		.amdhsa_exception_fp_ieee_inexact 0
		.amdhsa_exception_int_div_zero 0
	.end_amdhsa_kernel
	.section	.text._ZL23rocblas_trmm_rTx_kernelILi32ELb1EffKffEv13rocblas_fill_17rocblas_diagonal_iiT2_lPT3_llS5_llPT4_lli,"axG",@progbits,_ZL23rocblas_trmm_rTx_kernelILi32ELb1EffKffEv13rocblas_fill_17rocblas_diagonal_iiT2_lPT3_llS5_llPT4_lli,comdat
.Lfunc_end35:
	.size	_ZL23rocblas_trmm_rTx_kernelILi32ELb1EffKffEv13rocblas_fill_17rocblas_diagonal_iiT2_lPT3_llS5_llPT4_lli, .Lfunc_end35-_ZL23rocblas_trmm_rTx_kernelILi32ELb1EffKffEv13rocblas_fill_17rocblas_diagonal_iiT2_lPT3_llS5_llPT4_lli
                                        ; -- End function
	.set _ZL23rocblas_trmm_rTx_kernelILi32ELb1EffKffEv13rocblas_fill_17rocblas_diagonal_iiT2_lPT3_llS5_llPT4_lli.num_vgpr, 18
	.set _ZL23rocblas_trmm_rTx_kernelILi32ELb1EffKffEv13rocblas_fill_17rocblas_diagonal_iiT2_lPT3_llS5_llPT4_lli.num_agpr, 0
	.set _ZL23rocblas_trmm_rTx_kernelILi32ELb1EffKffEv13rocblas_fill_17rocblas_diagonal_iiT2_lPT3_llS5_llPT4_lli.numbered_sgpr, 29
	.set _ZL23rocblas_trmm_rTx_kernelILi32ELb1EffKffEv13rocblas_fill_17rocblas_diagonal_iiT2_lPT3_llS5_llPT4_lli.num_named_barrier, 0
	.set _ZL23rocblas_trmm_rTx_kernelILi32ELb1EffKffEv13rocblas_fill_17rocblas_diagonal_iiT2_lPT3_llS5_llPT4_lli.private_seg_size, 0
	.set _ZL23rocblas_trmm_rTx_kernelILi32ELb1EffKffEv13rocblas_fill_17rocblas_diagonal_iiT2_lPT3_llS5_llPT4_lli.uses_vcc, 1
	.set _ZL23rocblas_trmm_rTx_kernelILi32ELb1EffKffEv13rocblas_fill_17rocblas_diagonal_iiT2_lPT3_llS5_llPT4_lli.uses_flat_scratch, 0
	.set _ZL23rocblas_trmm_rTx_kernelILi32ELb1EffKffEv13rocblas_fill_17rocblas_diagonal_iiT2_lPT3_llS5_llPT4_lli.has_dyn_sized_stack, 0
	.set _ZL23rocblas_trmm_rTx_kernelILi32ELb1EffKffEv13rocblas_fill_17rocblas_diagonal_iiT2_lPT3_llS5_llPT4_lli.has_recursion, 0
	.set _ZL23rocblas_trmm_rTx_kernelILi32ELb1EffKffEv13rocblas_fill_17rocblas_diagonal_iiT2_lPT3_llS5_llPT4_lli.has_indirect_call, 0
	.section	.AMDGPU.csdata,"",@progbits
; Kernel info:
; codeLenInByte = 1128
; TotalNumSgprs: 33
; NumVgprs: 18
; ScratchSize: 0
; MemoryBound: 0
; FloatMode: 240
; IeeeMode: 1
; LDSByteSize: 8192 bytes/workgroup (compile time only)
; SGPRBlocks: 8
; VGPRBlocks: 7
; NumSGPRsForWavesPerEU: 65
; NumVGPRsForWavesPerEU: 29
; Occupancy: 8
; WaveLimiterHint : 0
; COMPUTE_PGM_RSRC2:SCRATCH_EN: 0
; COMPUTE_PGM_RSRC2:USER_SGPR: 6
; COMPUTE_PGM_RSRC2:TRAP_HANDLER: 0
; COMPUTE_PGM_RSRC2:TGID_X_EN: 1
; COMPUTE_PGM_RSRC2:TGID_Y_EN: 0
; COMPUTE_PGM_RSRC2:TGID_Z_EN: 1
; COMPUTE_PGM_RSRC2:TIDIG_COMP_CNT: 1
	.section	.text._ZL30rocblas_trmm_outofplace_kernelIdLi32ELi2ELb1ELb0ELb0ELb0EPKdS0_dEv17rocblas_diagonal_iiT6_lPT7_lllS5_lllPT8_llli,"axG",@progbits,_ZL30rocblas_trmm_outofplace_kernelIdLi32ELi2ELb1ELb0ELb0ELb0EPKdS0_dEv17rocblas_diagonal_iiT6_lPT7_lllS5_lllPT8_llli,comdat
	.globl	_ZL30rocblas_trmm_outofplace_kernelIdLi32ELi2ELb1ELb0ELb0ELb0EPKdS0_dEv17rocblas_diagonal_iiT6_lPT7_lllS5_lllPT8_llli ; -- Begin function _ZL30rocblas_trmm_outofplace_kernelIdLi32ELi2ELb1ELb0ELb0ELb0EPKdS0_dEv17rocblas_diagonal_iiT6_lPT7_lllS5_lllPT8_llli
	.p2align	8
	.type	_ZL30rocblas_trmm_outofplace_kernelIdLi32ELi2ELb1ELb0ELb0ELb0EPKdS0_dEv17rocblas_diagonal_iiT6_lPT7_lllS5_lllPT8_llli,@function
_ZL30rocblas_trmm_outofplace_kernelIdLi32ELi2ELb1ELb0ELb0ELb0EPKdS0_dEv17rocblas_diagonal_iiT6_lPT7_lllS5_lllPT8_llli: ; @_ZL30rocblas_trmm_outofplace_kernelIdLi32ELi2ELb1ELb0ELb0ELb0EPKdS0_dEv17rocblas_diagonal_iiT6_lPT7_lllS5_lllPT8_llli
; %bb.0:
	s_load_dwordx16 s[12:27], s[4:5], 0x10
	s_mov_b64 s[58:59], s[2:3]
	s_mov_b64 s[56:57], s[0:1]
	s_add_u32 s56, s56, s9
	s_addc_u32 s57, s57, 0
	s_waitcnt lgkmcnt(0)
	s_mul_i32 s0, s15, s8
	s_mul_hi_u32 s1, s14, s8
	s_add_i32 s1, s1, s0
	s_mul_i32 s0, s14, s8
	s_lshl_b64 s[0:1], s[0:1], 3
	s_add_u32 s0, s12, s0
	s_addc_u32 s1, s13, s1
	s_load_dwordx2 s[34:35], s[0:1], 0x0
	s_waitcnt lgkmcnt(0)
	v_cmp_eq_f64_e64 s[0:1], s[34:35], 0
	s_and_b64 vcc, exec, s[0:1]
	s_cbranch_vccnz .LBB36_51
; %bb.1:
	s_load_dwordx4 s[28:31], s[4:5], 0x0
	s_waitcnt lgkmcnt(0)
	s_add_i32 s0, s30, -1
	s_ashr_i32 s1, s0, 31
	s_lshr_b32 s1, s1, 27
	s_add_i32 s0, s0, s1
	s_ashr_i32 s31, s0, 5
	s_cmp_gt_i32 s7, s31
	s_cbranch_scc1 .LBB36_51
; %bb.2:
	s_mul_i32 s0, s23, s8
	s_mul_hi_u32 s1, s22, s8
	s_load_dwordx8 s[36:43], s[4:5], 0x50
	s_load_dwordx4 s[44:47], s[4:5], 0x70
	s_add_i32 s1, s1, s0
	s_mul_i32 s0, s22, s8
	s_lshl_b64 s[10:11], s[0:1], 3
	s_add_u32 s0, s16, s10
	s_addc_u32 s1, s17, s11
	s_lshl_b64 s[12:13], s[18:19], 3
	s_add_u32 s9, s0, s12
	s_addc_u32 s14, s1, s13
	s_waitcnt lgkmcnt(0)
	s_mul_i32 s0, s47, s8
	s_mul_hi_u32 s1, s46, s8
	s_add_i32 s1, s1, s0
	s_mul_i32 s0, s46, s8
	s_lshl_b64 s[0:1], s[0:1], 3
	v_mad_u64_u32 v[2:3], s[2:3], s20, v1, 0
	s_load_dword s33, s[4:5], 0x8c
	s_add_u32 s4, s40, s0
	s_addc_u32 s5, s41, s1
	s_lshl_b64 s[0:1], s[42:43], 3
	s_add_u32 s50, s4, s0
	s_addc_u32 s51, s5, s1
	v_mad_u64_u32 v[3:4], s[0:1], s21, v1, v[3:4]
	s_lshl_b32 s52, s6, 5
	s_cmp_gt_i32 s6, -1
	s_cselect_b64 s[22:23], -1, 0
	s_cmpk_eq_i32 s28, 0x84
	s_cselect_b64 s[40:41], -1, 0
	s_ashr_i32 s43, s29, 31
	s_ashr_i32 s6, s30, 31
	s_lshl_b64 s[46:47], s[20:21], 8
	v_lshlrev_b64 v[2:3], 3, v[2:3]
	s_add_u32 s48, s29, -16
	s_addc_u32 s49, s43, -1
	v_add_co_u32_e32 v2, vcc, s9, v2
	s_add_u32 s9, s16, s12
	v_mov_b32_e32 v4, s14
	s_addc_u32 s12, s17, s13
	v_addc_co_u32_e32 v3, vcc, v4, v3, vcc
	v_mov_b32_e32 v4, 0x80
	s_add_u32 s10, s9, s10
	v_lshl_add_u32 v6, v1, 3, v4
	s_addc_u32 s11, s12, s11
	v_mov_b32_e32 v4, s10
	v_mov_b32_e32 v5, s11
	v_mad_u64_u32 v[7:8], s[10:11], s20, v6, v[4:5]
	v_add_u32_e32 v12, s52, v0
	v_ashrrev_i32_e32 v13, 31, v12
	v_mov_b32_e32 v4, v8
	v_add_co_u32_e32 v20, vcc, 16, v12
	v_mad_u64_u32 v[4:5], s[10:11], s21, v6, v[4:5]
	v_addc_co_u32_e32 v21, vcc, 0, v13, vcc
	s_mul_i32 s9, s39, s8
	s_mul_hi_u32 s10, s38, s8
	v_sub_co_u32_e32 v18, vcc, v12, v1
	s_add_i32 s9, s10, s9
	s_mul_i32 s8, s38, s8
	v_subbrev_co_u32_e32 v19, vcc, 0, v13, vcc
	s_lshl_b64 s[8:9], s[8:9], 3
	s_lshl_b64 s[10:11], s[26:27], 3
	v_add_co_u32_e32 v22, vcc, 16, v18
	s_add_u32 s8, s8, s10
	v_addc_co_u32_e32 v23, vcc, 0, v19, vcc
	s_addc_u32 s9, s9, s11
	buffer_store_dword v2, off, s[56:59], 0 offset:8 ; 4-byte Folded Spill
	s_nop 0
	buffer_store_dword v3, off, s[56:59], 0 offset:12 ; 4-byte Folded Spill
	v_add_co_u32_e32 v24, vcc, -16, v18
	s_add_u32 s8, s24, s8
	v_lshlrev_b32_e32 v2, 8, v1
	v_lshlrev_b32_e32 v50, 3, v0
	v_addc_co_u32_e32 v25, vcc, -1, v19, vcc
	s_addc_u32 s9, s25, s9
	v_add_u32_e32 v51, v50, v2
	v_add_u32_e32 v52, 0x2000, v2
	;; [unrolled: 1-line block ×3, first 2 shown]
	v_mov_b32_e32 v8, v4
	v_mov_b32_e32 v4, s9
	v_add_co_u32_e32 v5, vcc, s8, v50
	s_mov_b32 s42, s29
	v_ashrrev_i32_e32 v3, 31, v2
	v_addc_co_u32_e32 v4, vcc, 0, v4, vcc
	s_movk_i32 s8, 0x80
	v_cmp_le_i64_e64 s[2:3], s[42:43], v[20:21]
	v_cmp_gt_i32_e64 s[18:19], s29, v2
	v_add_co_u32_e32 v5, vcc, s8, v5
	v_lshlrev_b64 v[2:3], 3, v[2:3]
	v_lshlrev_b64 v[30:31], 3, v[12:13]
	v_mov_b32_e32 v10, 0
	v_add_u32_e32 v53, v52, v50
	v_cmp_le_i32_e64 s[0:1], s29, v12
	v_cmp_gt_i32_e64 s[4:5], s29, v12
	v_addc_co_u32_e32 v6, vcc, 0, v4, vcc
	s_lshl_b64 s[24:25], s[36:37], 3
	s_waitcnt lgkmcnt(0)
	s_lshl_b32 s28, s33, 5
	v_mov_b32_e32 v54, 0x3ff00000
	s_movk_i32 s29, 0x100
	v_lshl_add_u32 v32, s7, 5, v1
	buffer_store_dword v7, off, s[56:59], 0 offset:16 ; 4-byte Folded Spill
	s_nop 0
	buffer_store_dword v8, off, s[56:59], 0 offset:20 ; 4-byte Folded Spill
	buffer_store_dword v5, off, s[56:59], 0 offset:24 ; 4-byte Folded Spill
	s_nop 0
	buffer_store_dword v6, off, s[56:59], 0 offset:28 ; 4-byte Folded Spill
	buffer_store_dword v2, off, s[56:59], 0 ; 4-byte Folded Spill
	s_nop 0
	buffer_store_dword v3, off, s[56:59], 0 offset:4 ; 4-byte Folded Spill
	s_branch .LBB36_4
.LBB36_3:                               ;   in Loop: Header=BB36_4 Depth=1
	s_or_b64 exec, exec, s[8:9]
	s_add_i32 s7, s33, s7
	s_cmp_le_i32 s7, s31
	v_add_u32_e32 v32, s28, v32
	s_cbranch_scc0 .LBB36_51
.LBB36_4:                               ; =>This Loop Header: Depth=1
                                        ;     Child Loop BB36_7 Depth 2
	v_lshl_add_u32 v55, s7, 5, v1
	v_mov_b32_e32 v48, 0
	v_mov_b32_e32 v46, 0
	;; [unrolled: 1-line block ×5, first 2 shown]
	s_andn2_b64 vcc, exec, s[22:23]
	v_mov_b32_e32 v47, 0
	v_mov_b32_e32 v45, 0
	;; [unrolled: 1-line block ×3, first 2 shown]
	v_ashrrev_i32_e32 v56, 31, v55
	s_cbranch_vccnz .LBB36_43
; %bb.5:                                ;   in Loop: Header=BB36_4 Depth=1
	buffer_load_dword v7, off, s[56:59], 0 offset:24 ; 4-byte Folded Reload
	buffer_load_dword v8, off, s[56:59], 0 offset:28 ; 4-byte Folded Reload
	;; [unrolled: 1-line block ×6, first 2 shown]
	v_ashrrev_i32_e32 v33, 31, v32
	v_lshlrev_b64 v[2:3], 3, v[32:33]
	v_mul_lo_u32 v4, s25, v32
	v_add_co_u32_e32 v2, vcc, 0x80, v2
	v_addc_co_u32_e32 v3, vcc, 0, v3, vcc
	v_mul_lo_u32 v3, s36, v3
	v_mul_lo_u32 v6, s37, v2
	;; [unrolled: 1-line block ×3, first 2 shown]
	v_mov_b32_e32 v42, 0
	v_mov_b32_e32 v44, 0
	;; [unrolled: 1-line block ×4, first 2 shown]
	s_mov_b64 s[26:27], 0
	v_mov_b32_e32 v43, 0
	v_mov_b32_e32 v45, 0
	;; [unrolled: 1-line block ×4, first 2 shown]
	s_waitcnt vmcnt(4)
	v_mad_u64_u32 v[36:37], s[8:9], s36, v2, v[7:8]
	v_mad_u64_u32 v[34:35], s[8:9], s24, v32, v[7:8]
	v_add3_u32 v37, v6, v37, v3
	v_mov_b32_e32 v3, s6
	v_sub_co_u32_e32 v2, vcc, s30, v55
	v_subb_co_u32_e32 v3, vcc, v3, v56, vcc
	v_cmp_lt_i64_e64 s[8:9], 0, v[2:3]
	v_cmp_lt_i64_e64 s[10:11], 16, v[2:3]
	v_add3_u32 v35, v4, v35, v5
	s_branch .LBB36_7
.LBB36_6:                               ;   in Loop: Header=BB36_7 Depth=2
	s_or_b64 exec, exec, s[12:13]
	s_waitcnt lgkmcnt(0)
	s_barrier
	ds_read_b128 v[57:60], v52
	ds_read_b128 v[26:29], v52 offset:16
	ds_read_b128 v[6:9], v52 offset:32
	;; [unrolled: 1-line block ×3, first 2 shown]
	ds_read2_b64 v[14:17], v50 offset1:16
	v_add_co_u32_e32 v40, vcc, s46, v40
	s_add_u32 s26, s26, 32
	s_addc_u32 s27, s27, 0
	s_waitcnt lgkmcnt(0)
	v_fma_f64 v[61:62], v[14:15], v[57:58], v[48:49]
	v_fma_f64 v[57:58], v[16:17], v[57:58], v[46:47]
	ds_read_b128 v[46:49], v52 offset:4096
	s_sub_i32 s12, s26, 32
	s_cmp_ge_i32 s12, s52
	s_waitcnt lgkmcnt(0)
	v_fma_f64 v[44:45], v[14:15], v[46:47], v[44:45]
	v_fma_f64 v[42:43], v[16:17], v[46:47], v[42:43]
	ds_read2_b64 v[14:17], v50 offset0:32 offset1:48
	s_waitcnt lgkmcnt(0)
	v_fma_f64 v[46:47], v[14:15], v[59:60], v[61:62]
	v_fma_f64 v[57:58], v[16:17], v[59:60], v[57:58]
	;; [unrolled: 1-line block ×4, first 2 shown]
	ds_read2_b64 v[14:17], v50 offset0:64 offset1:80
	ds_read_b128 v[42:45], v52 offset:4112
	s_waitcnt lgkmcnt(1)
	v_fma_f64 v[46:47], v[14:15], v[26:27], v[46:47]
	v_fma_f64 v[26:27], v[16:17], v[26:27], v[57:58]
	s_waitcnt lgkmcnt(0)
	v_fma_f64 v[57:58], v[14:15], v[42:43], v[59:60]
	v_fma_f64 v[42:43], v[16:17], v[42:43], v[48:49]
	ds_read2_b64 v[14:17], v50 offset0:96 offset1:112
	s_waitcnt lgkmcnt(0)
	v_fma_f64 v[46:47], v[14:15], v[28:29], v[46:47]
	v_fma_f64 v[26:27], v[16:17], v[28:29], v[26:27]
	;; [unrolled: 1-line block ×4, first 2 shown]
	ds_read2_b64 v[14:17], v50 offset0:128 offset1:144
	s_waitcnt lgkmcnt(0)
	v_fma_f64 v[44:45], v[14:15], v[6:7], v[46:47]
	v_fma_f64 v[6:7], v[16:17], v[6:7], v[26:27]
	ds_read_b128 v[26:29], v52 offset:4128
	s_waitcnt lgkmcnt(0)
	v_fma_f64 v[46:47], v[14:15], v[26:27], v[48:49]
	v_fma_f64 v[26:27], v[16:17], v[26:27], v[42:43]
	ds_read2_b64 v[14:17], v50 offset0:160 offset1:176
	s_waitcnt lgkmcnt(0)
	v_fma_f64 v[42:43], v[14:15], v[8:9], v[44:45]
	v_fma_f64 v[44:45], v[16:17], v[8:9], v[6:7]
	;; [unrolled: 1-line block ×4, first 2 shown]
	ds_read2_b64 v[6:9], v50 offset0:192 offset1:208
	ds_read_b128 v[14:17], v52 offset:4144
	s_waitcnt lgkmcnt(1)
	v_fma_f64 v[28:29], v[6:7], v[2:3], v[42:43]
	v_fma_f64 v[2:3], v[8:9], v[2:3], v[44:45]
	s_waitcnt lgkmcnt(0)
	v_fma_f64 v[42:43], v[6:7], v[14:15], v[46:47]
	v_fma_f64 v[14:15], v[8:9], v[14:15], v[26:27]
	ds_read2_b64 v[6:9], v50 offset0:224 offset1:240
	s_waitcnt lgkmcnt(0)
	v_fma_f64 v[26:27], v[6:7], v[4:5], v[28:29]
	v_fma_f64 v[28:29], v[8:9], v[4:5], v[2:3]
	v_add_u32_e32 v2, 0x800, v50
	v_fma_f64 v[42:43], v[6:7], v[16:17], v[42:43]
	v_fma_f64 v[7:8], v[8:9], v[16:17], v[14:15]
	ds_read_b128 v[3:6], v52 offset:64
	ds_read2_b64 v[14:17], v2 offset1:16
	s_waitcnt lgkmcnt(0)
	v_fma_f64 v[44:45], v[14:15], v[3:4], v[26:27]
	v_fma_f64 v[3:4], v[16:17], v[3:4], v[28:29]
	ds_read_b128 v[26:29], v52 offset:4160
	s_waitcnt lgkmcnt(0)
	v_fma_f64 v[42:43], v[14:15], v[26:27], v[42:43]
	v_fma_f64 v[7:8], v[16:17], v[26:27], v[7:8]
	ds_read2_b64 v[14:17], v2 offset0:32 offset1:48
	s_waitcnt lgkmcnt(0)
	v_fma_f64 v[26:27], v[14:15], v[5:6], v[44:45]
	v_fma_f64 v[44:45], v[16:17], v[5:6], v[3:4]
	v_fma_f64 v[42:43], v[14:15], v[28:29], v[42:43]
	v_fma_f64 v[7:8], v[16:17], v[28:29], v[7:8]
	ds_read_b128 v[3:6], v52 offset:80
	ds_read2_b64 v[14:17], v2 offset0:64 offset1:80
	s_waitcnt lgkmcnt(0)
	v_fma_f64 v[46:47], v[14:15], v[3:4], v[26:27]
	ds_read_b128 v[26:29], v52 offset:4176
	v_fma_f64 v[3:4], v[16:17], v[3:4], v[44:45]
	s_waitcnt lgkmcnt(0)
	v_fma_f64 v[42:43], v[14:15], v[26:27], v[42:43]
	v_fma_f64 v[7:8], v[16:17], v[26:27], v[7:8]
	ds_read2_b64 v[14:17], v2 offset0:96 offset1:112
	s_waitcnt lgkmcnt(0)
	v_fma_f64 v[26:27], v[14:15], v[5:6], v[46:47]
	v_fma_f64 v[44:45], v[16:17], v[5:6], v[3:4]
	v_fma_f64 v[42:43], v[14:15], v[28:29], v[42:43]
	v_fma_f64 v[7:8], v[16:17], v[28:29], v[7:8]
	ds_read_b128 v[3:6], v52 offset:96
	ds_read2_b64 v[14:17], v2 offset0:128 offset1:144
	s_waitcnt lgkmcnt(0)
	v_fma_f64 v[46:47], v[14:15], v[3:4], v[26:27]
	ds_read_b128 v[26:29], v52 offset:4192
	v_fma_f64 v[3:4], v[16:17], v[3:4], v[44:45]
	;; [unrolled: 15-line block ×3, first 2 shown]
	s_waitcnt lgkmcnt(0)
	v_fma_f64 v[42:43], v[14:15], v[26:27], v[42:43]
	v_fma_f64 v[7:8], v[16:17], v[26:27], v[7:8]
	ds_read2_b64 v[14:17], v2 offset0:224 offset1:240
	v_add_u32_e32 v2, 0x1000, v50
	s_waitcnt lgkmcnt(0)
	v_fma_f64 v[26:27], v[14:15], v[5:6], v[46:47]
	v_fma_f64 v[44:45], v[16:17], v[5:6], v[3:4]
	v_fma_f64 v[42:43], v[14:15], v[28:29], v[42:43]
	v_fma_f64 v[7:8], v[16:17], v[28:29], v[7:8]
	ds_read_b128 v[3:6], v52 offset:128
	ds_read2_b64 v[14:17], v2 offset1:16
	s_waitcnt lgkmcnt(0)
	v_fma_f64 v[46:47], v[14:15], v[3:4], v[26:27]
	ds_read_b128 v[26:29], v52 offset:4224
	v_fma_f64 v[3:4], v[16:17], v[3:4], v[44:45]
	s_waitcnt lgkmcnt(0)
	v_fma_f64 v[42:43], v[14:15], v[26:27], v[42:43]
	v_fma_f64 v[7:8], v[16:17], v[26:27], v[7:8]
	ds_read2_b64 v[14:17], v2 offset0:32 offset1:48
	s_waitcnt lgkmcnt(0)
	v_fma_f64 v[26:27], v[14:15], v[5:6], v[46:47]
	v_fma_f64 v[44:45], v[16:17], v[5:6], v[3:4]
	v_fma_f64 v[42:43], v[14:15], v[28:29], v[42:43]
	v_fma_f64 v[7:8], v[16:17], v[28:29], v[7:8]
	ds_read_b128 v[3:6], v52 offset:144
	ds_read2_b64 v[14:17], v2 offset0:64 offset1:80
	s_waitcnt lgkmcnt(0)
	v_fma_f64 v[46:47], v[14:15], v[3:4], v[26:27]
	ds_read_b128 v[26:29], v52 offset:4240
	v_fma_f64 v[3:4], v[16:17], v[3:4], v[44:45]
	s_waitcnt lgkmcnt(0)
	v_fma_f64 v[42:43], v[14:15], v[26:27], v[42:43]
	v_fma_f64 v[7:8], v[16:17], v[26:27], v[7:8]
	ds_read2_b64 v[14:17], v2 offset0:96 offset1:112
	s_waitcnt lgkmcnt(0)
	v_fma_f64 v[26:27], v[14:15], v[5:6], v[46:47]
	v_fma_f64 v[44:45], v[16:17], v[5:6], v[3:4]
	v_fma_f64 v[42:43], v[14:15], v[28:29], v[42:43]
	v_fma_f64 v[7:8], v[16:17], v[28:29], v[7:8]
	ds_read_b128 v[3:6], v52 offset:160
	ds_read2_b64 v[14:17], v2 offset0:128 offset1:144
	;; [unrolled: 15-line block ×3, first 2 shown]
	s_waitcnt lgkmcnt(0)
	v_fma_f64 v[46:47], v[14:15], v[3:4], v[26:27]
	ds_read_b128 v[26:29], v52 offset:4272
	v_fma_f64 v[3:4], v[16:17], v[3:4], v[44:45]
	s_waitcnt lgkmcnt(0)
	v_fma_f64 v[42:43], v[14:15], v[26:27], v[42:43]
	v_fma_f64 v[7:8], v[16:17], v[26:27], v[7:8]
	ds_read2_b64 v[14:17], v2 offset0:224 offset1:240
	v_add_u32_e32 v2, 0x1800, v50
	s_waitcnt lgkmcnt(0)
	v_fma_f64 v[26:27], v[14:15], v[5:6], v[46:47]
	v_fma_f64 v[44:45], v[16:17], v[5:6], v[3:4]
	;; [unrolled: 1-line block ×4, first 2 shown]
	ds_read_b128 v[3:6], v52 offset:192
	ds_read2_b64 v[14:17], v2 offset1:16
	s_waitcnt lgkmcnt(0)
	v_fma_f64 v[46:47], v[14:15], v[3:4], v[26:27]
	ds_read_b128 v[26:29], v52 offset:4288
	v_fma_f64 v[3:4], v[16:17], v[3:4], v[44:45]
	s_waitcnt lgkmcnt(0)
	v_fma_f64 v[42:43], v[14:15], v[26:27], v[42:43]
	v_fma_f64 v[7:8], v[16:17], v[26:27], v[7:8]
	ds_read2_b64 v[14:17], v2 offset0:32 offset1:48
	s_waitcnt lgkmcnt(0)
	v_fma_f64 v[26:27], v[14:15], v[5:6], v[46:47]
	v_fma_f64 v[44:45], v[16:17], v[5:6], v[3:4]
	v_fma_f64 v[42:43], v[14:15], v[28:29], v[42:43]
	v_fma_f64 v[7:8], v[16:17], v[28:29], v[7:8]
	ds_read_b128 v[3:6], v52 offset:208
	ds_read2_b64 v[14:17], v2 offset0:64 offset1:80
	s_waitcnt lgkmcnt(0)
	v_fma_f64 v[46:47], v[14:15], v[3:4], v[26:27]
	ds_read_b128 v[26:29], v52 offset:4304
	v_fma_f64 v[3:4], v[16:17], v[3:4], v[44:45]
	s_waitcnt lgkmcnt(0)
	v_fma_f64 v[42:43], v[14:15], v[26:27], v[42:43]
	v_fma_f64 v[7:8], v[16:17], v[26:27], v[7:8]
	ds_read2_b64 v[14:17], v2 offset0:96 offset1:112
	s_waitcnt lgkmcnt(0)
	v_fma_f64 v[26:27], v[14:15], v[5:6], v[46:47]
	v_fma_f64 v[44:45], v[16:17], v[5:6], v[3:4]
	v_fma_f64 v[42:43], v[14:15], v[28:29], v[42:43]
	v_fma_f64 v[7:8], v[16:17], v[28:29], v[7:8]
	ds_read_b128 v[3:6], v52 offset:224
	ds_read2_b64 v[14:17], v2 offset0:128 offset1:144
	;; [unrolled: 15-line block ×3, first 2 shown]
	s_waitcnt lgkmcnt(0)
	v_fma_f64 v[46:47], v[14:15], v[3:4], v[26:27]
	ds_read_b128 v[26:29], v52 offset:4336
	v_fma_f64 v[3:4], v[16:17], v[3:4], v[44:45]
	s_waitcnt lgkmcnt(0)
	v_fma_f64 v[42:43], v[14:15], v[26:27], v[42:43]
	v_fma_f64 v[7:8], v[16:17], v[26:27], v[7:8]
	ds_read2_b64 v[14:17], v2 offset0:224 offset1:240
	v_mov_b32_e32 v2, s47
	v_addc_co_u32_e32 v41, vcc, v41, v2, vcc
	v_add_co_u32_e32 v34, vcc, s29, v34
	s_waitcnt lgkmcnt(0)
	v_fma_f64 v[48:49], v[14:15], v[5:6], v[46:47]
	v_fma_f64 v[46:47], v[16:17], v[5:6], v[3:4]
	;; [unrolled: 1-line block ×4, first 2 shown]
	v_addc_co_u32_e32 v35, vcc, 0, v35, vcc
	v_add_co_u32_e32 v38, vcc, s46, v38
	v_addc_co_u32_e32 v39, vcc, v39, v2, vcc
	v_add_co_u32_e32 v36, vcc, 0x100, v36
	v_addc_co_u32_e32 v37, vcc, 0, v37, vcc
	s_barrier
	s_cbranch_scc1 .LBB36_43
.LBB36_7:                               ;   Parent Loop BB36_4 Depth=1
                                        ; =>  This Inner Loop Header: Depth=2
	v_mov_b32_e32 v3, s27
	v_add_co_u32_e32 v2, vcc, s26, v1
	v_addc_co_u32_e32 v3, vcc, 0, v3, vcc
	s_waitcnt vmcnt(3)
	v_add_co_u32_e32 v4, vcc, v38, v30
	s_waitcnt vmcnt(2)
	v_addc_co_u32_e32 v5, vcc, v39, v31, vcc
	v_cmp_le_i64_e64 s[14:15], s[42:43], v[2:3]
	v_cmp_eq_u64_e32 vcc, s[26:27], v[18:19]
	v_cmp_gt_i64_e64 s[12:13], v[2:3], v[12:13]
	s_and_b64 vcc, s[40:41], vcc
	s_or_b64 s[16:17], s[14:15], s[12:13]
	s_or_b64 s[16:17], s[16:17], vcc
	s_nor_b64 s[16:17], s[0:1], s[16:17]
                                        ; implicit-def: $vgpr6_vgpr7
	s_and_saveexec_b64 s[20:21], s[16:17]
	s_xor_b64 s[16:17], exec, s[20:21]
	s_cbranch_execz .LBB36_9
; %bb.8:                                ;   in Loop: Header=BB36_7 Depth=2
	global_load_dwordx2 v[6:7], v[4:5], off
.LBB36_9:                               ;   in Loop: Header=BB36_7 Depth=2
	s_andn2_saveexec_b64 s[16:17], s[16:17]
	s_cbranch_execz .LBB36_11
; %bb.10:                               ;   in Loop: Header=BB36_7 Depth=2
	v_cndmask_b32_e32 v11, 0, v54, vcc
	s_waitcnt vmcnt(0)
	v_mov_b32_e32 v6, v10
	v_mov_b32_e32 v7, v11
.LBB36_11:                              ;   in Loop: Header=BB36_7 Depth=2
	s_or_b64 exec, exec, s[16:17]
	v_cmp_eq_u64_e64 s[16:17], s[26:27], v[22:23]
	v_cmp_lt_i64_e64 s[20:21], v[20:21], v[2:3]
	s_and_b64 s[16:17], s[40:41], s[16:17]
	s_or_b64 s[14:15], s[14:15], s[20:21]
	s_or_b64 s[14:15], s[14:15], s[16:17]
	s_nor_b64 s[14:15], s[2:3], s[14:15]
	s_waitcnt vmcnt(0)
	ds_write_b64 v51, v[6:7]
	s_and_saveexec_b64 s[20:21], s[14:15]
	s_xor_b64 s[14:15], exec, s[20:21]
	s_cbranch_execz .LBB36_13
; %bb.12:                               ;   in Loop: Header=BB36_7 Depth=2
	global_load_dwordx2 v[4:5], v[4:5], off offset:128
	s_waitcnt vmcnt(0)
	ds_write_b64 v51, v[4:5] offset:128
.LBB36_13:                              ;   in Loop: Header=BB36_7 Depth=2
	s_andn2_saveexec_b64 s[14:15], s[14:15]
	s_cbranch_execz .LBB36_19
; %bb.14:                               ;   in Loop: Header=BB36_7 Depth=2
	s_xor_b64 s[16:17], s[16:17], -1
	s_and_saveexec_b64 s[20:21], s[16:17]
	s_xor_b64 s[16:17], exec, s[20:21]
; %bb.15:                               ;   in Loop: Header=BB36_7 Depth=2
	v_mov_b32_e32 v11, v10
	ds_write_b64 v51, v[10:11] offset:128
; %bb.16:                               ;   in Loop: Header=BB36_7 Depth=2
	s_andn2_saveexec_b64 s[16:17], s[16:17]
; %bb.17:                               ;   in Loop: Header=BB36_7 Depth=2
	v_mov_b32_e32 v11, v54
	ds_write_b64 v51, v[10:11] offset:128
; %bb.18:                               ;   in Loop: Header=BB36_7 Depth=2
	s_or_b64 exec, exec, s[16:17]
.LBB36_19:                              ;   in Loop: Header=BB36_7 Depth=2
	s_or_b64 exec, exec, s[14:15]
	v_add_co_u32_e64 v4, s[14:15], 16, v2
	v_add_co_u32_e64 v2, s[16:17], v40, v30
	v_addc_co_u32_e64 v5, s[14:15], 0, v3, s[14:15]
	v_addc_co_u32_e64 v3, s[16:17], v41, v31, s[16:17]
	v_cmp_le_i64_e64 s[14:15], s[42:43], v[4:5]
	v_cmp_eq_u64_e64 s[16:17], s[26:27], v[24:25]
	v_cmp_gt_i64_e64 s[20:21], v[4:5], v[12:13]
	s_and_b64 s[16:17], s[40:41], s[16:17]
	s_or_b64 s[20:21], s[14:15], s[20:21]
	s_or_b64 s[20:21], s[20:21], s[16:17]
	s_nor_b64 s[20:21], s[0:1], s[20:21]
                                        ; implicit-def: $vgpr4_vgpr5
	s_and_saveexec_b64 s[38:39], s[20:21]
	s_xor_b64 s[20:21], exec, s[38:39]
	s_cbranch_execz .LBB36_21
; %bb.20:                               ;   in Loop: Header=BB36_7 Depth=2
	global_load_dwordx2 v[4:5], v[2:3], off
.LBB36_21:                              ;   in Loop: Header=BB36_7 Depth=2
	s_andn2_saveexec_b64 s[20:21], s[20:21]
	s_cbranch_execz .LBB36_23
; %bb.22:                               ;   in Loop: Header=BB36_7 Depth=2
	v_cndmask_b32_e64 v11, 0, v54, s[16:17]
	s_waitcnt vmcnt(0)
	v_mov_b32_e32 v4, v10
	v_mov_b32_e32 v5, v11
.LBB36_23:                              ;   in Loop: Header=BB36_7 Depth=2
	s_or_b64 exec, exec, s[20:21]
	s_or_b64 s[12:13], s[14:15], s[12:13]
	s_or_b64 s[12:13], s[12:13], vcc
	s_nor_b64 s[12:13], s[2:3], s[12:13]
	s_waitcnt vmcnt(0)
	ds_write_b64 v51, v[4:5] offset:4096
	s_and_saveexec_b64 s[14:15], s[12:13]
	s_xor_b64 s[12:13], exec, s[14:15]
	s_cbranch_execz .LBB36_25
; %bb.24:                               ;   in Loop: Header=BB36_7 Depth=2
	global_load_dwordx2 v[2:3], v[2:3], off offset:128
	s_waitcnt vmcnt(0)
	ds_write_b64 v51, v[2:3] offset:4224
.LBB36_25:                              ;   in Loop: Header=BB36_7 Depth=2
	s_andn2_saveexec_b64 s[12:13], s[12:13]
	s_cbranch_execz .LBB36_31
; %bb.26:                               ;   in Loop: Header=BB36_7 Depth=2
	s_xor_b64 s[14:15], vcc, -1
	s_and_saveexec_b64 s[16:17], s[14:15]
	s_xor_b64 s[14:15], exec, s[16:17]
; %bb.27:                               ;   in Loop: Header=BB36_7 Depth=2
	v_mov_b32_e32 v11, v10
	ds_write_b64 v51, v[10:11] offset:4224
; %bb.28:                               ;   in Loop: Header=BB36_7 Depth=2
	s_andn2_saveexec_b64 s[14:15], s[14:15]
; %bb.29:                               ;   in Loop: Header=BB36_7 Depth=2
	v_mov_b32_e32 v11, v54
	ds_write_b64 v51, v[10:11] offset:4224
; %bb.30:                               ;   in Loop: Header=BB36_7 Depth=2
	s_or_b64 exec, exec, s[14:15]
.LBB36_31:                              ;   in Loop: Header=BB36_7 Depth=2
	s_or_b64 exec, exec, s[12:13]
	v_mov_b32_e32 v3, s27
	v_add_co_u32_e32 v2, vcc, s26, v0
	v_addc_co_u32_e32 v3, vcc, 0, v3, vcc
	v_cmp_gt_i64_e32 vcc, s[42:43], v[2:3]
	v_mov_b32_e32 v4, 0
	v_mov_b32_e32 v5, 0
	s_and_b64 s[14:15], s[8:9], vcc
	s_and_saveexec_b64 s[12:13], s[14:15]
	s_cbranch_execz .LBB36_33
; %bb.32:                               ;   in Loop: Header=BB36_7 Depth=2
	global_load_dwordx2 v[4:5], v[34:35], off offset:-128
.LBB36_33:                              ;   in Loop: Header=BB36_7 Depth=2
	s_or_b64 exec, exec, s[12:13]
	v_cmp_gt_i64_e64 s[12:13], s[48:49], v[2:3]
	s_waitcnt vmcnt(0)
	ds_write_b64 v53, v[4:5]
	s_and_b64 s[14:15], s[8:9], s[12:13]
	s_xor_b64 s[14:15], s[14:15], -1
	s_and_saveexec_b64 s[16:17], s[14:15]
	s_xor_b64 s[14:15], exec, s[16:17]
; %bb.34:                               ;   in Loop: Header=BB36_7 Depth=2
	v_mov_b32_e32 v11, v10
	ds_write_b64 v53, v[10:11] offset:128
; %bb.35:                               ;   in Loop: Header=BB36_7 Depth=2
	s_andn2_saveexec_b64 s[14:15], s[14:15]
	s_cbranch_execz .LBB36_37
; %bb.36:                               ;   in Loop: Header=BB36_7 Depth=2
	global_load_dwordx2 v[2:3], v[34:35], off
	s_waitcnt vmcnt(0)
	ds_write_b64 v53, v[2:3] offset:128
.LBB36_37:                              ;   in Loop: Header=BB36_7 Depth=2
	s_or_b64 exec, exec, s[14:15]
	v_mov_b32_e32 v2, 0
	v_mov_b32_e32 v3, 0
	s_and_b64 s[16:17], s[10:11], vcc
	s_and_saveexec_b64 s[14:15], s[16:17]
	s_cbranch_execz .LBB36_39
; %bb.38:                               ;   in Loop: Header=BB36_7 Depth=2
	global_load_dwordx2 v[2:3], v[36:37], off offset:-128
.LBB36_39:                              ;   in Loop: Header=BB36_7 Depth=2
	s_or_b64 exec, exec, s[14:15]
	s_and_b64 s[12:13], s[10:11], s[12:13]
	s_xor_b64 s[12:13], s[12:13], -1
	s_waitcnt vmcnt(0)
	ds_write_b64 v53, v[2:3] offset:4096
	s_and_saveexec_b64 s[14:15], s[12:13]
	s_xor_b64 s[12:13], exec, s[14:15]
; %bb.40:                               ;   in Loop: Header=BB36_7 Depth=2
	v_mov_b32_e32 v11, v10
	ds_write_b64 v53, v[10:11] offset:4224
; %bb.41:                               ;   in Loop: Header=BB36_7 Depth=2
	s_andn2_saveexec_b64 s[12:13], s[12:13]
	s_cbranch_execz .LBB36_6
; %bb.42:                               ;   in Loop: Header=BB36_7 Depth=2
	global_load_dwordx2 v[2:3], v[36:37], off
	s_waitcnt vmcnt(0)
	ds_write_b64 v53, v[2:3] offset:4224
	s_branch .LBB36_6
.LBB36_43:                              ;   in Loop: Header=BB36_4 Depth=1
	v_mul_lo_u32 v4, s45, v55
	v_mul_lo_u32 v5, s44, v56
	v_mad_u64_u32 v[2:3], s[8:9], s44, v55, 0
	v_cmp_gt_i32_e32 vcc, s30, v55
	v_add3_u32 v3, v3, v5, v4
	v_lshlrev_b64 v[2:3], 3, v[2:3]
	v_mov_b32_e32 v4, s51
	v_add_co_u32_e64 v2, s[8:9], s50, v2
	v_addc_co_u32_e64 v3, s[8:9], v4, v3, s[8:9]
	s_and_b64 s[8:9], s[4:5], vcc
	s_and_saveexec_b64 s[10:11], s[8:9]
	s_cbranch_execz .LBB36_45
; %bb.44:                               ;   in Loop: Header=BB36_4 Depth=1
	v_add_co_u32_e64 v4, s[8:9], v2, v30
	v_addc_co_u32_e64 v5, s[8:9], v3, v31, s[8:9]
	global_load_dwordx2 v[6:7], v[4:5], off
	s_waitcnt vmcnt(0)
	v_fma_f64 v[6:7], s[34:35], v[48:49], v[6:7]
	global_store_dwordx2 v[4:5], v[6:7], off
.LBB36_45:                              ;   in Loop: Header=BB36_4 Depth=1
	s_or_b64 exec, exec, s[10:11]
	s_and_b64 s[10:11], s[18:19], vcc
	s_and_saveexec_b64 s[8:9], s[10:11]
	s_cbranch_execz .LBB36_47
; %bb.46:                               ;   in Loop: Header=BB36_4 Depth=1
	buffer_load_dword v4, off, s[56:59], 0  ; 4-byte Folded Reload
	buffer_load_dword v5, off, s[56:59], 0 offset:4 ; 4-byte Folded Reload
	s_waitcnt vmcnt(1)
	v_add_co_u32_e32 v2, vcc, v2, v4
	s_waitcnt vmcnt(0)
	v_addc_co_u32_e32 v3, vcc, v3, v5, vcc
	global_load_dwordx2 v[4:5], v[2:3], off
	s_waitcnt vmcnt(0)
	v_fma_f64 v[4:5], s[34:35], v[46:47], v[4:5]
	global_store_dwordx2 v[2:3], v[4:5], off
.LBB36_47:                              ;   in Loop: Header=BB36_4 Depth=1
	s_or_b64 exec, exec, s[8:9]
	v_add_u32_e32 v4, 16, v55
	v_ashrrev_i32_e32 v2, 31, v4
	v_mul_lo_u32 v5, s44, v2
	v_mul_lo_u32 v6, s45, v4
	v_mad_u64_u32 v[2:3], s[8:9], s44, v4, 0
	v_cmp_gt_i32_e32 vcc, s30, v4
	v_mov_b32_e32 v4, s51
	v_add3_u32 v3, v3, v5, v6
	v_lshlrev_b64 v[2:3], 3, v[2:3]
	v_add_co_u32_e64 v2, s[8:9], s50, v2
	v_addc_co_u32_e64 v3, s[8:9], v4, v3, s[8:9]
	s_and_b64 s[8:9], s[4:5], vcc
	s_and_saveexec_b64 s[10:11], s[8:9]
	s_cbranch_execz .LBB36_49
; %bb.48:                               ;   in Loop: Header=BB36_4 Depth=1
	v_add_co_u32_e64 v4, s[8:9], v2, v30
	v_addc_co_u32_e64 v5, s[8:9], v3, v31, s[8:9]
	global_load_dwordx2 v[6:7], v[4:5], off
	s_waitcnt vmcnt(0)
	v_fma_f64 v[6:7], s[34:35], v[44:45], v[6:7]
	global_store_dwordx2 v[4:5], v[6:7], off
.LBB36_49:                              ;   in Loop: Header=BB36_4 Depth=1
	s_or_b64 exec, exec, s[10:11]
	s_and_b64 s[10:11], s[18:19], vcc
	s_and_saveexec_b64 s[8:9], s[10:11]
	s_cbranch_execz .LBB36_3
; %bb.50:                               ;   in Loop: Header=BB36_4 Depth=1
	buffer_load_dword v4, off, s[56:59], 0  ; 4-byte Folded Reload
	buffer_load_dword v5, off, s[56:59], 0 offset:4 ; 4-byte Folded Reload
	s_waitcnt vmcnt(1)
	v_add_co_u32_e32 v2, vcc, v2, v4
	s_waitcnt vmcnt(0)
	v_addc_co_u32_e32 v3, vcc, v3, v5, vcc
	global_load_dwordx2 v[4:5], v[2:3], off
	s_waitcnt vmcnt(0)
	v_fma_f64 v[4:5], s[34:35], v[42:43], v[4:5]
	global_store_dwordx2 v[2:3], v[4:5], off
	s_branch .LBB36_3
.LBB36_51:
	s_endpgm
	.section	.rodata,"a",@progbits
	.p2align	6, 0x0
	.amdhsa_kernel _ZL30rocblas_trmm_outofplace_kernelIdLi32ELi2ELb1ELb0ELb0ELb0EPKdS0_dEv17rocblas_diagonal_iiT6_lPT7_lllS5_lllPT8_llli
		.amdhsa_group_segment_fixed_size 16384
		.amdhsa_private_segment_fixed_size 36
		.amdhsa_kernarg_size 392
		.amdhsa_user_sgpr_count 6
		.amdhsa_user_sgpr_private_segment_buffer 1
		.amdhsa_user_sgpr_dispatch_ptr 0
		.amdhsa_user_sgpr_queue_ptr 0
		.amdhsa_user_sgpr_kernarg_segment_ptr 1
		.amdhsa_user_sgpr_dispatch_id 0
		.amdhsa_user_sgpr_flat_scratch_init 0
		.amdhsa_user_sgpr_private_segment_size 0
		.amdhsa_uses_dynamic_stack 0
		.amdhsa_system_sgpr_private_segment_wavefront_offset 1
		.amdhsa_system_sgpr_workgroup_id_x 1
		.amdhsa_system_sgpr_workgroup_id_y 1
		.amdhsa_system_sgpr_workgroup_id_z 1
		.amdhsa_system_sgpr_workgroup_info 0
		.amdhsa_system_vgpr_workitem_id 1
		.amdhsa_next_free_vgpr 63
		.amdhsa_next_free_sgpr 61
		.amdhsa_reserve_vcc 1
		.amdhsa_reserve_flat_scratch 0
		.amdhsa_float_round_mode_32 0
		.amdhsa_float_round_mode_16_64 0
		.amdhsa_float_denorm_mode_32 3
		.amdhsa_float_denorm_mode_16_64 3
		.amdhsa_dx10_clamp 1
		.amdhsa_ieee_mode 1
		.amdhsa_fp16_overflow 0
		.amdhsa_exception_fp_ieee_invalid_op 0
		.amdhsa_exception_fp_denorm_src 0
		.amdhsa_exception_fp_ieee_div_zero 0
		.amdhsa_exception_fp_ieee_overflow 0
		.amdhsa_exception_fp_ieee_underflow 0
		.amdhsa_exception_fp_ieee_inexact 0
		.amdhsa_exception_int_div_zero 0
	.end_amdhsa_kernel
	.section	.text._ZL30rocblas_trmm_outofplace_kernelIdLi32ELi2ELb1ELb0ELb0ELb0EPKdS0_dEv17rocblas_diagonal_iiT6_lPT7_lllS5_lllPT8_llli,"axG",@progbits,_ZL30rocblas_trmm_outofplace_kernelIdLi32ELi2ELb1ELb0ELb0ELb0EPKdS0_dEv17rocblas_diagonal_iiT6_lPT7_lllS5_lllPT8_llli,comdat
.Lfunc_end36:
	.size	_ZL30rocblas_trmm_outofplace_kernelIdLi32ELi2ELb1ELb0ELb0ELb0EPKdS0_dEv17rocblas_diagonal_iiT6_lPT7_lllS5_lllPT8_llli, .Lfunc_end36-_ZL30rocblas_trmm_outofplace_kernelIdLi32ELi2ELb1ELb0ELb0ELb0EPKdS0_dEv17rocblas_diagonal_iiT6_lPT7_lllS5_lllPT8_llli
                                        ; -- End function
	.set _ZL30rocblas_trmm_outofplace_kernelIdLi32ELi2ELb1ELb0ELb0ELb0EPKdS0_dEv17rocblas_diagonal_iiT6_lPT7_lllS5_lllPT8_llli.num_vgpr, 63
	.set _ZL30rocblas_trmm_outofplace_kernelIdLi32ELi2ELb1ELb0ELb0ELb0EPKdS0_dEv17rocblas_diagonal_iiT6_lPT7_lllS5_lllPT8_llli.num_agpr, 0
	.set _ZL30rocblas_trmm_outofplace_kernelIdLi32ELi2ELb1ELb0ELb0ELb0EPKdS0_dEv17rocblas_diagonal_iiT6_lPT7_lllS5_lllPT8_llli.numbered_sgpr, 60
	.set _ZL30rocblas_trmm_outofplace_kernelIdLi32ELi2ELb1ELb0ELb0ELb0EPKdS0_dEv17rocblas_diagonal_iiT6_lPT7_lllS5_lllPT8_llli.num_named_barrier, 0
	.set _ZL30rocblas_trmm_outofplace_kernelIdLi32ELi2ELb1ELb0ELb0ELb0EPKdS0_dEv17rocblas_diagonal_iiT6_lPT7_lllS5_lllPT8_llli.private_seg_size, 36
	.set _ZL30rocblas_trmm_outofplace_kernelIdLi32ELi2ELb1ELb0ELb0ELb0EPKdS0_dEv17rocblas_diagonal_iiT6_lPT7_lllS5_lllPT8_llli.uses_vcc, 1
	.set _ZL30rocblas_trmm_outofplace_kernelIdLi32ELi2ELb1ELb0ELb0ELb0EPKdS0_dEv17rocblas_diagonal_iiT6_lPT7_lllS5_lllPT8_llli.uses_flat_scratch, 0
	.set _ZL30rocblas_trmm_outofplace_kernelIdLi32ELi2ELb1ELb0ELb0ELb0EPKdS0_dEv17rocblas_diagonal_iiT6_lPT7_lllS5_lllPT8_llli.has_dyn_sized_stack, 0
	.set _ZL30rocblas_trmm_outofplace_kernelIdLi32ELi2ELb1ELb0ELb0ELb0EPKdS0_dEv17rocblas_diagonal_iiT6_lPT7_lllS5_lllPT8_llli.has_recursion, 0
	.set _ZL30rocblas_trmm_outofplace_kernelIdLi32ELi2ELb1ELb0ELb0ELb0EPKdS0_dEv17rocblas_diagonal_iiT6_lPT7_lllS5_lllPT8_llli.has_indirect_call, 0
	.section	.AMDGPU.csdata,"",@progbits
; Kernel info:
; codeLenInByte = 3912
; TotalNumSgprs: 64
; NumVgprs: 63
; ScratchSize: 36
; MemoryBound: 0
; FloatMode: 240
; IeeeMode: 1
; LDSByteSize: 16384 bytes/workgroup (compile time only)
; SGPRBlocks: 8
; VGPRBlocks: 15
; NumSGPRsForWavesPerEU: 65
; NumVGPRsForWavesPerEU: 63
; Occupancy: 4
; WaveLimiterHint : 0
; COMPUTE_PGM_RSRC2:SCRATCH_EN: 1
; COMPUTE_PGM_RSRC2:USER_SGPR: 6
; COMPUTE_PGM_RSRC2:TRAP_HANDLER: 0
; COMPUTE_PGM_RSRC2:TGID_X_EN: 1
; COMPUTE_PGM_RSRC2:TGID_Y_EN: 1
; COMPUTE_PGM_RSRC2:TGID_Z_EN: 1
; COMPUTE_PGM_RSRC2:TIDIG_COMP_CNT: 1
	.section	.text._ZL30rocblas_trmm_outofplace_kernelIdLi32ELi2ELb1ELb0ELb0ELb0EdKddEv17rocblas_diagonal_iiT6_lPT7_lllS4_lllPT8_llli,"axG",@progbits,_ZL30rocblas_trmm_outofplace_kernelIdLi32ELi2ELb1ELb0ELb0ELb0EdKddEv17rocblas_diagonal_iiT6_lPT7_lllS4_lllPT8_llli,comdat
	.globl	_ZL30rocblas_trmm_outofplace_kernelIdLi32ELi2ELb1ELb0ELb0ELb0EdKddEv17rocblas_diagonal_iiT6_lPT7_lllS4_lllPT8_llli ; -- Begin function _ZL30rocblas_trmm_outofplace_kernelIdLi32ELi2ELb1ELb0ELb0ELb0EdKddEv17rocblas_diagonal_iiT6_lPT7_lllS4_lllPT8_llli
	.p2align	8
	.type	_ZL30rocblas_trmm_outofplace_kernelIdLi32ELi2ELb1ELb0ELb0ELb0EdKddEv17rocblas_diagonal_iiT6_lPT7_lllS4_lllPT8_llli,@function
_ZL30rocblas_trmm_outofplace_kernelIdLi32ELi2ELb1ELb0ELb0ELb0EdKddEv17rocblas_diagonal_iiT6_lPT7_lllS4_lllPT8_llli: ; @_ZL30rocblas_trmm_outofplace_kernelIdLi32ELi2ELb1ELb0ELb0ELb0EdKddEv17rocblas_diagonal_iiT6_lPT7_lllS4_lllPT8_llli
; %bb.0:
	s_load_dwordx2 s[34:35], s[4:5], 0x10
	s_mov_b64 s[58:59], s[2:3]
	s_mov_b64 s[56:57], s[0:1]
	s_add_u32 s56, s56, s9
	s_addc_u32 s57, s57, 0
	s_waitcnt lgkmcnt(0)
	v_cmp_eq_f64_e64 s[0:1], s[34:35], 0
	s_and_b64 vcc, exec, s[0:1]
	s_cbranch_vccnz .LBB37_51
; %bb.1:
	s_load_dwordx4 s[28:31], s[4:5], 0x0
	s_waitcnt lgkmcnt(0)
	s_add_i32 s0, s30, -1
	s_ashr_i32 s1, s0, 31
	s_lshr_b32 s1, s1, 27
	s_add_i32 s0, s0, s1
	s_ashr_i32 s31, s0, 5
	s_cmp_gt_i32 s7, s31
	s_cbranch_scc1 .LBB37_51
; %bb.2:
	s_load_dwordx16 s[12:27], s[4:5], 0x20
	s_load_dwordx8 s[36:43], s[4:5], 0x60
	v_lshlrev_b32_e32 v50, 3, v0
	v_mov_b32_e32 v10, 0
	v_mov_b32_e32 v54, 0x3ff00000
	s_waitcnt lgkmcnt(0)
	s_mul_i32 s1, s19, s8
	s_mul_hi_u32 s2, s18, s8
	s_mul_i32 s0, s18, s8
	s_add_i32 s1, s2, s1
	s_lshl_b64 s[10:11], s[0:1], 3
	s_add_u32 s0, s12, s10
	s_addc_u32 s1, s13, s11
	s_lshl_b64 s[14:15], s[14:15], 3
	s_add_u32 s9, s0, s14
	s_addc_u32 s18, s1, s15
	s_mul_i32 s0, s43, s8
	s_mul_hi_u32 s1, s42, s8
	s_add_i32 s1, s1, s0
	s_mul_i32 s0, s42, s8
	s_lshl_b64 s[0:1], s[0:1], 3
	v_mad_u64_u32 v[2:3], s[2:3], s16, v1, 0
	s_add_u32 s19, s36, s0
	s_addc_u32 s36, s37, s1
	s_lshl_b64 s[0:1], s[38:39], 3
	s_add_u32 s33, s19, s0
	s_addc_u32 s48, s36, s1
	v_mad_u64_u32 v[3:4], s[0:1], s17, v1, v[3:4]
	s_lshl_b32 s49, s6, 5
	s_cmp_gt_i32 s6, -1
	s_cselect_b64 s[36:37], -1, 0
	s_cmpk_eq_i32 s28, 0x84
	s_cselect_b64 s[38:39], -1, 0
	s_ashr_i32 s43, s29, 31
	s_ashr_i32 s6, s30, 31
	s_lshl_b64 s[44:45], s[16:17], 8
	v_lshlrev_b64 v[2:3], 3, v[2:3]
	s_add_u32 s46, s29, -16
	s_addc_u32 s47, s43, -1
	v_add_co_u32_e32 v2, vcc, s9, v2
	s_add_u32 s9, s12, s14
	v_mov_b32_e32 v4, s18
	s_addc_u32 s12, s13, s15
	v_addc_co_u32_e32 v3, vcc, v4, v3, vcc
	v_mov_b32_e32 v4, 0x80
	s_add_u32 s10, s9, s10
	v_lshl_add_u32 v6, v1, 3, v4
	s_addc_u32 s11, s12, s11
	v_mov_b32_e32 v4, s10
	v_mov_b32_e32 v5, s11
	v_mad_u64_u32 v[7:8], s[10:11], s16, v6, v[4:5]
	v_add_u32_e32 v12, s49, v0
	v_ashrrev_i32_e32 v13, 31, v12
	v_mov_b32_e32 v4, v8
	v_add_co_u32_e32 v20, vcc, 16, v12
	v_mad_u64_u32 v[4:5], s[10:11], s17, v6, v[4:5]
	v_addc_co_u32_e32 v21, vcc, 0, v13, vcc
	s_mul_i32 s9, s27, s8
	s_mul_hi_u32 s10, s26, s8
	v_sub_co_u32_e32 v18, vcc, v12, v1
	s_add_i32 s9, s10, s9
	s_mul_i32 s8, s26, s8
	v_subbrev_co_u32_e32 v19, vcc, 0, v13, vcc
	s_lshl_b64 s[8:9], s[8:9], 3
	s_lshl_b64 s[10:11], s[22:23], 3
	v_add_co_u32_e32 v22, vcc, 16, v18
	s_add_u32 s8, s8, s10
	buffer_store_dword v2, off, s[56:59], 0 offset:8 ; 4-byte Folded Spill
	s_nop 0
	buffer_store_dword v3, off, s[56:59], 0 offset:12 ; 4-byte Folded Spill
	v_addc_co_u32_e32 v23, vcc, 0, v19, vcc
	s_addc_u32 s9, s9, s11
	s_load_dword s28, s[4:5], 0x8c
	v_add_co_u32_e32 v24, vcc, -16, v18
	s_add_u32 s8, s20, s8
	v_lshlrev_b32_e32 v2, 8, v1
	v_addc_co_u32_e32 v25, vcc, -1, v19, vcc
	s_addc_u32 s9, s21, s9
	v_add_u32_e32 v51, v50, v2
	v_add_u32_e32 v52, 0x2000, v2
	;; [unrolled: 1-line block ×3, first 2 shown]
	v_mov_b32_e32 v8, v4
	v_mov_b32_e32 v4, s9
	v_add_co_u32_e32 v5, vcc, s8, v50
	s_mov_b32 s42, s29
	v_ashrrev_i32_e32 v3, 31, v2
	v_addc_co_u32_e32 v4, vcc, 0, v4, vcc
	s_movk_i32 s8, 0x80
	v_cmp_le_i64_e64 s[2:3], s[42:43], v[20:21]
	v_cmp_gt_i32_e64 s[18:19], s29, v2
	v_add_co_u32_e32 v5, vcc, s8, v5
	v_lshlrev_b64 v[2:3], 3, v[2:3]
	v_lshlrev_b64 v[30:31], 3, v[12:13]
	v_add_u32_e32 v53, v52, v50
	v_cmp_le_i32_e64 s[0:1], s29, v12
	v_cmp_gt_i32_e64 s[4:5], s29, v12
	v_addc_co_u32_e32 v6, vcc, 0, v4, vcc
	s_lshl_b64 s[22:23], s[24:25], 3
	s_waitcnt lgkmcnt(0)
	s_lshl_b32 s29, s28, 5
	s_movk_i32 s50, 0x100
	v_lshl_add_u32 v32, s7, 5, v1
	buffer_store_dword v7, off, s[56:59], 0 offset:16 ; 4-byte Folded Spill
	s_nop 0
	buffer_store_dword v8, off, s[56:59], 0 offset:20 ; 4-byte Folded Spill
	buffer_store_dword v5, off, s[56:59], 0 offset:24 ; 4-byte Folded Spill
	s_nop 0
	buffer_store_dword v6, off, s[56:59], 0 offset:28 ; 4-byte Folded Spill
	buffer_store_dword v2, off, s[56:59], 0 ; 4-byte Folded Spill
	s_nop 0
	buffer_store_dword v3, off, s[56:59], 0 offset:4 ; 4-byte Folded Spill
	s_branch .LBB37_4
.LBB37_3:                               ;   in Loop: Header=BB37_4 Depth=1
	s_or_b64 exec, exec, s[8:9]
	s_add_i32 s7, s28, s7
	s_cmp_le_i32 s7, s31
	v_add_u32_e32 v32, s29, v32
	s_cbranch_scc0 .LBB37_51
.LBB37_4:                               ; =>This Loop Header: Depth=1
                                        ;     Child Loop BB37_7 Depth 2
	v_lshl_add_u32 v55, s7, 5, v1
	v_mov_b32_e32 v48, 0
	v_mov_b32_e32 v46, 0
	;; [unrolled: 1-line block ×5, first 2 shown]
	s_andn2_b64 vcc, exec, s[36:37]
	v_mov_b32_e32 v47, 0
	v_mov_b32_e32 v45, 0
	;; [unrolled: 1-line block ×3, first 2 shown]
	v_ashrrev_i32_e32 v56, 31, v55
	s_cbranch_vccnz .LBB37_43
; %bb.5:                                ;   in Loop: Header=BB37_4 Depth=1
	buffer_load_dword v7, off, s[56:59], 0 offset:24 ; 4-byte Folded Reload
	buffer_load_dword v8, off, s[56:59], 0 offset:28 ; 4-byte Folded Reload
	;; [unrolled: 1-line block ×6, first 2 shown]
	v_ashrrev_i32_e32 v33, 31, v32
	v_lshlrev_b64 v[2:3], 3, v[32:33]
	v_mul_lo_u32 v4, s23, v32
	v_add_co_u32_e32 v2, vcc, 0x80, v2
	v_addc_co_u32_e32 v3, vcc, 0, v3, vcc
	v_mul_lo_u32 v3, s24, v3
	v_mul_lo_u32 v6, s25, v2
	v_mul_lo_u32 v5, s22, v33
	v_mov_b32_e32 v42, 0
	v_mov_b32_e32 v44, 0
	v_mov_b32_e32 v46, 0
	v_mov_b32_e32 v48, 0
	s_mov_b64 s[26:27], 0
	v_mov_b32_e32 v43, 0
	v_mov_b32_e32 v45, 0
	;; [unrolled: 1-line block ×4, first 2 shown]
	s_waitcnt vmcnt(4)
	v_mad_u64_u32 v[36:37], s[8:9], s24, v2, v[7:8]
	v_mad_u64_u32 v[34:35], s[8:9], s22, v32, v[7:8]
	v_add3_u32 v37, v6, v37, v3
	v_mov_b32_e32 v3, s6
	v_sub_co_u32_e32 v2, vcc, s30, v55
	v_subb_co_u32_e32 v3, vcc, v3, v56, vcc
	v_cmp_lt_i64_e64 s[8:9], 0, v[2:3]
	v_cmp_lt_i64_e64 s[10:11], 16, v[2:3]
	v_add3_u32 v35, v4, v35, v5
	s_branch .LBB37_7
.LBB37_6:                               ;   in Loop: Header=BB37_7 Depth=2
	s_or_b64 exec, exec, s[12:13]
	s_waitcnt lgkmcnt(0)
	s_barrier
	ds_read_b128 v[57:60], v52
	ds_read_b128 v[26:29], v52 offset:16
	ds_read_b128 v[6:9], v52 offset:32
	;; [unrolled: 1-line block ×3, first 2 shown]
	ds_read2_b64 v[14:17], v50 offset1:16
	v_add_co_u32_e32 v40, vcc, s44, v40
	s_add_u32 s26, s26, 32
	s_addc_u32 s27, s27, 0
	s_waitcnt lgkmcnt(0)
	v_fma_f64 v[61:62], v[14:15], v[57:58], v[48:49]
	v_fma_f64 v[57:58], v[16:17], v[57:58], v[46:47]
	ds_read_b128 v[46:49], v52 offset:4096
	s_sub_i32 s12, s26, 32
	s_cmp_ge_i32 s12, s49
	s_waitcnt lgkmcnt(0)
	v_fma_f64 v[44:45], v[14:15], v[46:47], v[44:45]
	v_fma_f64 v[42:43], v[16:17], v[46:47], v[42:43]
	ds_read2_b64 v[14:17], v50 offset0:32 offset1:48
	s_waitcnt lgkmcnt(0)
	v_fma_f64 v[46:47], v[14:15], v[59:60], v[61:62]
	v_fma_f64 v[57:58], v[16:17], v[59:60], v[57:58]
	;; [unrolled: 1-line block ×4, first 2 shown]
	ds_read2_b64 v[14:17], v50 offset0:64 offset1:80
	ds_read_b128 v[42:45], v52 offset:4112
	s_waitcnt lgkmcnt(1)
	v_fma_f64 v[46:47], v[14:15], v[26:27], v[46:47]
	v_fma_f64 v[26:27], v[16:17], v[26:27], v[57:58]
	s_waitcnt lgkmcnt(0)
	v_fma_f64 v[57:58], v[14:15], v[42:43], v[59:60]
	v_fma_f64 v[42:43], v[16:17], v[42:43], v[48:49]
	ds_read2_b64 v[14:17], v50 offset0:96 offset1:112
	s_waitcnt lgkmcnt(0)
	v_fma_f64 v[46:47], v[14:15], v[28:29], v[46:47]
	v_fma_f64 v[26:27], v[16:17], v[28:29], v[26:27]
	;; [unrolled: 1-line block ×4, first 2 shown]
	ds_read2_b64 v[14:17], v50 offset0:128 offset1:144
	s_waitcnt lgkmcnt(0)
	v_fma_f64 v[44:45], v[14:15], v[6:7], v[46:47]
	v_fma_f64 v[6:7], v[16:17], v[6:7], v[26:27]
	ds_read_b128 v[26:29], v52 offset:4128
	s_waitcnt lgkmcnt(0)
	v_fma_f64 v[46:47], v[14:15], v[26:27], v[48:49]
	v_fma_f64 v[26:27], v[16:17], v[26:27], v[42:43]
	ds_read2_b64 v[14:17], v50 offset0:160 offset1:176
	s_waitcnt lgkmcnt(0)
	v_fma_f64 v[42:43], v[14:15], v[8:9], v[44:45]
	v_fma_f64 v[44:45], v[16:17], v[8:9], v[6:7]
	;; [unrolled: 1-line block ×4, first 2 shown]
	ds_read2_b64 v[6:9], v50 offset0:192 offset1:208
	ds_read_b128 v[14:17], v52 offset:4144
	s_waitcnt lgkmcnt(1)
	v_fma_f64 v[28:29], v[6:7], v[2:3], v[42:43]
	v_fma_f64 v[2:3], v[8:9], v[2:3], v[44:45]
	s_waitcnt lgkmcnt(0)
	v_fma_f64 v[42:43], v[6:7], v[14:15], v[46:47]
	v_fma_f64 v[14:15], v[8:9], v[14:15], v[26:27]
	ds_read2_b64 v[6:9], v50 offset0:224 offset1:240
	s_waitcnt lgkmcnt(0)
	v_fma_f64 v[26:27], v[6:7], v[4:5], v[28:29]
	v_fma_f64 v[28:29], v[8:9], v[4:5], v[2:3]
	v_add_u32_e32 v2, 0x800, v50
	v_fma_f64 v[42:43], v[6:7], v[16:17], v[42:43]
	v_fma_f64 v[7:8], v[8:9], v[16:17], v[14:15]
	ds_read_b128 v[3:6], v52 offset:64
	ds_read2_b64 v[14:17], v2 offset1:16
	s_waitcnt lgkmcnt(0)
	v_fma_f64 v[44:45], v[14:15], v[3:4], v[26:27]
	v_fma_f64 v[3:4], v[16:17], v[3:4], v[28:29]
	ds_read_b128 v[26:29], v52 offset:4160
	s_waitcnt lgkmcnt(0)
	v_fma_f64 v[42:43], v[14:15], v[26:27], v[42:43]
	v_fma_f64 v[7:8], v[16:17], v[26:27], v[7:8]
	ds_read2_b64 v[14:17], v2 offset0:32 offset1:48
	s_waitcnt lgkmcnt(0)
	v_fma_f64 v[26:27], v[14:15], v[5:6], v[44:45]
	v_fma_f64 v[44:45], v[16:17], v[5:6], v[3:4]
	v_fma_f64 v[42:43], v[14:15], v[28:29], v[42:43]
	v_fma_f64 v[7:8], v[16:17], v[28:29], v[7:8]
	ds_read_b128 v[3:6], v52 offset:80
	ds_read2_b64 v[14:17], v2 offset0:64 offset1:80
	s_waitcnt lgkmcnt(0)
	v_fma_f64 v[46:47], v[14:15], v[3:4], v[26:27]
	ds_read_b128 v[26:29], v52 offset:4176
	v_fma_f64 v[3:4], v[16:17], v[3:4], v[44:45]
	s_waitcnt lgkmcnt(0)
	v_fma_f64 v[42:43], v[14:15], v[26:27], v[42:43]
	v_fma_f64 v[7:8], v[16:17], v[26:27], v[7:8]
	ds_read2_b64 v[14:17], v2 offset0:96 offset1:112
	s_waitcnt lgkmcnt(0)
	v_fma_f64 v[26:27], v[14:15], v[5:6], v[46:47]
	v_fma_f64 v[44:45], v[16:17], v[5:6], v[3:4]
	v_fma_f64 v[42:43], v[14:15], v[28:29], v[42:43]
	v_fma_f64 v[7:8], v[16:17], v[28:29], v[7:8]
	ds_read_b128 v[3:6], v52 offset:96
	ds_read2_b64 v[14:17], v2 offset0:128 offset1:144
	s_waitcnt lgkmcnt(0)
	v_fma_f64 v[46:47], v[14:15], v[3:4], v[26:27]
	ds_read_b128 v[26:29], v52 offset:4192
	v_fma_f64 v[3:4], v[16:17], v[3:4], v[44:45]
	;; [unrolled: 15-line block ×3, first 2 shown]
	s_waitcnt lgkmcnt(0)
	v_fma_f64 v[42:43], v[14:15], v[26:27], v[42:43]
	v_fma_f64 v[7:8], v[16:17], v[26:27], v[7:8]
	ds_read2_b64 v[14:17], v2 offset0:224 offset1:240
	v_add_u32_e32 v2, 0x1000, v50
	s_waitcnt lgkmcnt(0)
	v_fma_f64 v[26:27], v[14:15], v[5:6], v[46:47]
	v_fma_f64 v[44:45], v[16:17], v[5:6], v[3:4]
	;; [unrolled: 1-line block ×4, first 2 shown]
	ds_read_b128 v[3:6], v52 offset:128
	ds_read2_b64 v[14:17], v2 offset1:16
	s_waitcnt lgkmcnt(0)
	v_fma_f64 v[46:47], v[14:15], v[3:4], v[26:27]
	ds_read_b128 v[26:29], v52 offset:4224
	v_fma_f64 v[3:4], v[16:17], v[3:4], v[44:45]
	s_waitcnt lgkmcnt(0)
	v_fma_f64 v[42:43], v[14:15], v[26:27], v[42:43]
	v_fma_f64 v[7:8], v[16:17], v[26:27], v[7:8]
	ds_read2_b64 v[14:17], v2 offset0:32 offset1:48
	s_waitcnt lgkmcnt(0)
	v_fma_f64 v[26:27], v[14:15], v[5:6], v[46:47]
	v_fma_f64 v[44:45], v[16:17], v[5:6], v[3:4]
	v_fma_f64 v[42:43], v[14:15], v[28:29], v[42:43]
	v_fma_f64 v[7:8], v[16:17], v[28:29], v[7:8]
	ds_read_b128 v[3:6], v52 offset:144
	ds_read2_b64 v[14:17], v2 offset0:64 offset1:80
	s_waitcnt lgkmcnt(0)
	v_fma_f64 v[46:47], v[14:15], v[3:4], v[26:27]
	ds_read_b128 v[26:29], v52 offset:4240
	v_fma_f64 v[3:4], v[16:17], v[3:4], v[44:45]
	s_waitcnt lgkmcnt(0)
	v_fma_f64 v[42:43], v[14:15], v[26:27], v[42:43]
	v_fma_f64 v[7:8], v[16:17], v[26:27], v[7:8]
	ds_read2_b64 v[14:17], v2 offset0:96 offset1:112
	s_waitcnt lgkmcnt(0)
	v_fma_f64 v[26:27], v[14:15], v[5:6], v[46:47]
	v_fma_f64 v[44:45], v[16:17], v[5:6], v[3:4]
	v_fma_f64 v[42:43], v[14:15], v[28:29], v[42:43]
	v_fma_f64 v[7:8], v[16:17], v[28:29], v[7:8]
	ds_read_b128 v[3:6], v52 offset:160
	ds_read2_b64 v[14:17], v2 offset0:128 offset1:144
	;; [unrolled: 15-line block ×3, first 2 shown]
	s_waitcnt lgkmcnt(0)
	v_fma_f64 v[46:47], v[14:15], v[3:4], v[26:27]
	ds_read_b128 v[26:29], v52 offset:4272
	v_fma_f64 v[3:4], v[16:17], v[3:4], v[44:45]
	s_waitcnt lgkmcnt(0)
	v_fma_f64 v[42:43], v[14:15], v[26:27], v[42:43]
	v_fma_f64 v[7:8], v[16:17], v[26:27], v[7:8]
	ds_read2_b64 v[14:17], v2 offset0:224 offset1:240
	v_add_u32_e32 v2, 0x1800, v50
	s_waitcnt lgkmcnt(0)
	v_fma_f64 v[26:27], v[14:15], v[5:6], v[46:47]
	v_fma_f64 v[44:45], v[16:17], v[5:6], v[3:4]
	;; [unrolled: 1-line block ×4, first 2 shown]
	ds_read_b128 v[3:6], v52 offset:192
	ds_read2_b64 v[14:17], v2 offset1:16
	s_waitcnt lgkmcnt(0)
	v_fma_f64 v[46:47], v[14:15], v[3:4], v[26:27]
	ds_read_b128 v[26:29], v52 offset:4288
	v_fma_f64 v[3:4], v[16:17], v[3:4], v[44:45]
	s_waitcnt lgkmcnt(0)
	v_fma_f64 v[42:43], v[14:15], v[26:27], v[42:43]
	v_fma_f64 v[7:8], v[16:17], v[26:27], v[7:8]
	ds_read2_b64 v[14:17], v2 offset0:32 offset1:48
	s_waitcnt lgkmcnt(0)
	v_fma_f64 v[26:27], v[14:15], v[5:6], v[46:47]
	v_fma_f64 v[44:45], v[16:17], v[5:6], v[3:4]
	v_fma_f64 v[42:43], v[14:15], v[28:29], v[42:43]
	v_fma_f64 v[7:8], v[16:17], v[28:29], v[7:8]
	ds_read_b128 v[3:6], v52 offset:208
	ds_read2_b64 v[14:17], v2 offset0:64 offset1:80
	s_waitcnt lgkmcnt(0)
	v_fma_f64 v[46:47], v[14:15], v[3:4], v[26:27]
	ds_read_b128 v[26:29], v52 offset:4304
	v_fma_f64 v[3:4], v[16:17], v[3:4], v[44:45]
	s_waitcnt lgkmcnt(0)
	v_fma_f64 v[42:43], v[14:15], v[26:27], v[42:43]
	v_fma_f64 v[7:8], v[16:17], v[26:27], v[7:8]
	ds_read2_b64 v[14:17], v2 offset0:96 offset1:112
	s_waitcnt lgkmcnt(0)
	v_fma_f64 v[26:27], v[14:15], v[5:6], v[46:47]
	v_fma_f64 v[44:45], v[16:17], v[5:6], v[3:4]
	v_fma_f64 v[42:43], v[14:15], v[28:29], v[42:43]
	v_fma_f64 v[7:8], v[16:17], v[28:29], v[7:8]
	ds_read_b128 v[3:6], v52 offset:224
	ds_read2_b64 v[14:17], v2 offset0:128 offset1:144
	;; [unrolled: 15-line block ×3, first 2 shown]
	s_waitcnt lgkmcnt(0)
	v_fma_f64 v[46:47], v[14:15], v[3:4], v[26:27]
	ds_read_b128 v[26:29], v52 offset:4336
	v_fma_f64 v[3:4], v[16:17], v[3:4], v[44:45]
	s_waitcnt lgkmcnt(0)
	v_fma_f64 v[42:43], v[14:15], v[26:27], v[42:43]
	v_fma_f64 v[7:8], v[16:17], v[26:27], v[7:8]
	ds_read2_b64 v[14:17], v2 offset0:224 offset1:240
	v_mov_b32_e32 v2, s45
	v_addc_co_u32_e32 v41, vcc, v41, v2, vcc
	v_add_co_u32_e32 v34, vcc, s50, v34
	s_waitcnt lgkmcnt(0)
	v_fma_f64 v[48:49], v[14:15], v[5:6], v[46:47]
	v_fma_f64 v[46:47], v[16:17], v[5:6], v[3:4]
	;; [unrolled: 1-line block ×4, first 2 shown]
	v_addc_co_u32_e32 v35, vcc, 0, v35, vcc
	v_add_co_u32_e32 v38, vcc, s44, v38
	v_addc_co_u32_e32 v39, vcc, v39, v2, vcc
	v_add_co_u32_e32 v36, vcc, 0x100, v36
	v_addc_co_u32_e32 v37, vcc, 0, v37, vcc
	s_barrier
	s_cbranch_scc1 .LBB37_43
.LBB37_7:                               ;   Parent Loop BB37_4 Depth=1
                                        ; =>  This Inner Loop Header: Depth=2
	v_mov_b32_e32 v3, s27
	v_add_co_u32_e32 v2, vcc, s26, v1
	v_addc_co_u32_e32 v3, vcc, 0, v3, vcc
	s_waitcnt vmcnt(3)
	v_add_co_u32_e32 v4, vcc, v38, v30
	s_waitcnt vmcnt(2)
	v_addc_co_u32_e32 v5, vcc, v39, v31, vcc
	v_cmp_le_i64_e64 s[14:15], s[42:43], v[2:3]
	v_cmp_eq_u64_e32 vcc, s[26:27], v[18:19]
	v_cmp_gt_i64_e64 s[12:13], v[2:3], v[12:13]
	s_and_b64 vcc, s[38:39], vcc
	s_or_b64 s[16:17], s[14:15], s[12:13]
	s_or_b64 s[16:17], s[16:17], vcc
	s_nor_b64 s[16:17], s[0:1], s[16:17]
                                        ; implicit-def: $vgpr6_vgpr7
	s_and_saveexec_b64 s[20:21], s[16:17]
	s_xor_b64 s[16:17], exec, s[20:21]
	s_cbranch_execz .LBB37_9
; %bb.8:                                ;   in Loop: Header=BB37_7 Depth=2
	global_load_dwordx2 v[6:7], v[4:5], off
.LBB37_9:                               ;   in Loop: Header=BB37_7 Depth=2
	s_andn2_saveexec_b64 s[16:17], s[16:17]
	s_cbranch_execz .LBB37_11
; %bb.10:                               ;   in Loop: Header=BB37_7 Depth=2
	v_cndmask_b32_e32 v11, 0, v54, vcc
	s_waitcnt vmcnt(0)
	v_mov_b32_e32 v6, v10
	v_mov_b32_e32 v7, v11
.LBB37_11:                              ;   in Loop: Header=BB37_7 Depth=2
	s_or_b64 exec, exec, s[16:17]
	v_cmp_eq_u64_e64 s[16:17], s[26:27], v[22:23]
	v_cmp_lt_i64_e64 s[20:21], v[20:21], v[2:3]
	s_and_b64 s[16:17], s[38:39], s[16:17]
	s_or_b64 s[14:15], s[14:15], s[20:21]
	s_or_b64 s[14:15], s[14:15], s[16:17]
	s_nor_b64 s[14:15], s[2:3], s[14:15]
	s_waitcnt vmcnt(0)
	ds_write_b64 v51, v[6:7]
	s_and_saveexec_b64 s[20:21], s[14:15]
	s_xor_b64 s[14:15], exec, s[20:21]
	s_cbranch_execz .LBB37_13
; %bb.12:                               ;   in Loop: Header=BB37_7 Depth=2
	global_load_dwordx2 v[4:5], v[4:5], off offset:128
	s_waitcnt vmcnt(0)
	ds_write_b64 v51, v[4:5] offset:128
.LBB37_13:                              ;   in Loop: Header=BB37_7 Depth=2
	s_andn2_saveexec_b64 s[14:15], s[14:15]
	s_cbranch_execz .LBB37_19
; %bb.14:                               ;   in Loop: Header=BB37_7 Depth=2
	s_xor_b64 s[16:17], s[16:17], -1
	s_and_saveexec_b64 s[20:21], s[16:17]
	s_xor_b64 s[16:17], exec, s[20:21]
; %bb.15:                               ;   in Loop: Header=BB37_7 Depth=2
	v_mov_b32_e32 v11, v10
	ds_write_b64 v51, v[10:11] offset:128
; %bb.16:                               ;   in Loop: Header=BB37_7 Depth=2
	s_andn2_saveexec_b64 s[16:17], s[16:17]
; %bb.17:                               ;   in Loop: Header=BB37_7 Depth=2
	v_mov_b32_e32 v11, v54
	ds_write_b64 v51, v[10:11] offset:128
; %bb.18:                               ;   in Loop: Header=BB37_7 Depth=2
	s_or_b64 exec, exec, s[16:17]
.LBB37_19:                              ;   in Loop: Header=BB37_7 Depth=2
	s_or_b64 exec, exec, s[14:15]
	v_add_co_u32_e64 v4, s[14:15], 16, v2
	v_add_co_u32_e64 v2, s[16:17], v40, v30
	v_addc_co_u32_e64 v5, s[14:15], 0, v3, s[14:15]
	v_addc_co_u32_e64 v3, s[16:17], v41, v31, s[16:17]
	v_cmp_le_i64_e64 s[14:15], s[42:43], v[4:5]
	v_cmp_eq_u64_e64 s[16:17], s[26:27], v[24:25]
	v_cmp_gt_i64_e64 s[20:21], v[4:5], v[12:13]
	s_and_b64 s[16:17], s[38:39], s[16:17]
	s_or_b64 s[20:21], s[14:15], s[20:21]
	s_or_b64 s[20:21], s[20:21], s[16:17]
	s_nor_b64 s[20:21], s[0:1], s[20:21]
                                        ; implicit-def: $vgpr4_vgpr5
	s_and_saveexec_b64 s[52:53], s[20:21]
	s_xor_b64 s[20:21], exec, s[52:53]
	s_cbranch_execz .LBB37_21
; %bb.20:                               ;   in Loop: Header=BB37_7 Depth=2
	global_load_dwordx2 v[4:5], v[2:3], off
.LBB37_21:                              ;   in Loop: Header=BB37_7 Depth=2
	s_andn2_saveexec_b64 s[20:21], s[20:21]
	s_cbranch_execz .LBB37_23
; %bb.22:                               ;   in Loop: Header=BB37_7 Depth=2
	v_cndmask_b32_e64 v11, 0, v54, s[16:17]
	s_waitcnt vmcnt(0)
	v_mov_b32_e32 v4, v10
	v_mov_b32_e32 v5, v11
.LBB37_23:                              ;   in Loop: Header=BB37_7 Depth=2
	s_or_b64 exec, exec, s[20:21]
	s_or_b64 s[12:13], s[14:15], s[12:13]
	s_or_b64 s[12:13], s[12:13], vcc
	s_nor_b64 s[12:13], s[2:3], s[12:13]
	s_waitcnt vmcnt(0)
	ds_write_b64 v51, v[4:5] offset:4096
	s_and_saveexec_b64 s[14:15], s[12:13]
	s_xor_b64 s[12:13], exec, s[14:15]
	s_cbranch_execz .LBB37_25
; %bb.24:                               ;   in Loop: Header=BB37_7 Depth=2
	global_load_dwordx2 v[2:3], v[2:3], off offset:128
	s_waitcnt vmcnt(0)
	ds_write_b64 v51, v[2:3] offset:4224
.LBB37_25:                              ;   in Loop: Header=BB37_7 Depth=2
	s_andn2_saveexec_b64 s[12:13], s[12:13]
	s_cbranch_execz .LBB37_31
; %bb.26:                               ;   in Loop: Header=BB37_7 Depth=2
	s_xor_b64 s[14:15], vcc, -1
	s_and_saveexec_b64 s[16:17], s[14:15]
	s_xor_b64 s[14:15], exec, s[16:17]
; %bb.27:                               ;   in Loop: Header=BB37_7 Depth=2
	v_mov_b32_e32 v11, v10
	ds_write_b64 v51, v[10:11] offset:4224
; %bb.28:                               ;   in Loop: Header=BB37_7 Depth=2
	s_andn2_saveexec_b64 s[14:15], s[14:15]
; %bb.29:                               ;   in Loop: Header=BB37_7 Depth=2
	v_mov_b32_e32 v11, v54
	ds_write_b64 v51, v[10:11] offset:4224
; %bb.30:                               ;   in Loop: Header=BB37_7 Depth=2
	s_or_b64 exec, exec, s[14:15]
.LBB37_31:                              ;   in Loop: Header=BB37_7 Depth=2
	s_or_b64 exec, exec, s[12:13]
	v_mov_b32_e32 v3, s27
	v_add_co_u32_e32 v2, vcc, s26, v0
	v_addc_co_u32_e32 v3, vcc, 0, v3, vcc
	v_cmp_gt_i64_e32 vcc, s[42:43], v[2:3]
	v_mov_b32_e32 v4, 0
	v_mov_b32_e32 v5, 0
	s_and_b64 s[14:15], s[8:9], vcc
	s_and_saveexec_b64 s[12:13], s[14:15]
	s_cbranch_execz .LBB37_33
; %bb.32:                               ;   in Loop: Header=BB37_7 Depth=2
	global_load_dwordx2 v[4:5], v[34:35], off offset:-128
.LBB37_33:                              ;   in Loop: Header=BB37_7 Depth=2
	s_or_b64 exec, exec, s[12:13]
	v_cmp_gt_i64_e64 s[12:13], s[46:47], v[2:3]
	s_waitcnt vmcnt(0)
	ds_write_b64 v53, v[4:5]
	s_and_b64 s[14:15], s[8:9], s[12:13]
	s_xor_b64 s[14:15], s[14:15], -1
	s_and_saveexec_b64 s[16:17], s[14:15]
	s_xor_b64 s[14:15], exec, s[16:17]
; %bb.34:                               ;   in Loop: Header=BB37_7 Depth=2
	v_mov_b32_e32 v11, v10
	ds_write_b64 v53, v[10:11] offset:128
; %bb.35:                               ;   in Loop: Header=BB37_7 Depth=2
	s_andn2_saveexec_b64 s[14:15], s[14:15]
	s_cbranch_execz .LBB37_37
; %bb.36:                               ;   in Loop: Header=BB37_7 Depth=2
	global_load_dwordx2 v[2:3], v[34:35], off
	s_waitcnt vmcnt(0)
	ds_write_b64 v53, v[2:3] offset:128
.LBB37_37:                              ;   in Loop: Header=BB37_7 Depth=2
	s_or_b64 exec, exec, s[14:15]
	v_mov_b32_e32 v2, 0
	v_mov_b32_e32 v3, 0
	s_and_b64 s[16:17], s[10:11], vcc
	s_and_saveexec_b64 s[14:15], s[16:17]
	s_cbranch_execz .LBB37_39
; %bb.38:                               ;   in Loop: Header=BB37_7 Depth=2
	global_load_dwordx2 v[2:3], v[36:37], off offset:-128
.LBB37_39:                              ;   in Loop: Header=BB37_7 Depth=2
	s_or_b64 exec, exec, s[14:15]
	s_and_b64 s[12:13], s[10:11], s[12:13]
	s_xor_b64 s[12:13], s[12:13], -1
	s_waitcnt vmcnt(0)
	ds_write_b64 v53, v[2:3] offset:4096
	s_and_saveexec_b64 s[14:15], s[12:13]
	s_xor_b64 s[12:13], exec, s[14:15]
; %bb.40:                               ;   in Loop: Header=BB37_7 Depth=2
	v_mov_b32_e32 v11, v10
	ds_write_b64 v53, v[10:11] offset:4224
; %bb.41:                               ;   in Loop: Header=BB37_7 Depth=2
	s_andn2_saveexec_b64 s[12:13], s[12:13]
	s_cbranch_execz .LBB37_6
; %bb.42:                               ;   in Loop: Header=BB37_7 Depth=2
	global_load_dwordx2 v[2:3], v[36:37], off
	s_waitcnt vmcnt(0)
	ds_write_b64 v53, v[2:3] offset:4224
	s_branch .LBB37_6
.LBB37_43:                              ;   in Loop: Header=BB37_4 Depth=1
	v_mul_lo_u32 v4, s41, v55
	v_mul_lo_u32 v5, s40, v56
	v_mad_u64_u32 v[2:3], s[8:9], s40, v55, 0
	v_cmp_gt_i32_e32 vcc, s30, v55
	v_add3_u32 v3, v3, v5, v4
	v_lshlrev_b64 v[2:3], 3, v[2:3]
	v_mov_b32_e32 v4, s48
	v_add_co_u32_e64 v2, s[8:9], s33, v2
	v_addc_co_u32_e64 v3, s[8:9], v4, v3, s[8:9]
	s_and_b64 s[8:9], s[4:5], vcc
	s_and_saveexec_b64 s[10:11], s[8:9]
	s_cbranch_execz .LBB37_45
; %bb.44:                               ;   in Loop: Header=BB37_4 Depth=1
	v_add_co_u32_e64 v4, s[8:9], v2, v30
	v_addc_co_u32_e64 v5, s[8:9], v3, v31, s[8:9]
	global_load_dwordx2 v[6:7], v[4:5], off
	s_waitcnt vmcnt(0)
	v_fma_f64 v[6:7], s[34:35], v[48:49], v[6:7]
	global_store_dwordx2 v[4:5], v[6:7], off
.LBB37_45:                              ;   in Loop: Header=BB37_4 Depth=1
	s_or_b64 exec, exec, s[10:11]
	s_and_b64 s[10:11], s[18:19], vcc
	s_and_saveexec_b64 s[8:9], s[10:11]
	s_cbranch_execz .LBB37_47
; %bb.46:                               ;   in Loop: Header=BB37_4 Depth=1
	buffer_load_dword v4, off, s[56:59], 0  ; 4-byte Folded Reload
	buffer_load_dword v5, off, s[56:59], 0 offset:4 ; 4-byte Folded Reload
	s_waitcnt vmcnt(1)
	v_add_co_u32_e32 v2, vcc, v2, v4
	s_waitcnt vmcnt(0)
	v_addc_co_u32_e32 v3, vcc, v3, v5, vcc
	global_load_dwordx2 v[4:5], v[2:3], off
	s_waitcnt vmcnt(0)
	v_fma_f64 v[4:5], s[34:35], v[46:47], v[4:5]
	global_store_dwordx2 v[2:3], v[4:5], off
.LBB37_47:                              ;   in Loop: Header=BB37_4 Depth=1
	s_or_b64 exec, exec, s[8:9]
	v_add_u32_e32 v4, 16, v55
	v_ashrrev_i32_e32 v2, 31, v4
	v_mul_lo_u32 v5, s40, v2
	v_mul_lo_u32 v6, s41, v4
	v_mad_u64_u32 v[2:3], s[8:9], s40, v4, 0
	v_cmp_gt_i32_e32 vcc, s30, v4
	v_mov_b32_e32 v4, s48
	v_add3_u32 v3, v3, v5, v6
	v_lshlrev_b64 v[2:3], 3, v[2:3]
	v_add_co_u32_e64 v2, s[8:9], s33, v2
	v_addc_co_u32_e64 v3, s[8:9], v4, v3, s[8:9]
	s_and_b64 s[8:9], s[4:5], vcc
	s_and_saveexec_b64 s[10:11], s[8:9]
	s_cbranch_execz .LBB37_49
; %bb.48:                               ;   in Loop: Header=BB37_4 Depth=1
	v_add_co_u32_e64 v4, s[8:9], v2, v30
	v_addc_co_u32_e64 v5, s[8:9], v3, v31, s[8:9]
	global_load_dwordx2 v[6:7], v[4:5], off
	s_waitcnt vmcnt(0)
	v_fma_f64 v[6:7], s[34:35], v[44:45], v[6:7]
	global_store_dwordx2 v[4:5], v[6:7], off
.LBB37_49:                              ;   in Loop: Header=BB37_4 Depth=1
	s_or_b64 exec, exec, s[10:11]
	s_and_b64 s[10:11], s[18:19], vcc
	s_and_saveexec_b64 s[8:9], s[10:11]
	s_cbranch_execz .LBB37_3
; %bb.50:                               ;   in Loop: Header=BB37_4 Depth=1
	buffer_load_dword v4, off, s[56:59], 0  ; 4-byte Folded Reload
	buffer_load_dword v5, off, s[56:59], 0 offset:4 ; 4-byte Folded Reload
	s_waitcnt vmcnt(1)
	v_add_co_u32_e32 v2, vcc, v2, v4
	s_waitcnt vmcnt(0)
	v_addc_co_u32_e32 v3, vcc, v3, v5, vcc
	global_load_dwordx2 v[4:5], v[2:3], off
	s_waitcnt vmcnt(0)
	v_fma_f64 v[4:5], s[34:35], v[42:43], v[4:5]
	global_store_dwordx2 v[2:3], v[4:5], off
	s_branch .LBB37_3
.LBB37_51:
	s_endpgm
	.section	.rodata,"a",@progbits
	.p2align	6, 0x0
	.amdhsa_kernel _ZL30rocblas_trmm_outofplace_kernelIdLi32ELi2ELb1ELb0ELb0ELb0EdKddEv17rocblas_diagonal_iiT6_lPT7_lllS4_lllPT8_llli
		.amdhsa_group_segment_fixed_size 16384
		.amdhsa_private_segment_fixed_size 36
		.amdhsa_kernarg_size 392
		.amdhsa_user_sgpr_count 6
		.amdhsa_user_sgpr_private_segment_buffer 1
		.amdhsa_user_sgpr_dispatch_ptr 0
		.amdhsa_user_sgpr_queue_ptr 0
		.amdhsa_user_sgpr_kernarg_segment_ptr 1
		.amdhsa_user_sgpr_dispatch_id 0
		.amdhsa_user_sgpr_flat_scratch_init 0
		.amdhsa_user_sgpr_private_segment_size 0
		.amdhsa_uses_dynamic_stack 0
		.amdhsa_system_sgpr_private_segment_wavefront_offset 1
		.amdhsa_system_sgpr_workgroup_id_x 1
		.amdhsa_system_sgpr_workgroup_id_y 1
		.amdhsa_system_sgpr_workgroup_id_z 1
		.amdhsa_system_sgpr_workgroup_info 0
		.amdhsa_system_vgpr_workitem_id 1
		.amdhsa_next_free_vgpr 63
		.amdhsa_next_free_sgpr 61
		.amdhsa_reserve_vcc 1
		.amdhsa_reserve_flat_scratch 0
		.amdhsa_float_round_mode_32 0
		.amdhsa_float_round_mode_16_64 0
		.amdhsa_float_denorm_mode_32 3
		.amdhsa_float_denorm_mode_16_64 3
		.amdhsa_dx10_clamp 1
		.amdhsa_ieee_mode 1
		.amdhsa_fp16_overflow 0
		.amdhsa_exception_fp_ieee_invalid_op 0
		.amdhsa_exception_fp_denorm_src 0
		.amdhsa_exception_fp_ieee_div_zero 0
		.amdhsa_exception_fp_ieee_overflow 0
		.amdhsa_exception_fp_ieee_underflow 0
		.amdhsa_exception_fp_ieee_inexact 0
		.amdhsa_exception_int_div_zero 0
	.end_amdhsa_kernel
	.section	.text._ZL30rocblas_trmm_outofplace_kernelIdLi32ELi2ELb1ELb0ELb0ELb0EdKddEv17rocblas_diagonal_iiT6_lPT7_lllS4_lllPT8_llli,"axG",@progbits,_ZL30rocblas_trmm_outofplace_kernelIdLi32ELi2ELb1ELb0ELb0ELb0EdKddEv17rocblas_diagonal_iiT6_lPT7_lllS4_lllPT8_llli,comdat
.Lfunc_end37:
	.size	_ZL30rocblas_trmm_outofplace_kernelIdLi32ELi2ELb1ELb0ELb0ELb0EdKddEv17rocblas_diagonal_iiT6_lPT7_lllS4_lllPT8_llli, .Lfunc_end37-_ZL30rocblas_trmm_outofplace_kernelIdLi32ELi2ELb1ELb0ELb0ELb0EdKddEv17rocblas_diagonal_iiT6_lPT7_lllS4_lllPT8_llli
                                        ; -- End function
	.set _ZL30rocblas_trmm_outofplace_kernelIdLi32ELi2ELb1ELb0ELb0ELb0EdKddEv17rocblas_diagonal_iiT6_lPT7_lllS4_lllPT8_llli.num_vgpr, 63
	.set _ZL30rocblas_trmm_outofplace_kernelIdLi32ELi2ELb1ELb0ELb0ELb0EdKddEv17rocblas_diagonal_iiT6_lPT7_lllS4_lllPT8_llli.num_agpr, 0
	.set _ZL30rocblas_trmm_outofplace_kernelIdLi32ELi2ELb1ELb0ELb0ELb0EdKddEv17rocblas_diagonal_iiT6_lPT7_lllS4_lllPT8_llli.numbered_sgpr, 60
	.set _ZL30rocblas_trmm_outofplace_kernelIdLi32ELi2ELb1ELb0ELb0ELb0EdKddEv17rocblas_diagonal_iiT6_lPT7_lllS4_lllPT8_llli.num_named_barrier, 0
	.set _ZL30rocblas_trmm_outofplace_kernelIdLi32ELi2ELb1ELb0ELb0ELb0EdKddEv17rocblas_diagonal_iiT6_lPT7_lllS4_lllPT8_llli.private_seg_size, 36
	.set _ZL30rocblas_trmm_outofplace_kernelIdLi32ELi2ELb1ELb0ELb0ELb0EdKddEv17rocblas_diagonal_iiT6_lPT7_lllS4_lllPT8_llli.uses_vcc, 1
	.set _ZL30rocblas_trmm_outofplace_kernelIdLi32ELi2ELb1ELb0ELb0ELb0EdKddEv17rocblas_diagonal_iiT6_lPT7_lllS4_lllPT8_llli.uses_flat_scratch, 0
	.set _ZL30rocblas_trmm_outofplace_kernelIdLi32ELi2ELb1ELb0ELb0ELb0EdKddEv17rocblas_diagonal_iiT6_lPT7_lllS4_lllPT8_llli.has_dyn_sized_stack, 0
	.set _ZL30rocblas_trmm_outofplace_kernelIdLi32ELi2ELb1ELb0ELb0ELb0EdKddEv17rocblas_diagonal_iiT6_lPT7_lllS4_lllPT8_llli.has_recursion, 0
	.set _ZL30rocblas_trmm_outofplace_kernelIdLi32ELi2ELb1ELb0ELb0ELb0EdKddEv17rocblas_diagonal_iiT6_lPT7_lllS4_lllPT8_llli.has_indirect_call, 0
	.section	.AMDGPU.csdata,"",@progbits
; Kernel info:
; codeLenInByte = 3872
; TotalNumSgprs: 64
; NumVgprs: 63
; ScratchSize: 36
; MemoryBound: 0
; FloatMode: 240
; IeeeMode: 1
; LDSByteSize: 16384 bytes/workgroup (compile time only)
; SGPRBlocks: 8
; VGPRBlocks: 15
; NumSGPRsForWavesPerEU: 65
; NumVGPRsForWavesPerEU: 63
; Occupancy: 4
; WaveLimiterHint : 0
; COMPUTE_PGM_RSRC2:SCRATCH_EN: 1
; COMPUTE_PGM_RSRC2:USER_SGPR: 6
; COMPUTE_PGM_RSRC2:TRAP_HANDLER: 0
; COMPUTE_PGM_RSRC2:TGID_X_EN: 1
; COMPUTE_PGM_RSRC2:TGID_Y_EN: 1
; COMPUTE_PGM_RSRC2:TGID_Z_EN: 1
; COMPUTE_PGM_RSRC2:TIDIG_COMP_CNT: 1
	.section	.text._ZL30rocblas_trmm_outofplace_kernelIdLi32ELi2ELb1ELb1ELb0ELb0EPKdS0_dEv17rocblas_diagonal_iiT6_lPT7_lllS5_lllPT8_llli,"axG",@progbits,_ZL30rocblas_trmm_outofplace_kernelIdLi32ELi2ELb1ELb1ELb0ELb0EPKdS0_dEv17rocblas_diagonal_iiT6_lPT7_lllS5_lllPT8_llli,comdat
	.globl	_ZL30rocblas_trmm_outofplace_kernelIdLi32ELi2ELb1ELb1ELb0ELb0EPKdS0_dEv17rocblas_diagonal_iiT6_lPT7_lllS5_lllPT8_llli ; -- Begin function _ZL30rocblas_trmm_outofplace_kernelIdLi32ELi2ELb1ELb1ELb0ELb0EPKdS0_dEv17rocblas_diagonal_iiT6_lPT7_lllS5_lllPT8_llli
	.p2align	8
	.type	_ZL30rocblas_trmm_outofplace_kernelIdLi32ELi2ELb1ELb1ELb0ELb0EPKdS0_dEv17rocblas_diagonal_iiT6_lPT7_lllS5_lllPT8_llli,@function
_ZL30rocblas_trmm_outofplace_kernelIdLi32ELi2ELb1ELb1ELb0ELb0EPKdS0_dEv17rocblas_diagonal_iiT6_lPT7_lllS5_lllPT8_llli: ; @_ZL30rocblas_trmm_outofplace_kernelIdLi32ELi2ELb1ELb1ELb0ELb0EPKdS0_dEv17rocblas_diagonal_iiT6_lPT7_lllS5_lllPT8_llli
; %bb.0:
	s_load_dwordx16 s[12:27], s[4:5], 0x10
	s_mov_b64 s[62:63], s[2:3]
	s_mov_b64 s[60:61], s[0:1]
	s_add_u32 s60, s60, s9
	s_addc_u32 s61, s61, 0
	s_waitcnt lgkmcnt(0)
	s_mul_i32 s0, s15, s8
	s_mul_hi_u32 s1, s14, s8
	s_add_i32 s1, s1, s0
	s_mul_i32 s0, s14, s8
	s_lshl_b64 s[0:1], s[0:1], 3
	s_add_u32 s0, s12, s0
	s_addc_u32 s1, s13, s1
	s_load_dwordx2 s[34:35], s[0:1], 0x0
	s_waitcnt lgkmcnt(0)
	v_cmp_eq_f64_e64 s[0:1], s[34:35], 0
	s_and_b64 vcc, exec, s[0:1]
	s_cbranch_vccnz .LBB38_52
; %bb.1:
	s_load_dwordx4 s[28:31], s[4:5], 0x0
	s_waitcnt lgkmcnt(0)
	s_add_i32 s0, s30, -1
	s_ashr_i32 s1, s0, 31
	s_lshr_b32 s1, s1, 27
	s_add_i32 s0, s0, s1
	s_ashr_i32 s31, s0, 5
	s_cmp_gt_i32 s7, s31
	s_cbranch_scc1 .LBB38_52
; %bb.2:
	s_mul_i32 s0, s23, s8
	s_mul_hi_u32 s1, s22, s8
	s_load_dwordx8 s[36:43], s[4:5], 0x50
	s_load_dwordx4 s[44:47], s[4:5], 0x70
	s_add_i32 s1, s1, s0
	s_mul_i32 s0, s22, s8
	s_lshl_b64 s[10:11], s[0:1], 3
	s_add_u32 s0, s16, s10
	s_addc_u32 s1, s17, s11
	s_lshl_b64 s[12:13], s[18:19], 3
	s_add_u32 s2, s0, s12
	s_addc_u32 s3, s1, s13
	s_waitcnt lgkmcnt(0)
	s_mul_i32 s0, s47, s8
	s_mul_hi_u32 s1, s46, s8
	s_add_i32 s1, s1, s0
	s_mul_i32 s0, s46, s8
	s_lshl_b64 s[0:1], s[0:1], 3
	s_load_dword s33, s[4:5], 0x8c
	s_add_u32 s4, s40, s0
	s_addc_u32 s5, s41, s1
	s_lshl_b64 s[0:1], s[42:43], 3
	s_add_u32 s50, s4, s0
	s_addc_u32 s51, s5, s1
	s_lshl_b32 s4, s6, 5
	v_add_u32_e32 v10, s4, v1
	v_ashrrev_i32_e32 v11, 31, v10
	v_mul_lo_u32 v4, s20, v11
	v_mul_lo_u32 v5, s21, v10
	v_mad_u64_u32 v[2:3], s[0:1], s20, v10, 0
	v_add_u32_e32 v12, s4, v0
	v_ashrrev_i32_e32 v13, 31, v12
	v_add3_u32 v3, v3, v4, v5
	v_lshlrev_b64 v[2:3], 3, v[2:3]
	v_mov_b32_e32 v4, s3
	v_add_co_u32_e32 v2, vcc, s2, v2
	v_addc_co_u32_e32 v3, vcc, v4, v3, vcc
	buffer_store_dword v2, off, s[60:63], 0 offset:8 ; 4-byte Folded Spill
	s_nop 0
	buffer_store_dword v3, off, s[60:63], 0 offset:12 ; 4-byte Folded Spill
	s_sub_i32 s6, s29, s4
	v_lshlrev_b32_e32 v2, 8, v1
	v_lshlrev_b32_e32 v0, 3, v0
	v_add_co_u32_e32 v24, vcc, 16, v12
	s_cmp_gt_i32 s6, 0
	v_add_u32_e32 v50, v0, v2
	v_add_u32_e32 v51, 0x2000, v2
	v_addc_co_u32_e32 v25, vcc, 0, v13, vcc
	v_add_u32_e32 v2, 16, v12
	s_cselect_b64 s[22:23], -1, 0
	s_cmpk_eq_i32 s28, 0x84
	v_ashrrev_i32_e32 v3, 31, v2
	v_sub_co_u32_e32 v20, vcc, v12, v10
	s_cselect_b64 s[40:41], -1, 0
	s_ashr_i32 s43, s29, 31
	s_ashr_i32 s52, s30, 31
	s_lshl_b64 s[46:47], s[20:21], 8
	v_cmp_gt_i32_e64 s[18:19], s29, v2
	buffer_store_dword v2, off, s[60:63], 0 ; 4-byte Folded Spill
	s_nop 0
	buffer_store_dword v3, off, s[60:63], 0 offset:4 ; 4-byte Folded Spill
	v_subb_co_u32_e32 v21, vcc, v13, v11, vcc
	s_add_u32 s48, s29, -16
	v_add_co_u32_e32 v22, vcc, 16, v20
	v_lshlrev_b64 v[2:3], 3, v[10:11]
	s_addc_u32 s49, s43, -1
	v_addc_co_u32_e32 v23, vcc, 0, v21, vcc
	s_movk_i32 s9, 0x80
	v_add_co_u32_e32 v4, vcc, s9, v2
	s_add_u32 s9, s16, s12
	s_addc_u32 s12, s17, s13
	s_add_u32 s10, s9, s10
	v_addc_co_u32_e32 v5, vcc, 0, v3, vcc
	s_addc_u32 s11, s12, s11
	v_mov_b32_e32 v2, s10
	v_mov_b32_e32 v3, s11
	v_mad_u64_u32 v[6:7], s[10:11], s20, v4, v[2:3]
	s_mul_i32 s9, s39, s8
	s_mul_hi_u32 s10, s38, s8
	s_add_i32 s9, s10, s9
	s_mul_i32 s8, s38, s8
	s_lshl_b64 s[8:9], s[8:9], 3
	s_lshl_b64 s[10:11], s[26:27], 3
	s_add_u32 s8, s8, s10
	v_mul_lo_u32 v2, s20, v5
	v_mul_lo_u32 v3, s21, v4
	s_addc_u32 s9, s9, s11
	s_add_u32 s24, s24, s8
	s_mov_b32 s42, s29
	s_addc_u32 s25, s25, s9
	v_cmp_le_i64_e64 s[2:3], s[42:43], v[24:25]
	v_add_co_u32_e32 v26, vcc, -16, v20
	v_lshlrev_b64 v[28:29], 3, v[12:13]
	s_add_u32 s26, s24, 0x80
	v_add_u32_e32 v52, v51, v0
	v_cmp_le_i32_e64 s[0:1], s29, v12
	v_cmp_gt_i32_e64 s[4:5], s29, v12
	v_addc_co_u32_e32 v27, vcc, -1, v21, vcc
	v_add3_u32 v7, v3, v7, v2
	s_addc_u32 s27, s25, 0
	s_lshl_b64 s[28:29], s[36:37], 3
	v_lshl_add_u32 v30, s7, 5, v1
	s_waitcnt lgkmcnt(0)
	s_lshl_b32 s53, s33, 5
	s_movk_i32 s54, 0x100
	v_mov_b32_e32 v53, 0x3ff00000
	v_mov_b32_e32 v32, 0
	buffer_store_dword v6, off, s[60:63], 0 offset:16 ; 4-byte Folded Spill
	s_nop 0
	buffer_store_dword v7, off, s[60:63], 0 offset:20 ; 4-byte Folded Spill
	s_branch .LBB38_4
.LBB38_3:                               ;   in Loop: Header=BB38_4 Depth=1
	s_or_b64 exec, exec, s[8:9]
	s_add_i32 s7, s33, s7
	s_cmp_le_i32 s7, s31
	v_add_u32_e32 v30, s53, v30
	s_cbranch_scc0 .LBB38_52
.LBB38_4:                               ; =>This Loop Header: Depth=1
                                        ;     Child Loop BB38_7 Depth 2
	v_lshl_add_u32 v54, s7, 5, v1
	s_andn2_b64 vcc, exec, s[22:23]
	v_ashrrev_i32_e32 v55, 31, v54
	s_cbranch_vccnz .LBB38_43
; %bb.5:                                ;   in Loop: Header=BB38_4 Depth=1
	buffer_load_dword v38, off, s[60:63], 0 offset:8 ; 4-byte Folded Reload
	buffer_load_dword v39, off, s[60:63], 0 offset:12 ; 4-byte Folded Reload
	;; [unrolled: 1-line block ×4, first 2 shown]
	v_mov_b32_e32 v2, s26
	v_ashrrev_i32_e32 v31, 31, v30
	v_mov_b32_e32 v3, s27
	v_mad_u64_u32 v[34:35], s[8:9], s28, v30, v[2:3]
	v_lshlrev_b64 v[2:3], 3, v[30:31]
	v_mul_lo_u32 v4, s29, v30
	v_add_co_u32_e32 v6, vcc, 0x80, v2
	v_addc_co_u32_e32 v2, vcc, 0, v3, vcc
	v_mul_lo_u32 v7, s36, v2
	v_mov_b32_e32 v2, s24
	v_mov_b32_e32 v3, s25
	v_mul_lo_u32 v5, s28, v31
	v_mul_lo_u32 v8, s37, v6
	v_mad_u64_u32 v[36:37], s[8:9], s36, v6, v[2:3]
	v_mov_b32_e32 v3, s52
	v_sub_co_u32_e32 v2, vcc, s30, v54
	v_subb_co_u32_e32 v3, vcc, v3, v55, vcc
	v_cmp_lt_i64_e64 s[8:9], 0, v[2:3]
	v_cmp_lt_i64_e64 s[10:11], 16, v[2:3]
	v_mov_b32_e32 v42, 0
	v_mov_b32_e32 v44, 0
	;; [unrolled: 1-line block ×4, first 2 shown]
	v_add3_u32 v35, v4, v35, v5
	v_add3_u32 v37, v8, v37, v7
	s_mov_b64 s[38:39], 0
	v_mov_b32_e32 v43, 0
	v_mov_b32_e32 v45, 0
	;; [unrolled: 1-line block ×4, first 2 shown]
	s_branch .LBB38_7
.LBB38_6:                               ;   in Loop: Header=BB38_7 Depth=2
	s_or_b64 exec, exec, s[12:13]
	s_waitcnt lgkmcnt(0)
	s_barrier
	ds_read_b128 v[56:59], v51
	ds_read_b128 v[60:63], v51 offset:16
	ds_read_b128 v[6:9], v51 offset:32
	;; [unrolled: 1-line block ×3, first 2 shown]
	ds_read2_b64 v[14:17], v0 offset1:16
	v_add_co_u32_e32 v40, vcc, s46, v40
	s_add_u32 s38, s38, 32
	s_addc_u32 s39, s39, 0
	s_waitcnt lgkmcnt(0)
	v_fma_f64 v[18:19], v[14:15], v[56:57], v[48:49]
	v_fma_f64 v[56:57], v[16:17], v[56:57], v[46:47]
	ds_read_b128 v[46:49], v51 offset:4096
	s_cmp_ge_i32 s38, s6
	s_waitcnt lgkmcnt(0)
	v_fma_f64 v[44:45], v[14:15], v[46:47], v[44:45]
	v_fma_f64 v[42:43], v[16:17], v[46:47], v[42:43]
	ds_read2_b64 v[14:17], v0 offset0:32 offset1:48
	s_waitcnt lgkmcnt(0)
	v_fma_f64 v[18:19], v[14:15], v[58:59], v[18:19]
	v_fma_f64 v[46:47], v[16:17], v[58:59], v[56:57]
	v_fma_f64 v[56:57], v[14:15], v[48:49], v[44:45]
	v_fma_f64 v[48:49], v[16:17], v[48:49], v[42:43]
	ds_read2_b64 v[14:17], v0 offset0:64 offset1:80
	ds_read_b128 v[42:45], v51 offset:4112
	s_waitcnt lgkmcnt(1)
	v_fma_f64 v[18:19], v[14:15], v[60:61], v[18:19]
	v_fma_f64 v[46:47], v[16:17], v[60:61], v[46:47]
	s_waitcnt lgkmcnt(0)
	v_fma_f64 v[56:57], v[14:15], v[42:43], v[56:57]
	v_fma_f64 v[42:43], v[16:17], v[42:43], v[48:49]
	ds_read2_b64 v[14:17], v0 offset0:96 offset1:112
	s_waitcnt lgkmcnt(0)
	v_fma_f64 v[18:19], v[14:15], v[62:63], v[18:19]
	v_fma_f64 v[46:47], v[16:17], v[62:63], v[46:47]
	v_fma_f64 v[48:49], v[14:15], v[44:45], v[56:57]
	v_fma_f64 v[56:57], v[16:17], v[44:45], v[42:43]
	ds_read2_b64 v[14:17], v0 offset0:128 offset1:144
	ds_read_b128 v[42:45], v51 offset:4128
	s_waitcnt lgkmcnt(1)
	v_fma_f64 v[18:19], v[14:15], v[6:7], v[18:19]
	v_fma_f64 v[6:7], v[16:17], v[6:7], v[46:47]
	;; [unrolled: 14-line block ×3, first 2 shown]
	s_waitcnt lgkmcnt(0)
	v_fma_f64 v[44:45], v[6:7], v[14:15], v[46:47]
	v_fma_f64 v[14:15], v[8:9], v[14:15], v[42:43]
	ds_read2_b64 v[6:9], v0 offset0:224 offset1:240
	s_waitcnt lgkmcnt(0)
	v_fma_f64 v[18:19], v[6:7], v[4:5], v[18:19]
	v_fma_f64 v[42:43], v[8:9], v[4:5], v[2:3]
	v_add_u32_e32 v2, 0x800, v0
	v_fma_f64 v[46:47], v[6:7], v[16:17], v[44:45]
	v_fma_f64 v[7:8], v[8:9], v[16:17], v[14:15]
	ds_read_b128 v[3:6], v51 offset:64
	ds_read2_b64 v[14:17], v2 offset1:16
	s_waitcnt lgkmcnt(0)
	v_fma_f64 v[18:19], v[14:15], v[3:4], v[18:19]
	v_fma_f64 v[3:4], v[16:17], v[3:4], v[42:43]
	ds_read_b128 v[42:45], v51 offset:4160
	s_waitcnt lgkmcnt(0)
	v_fma_f64 v[46:47], v[14:15], v[42:43], v[46:47]
	v_fma_f64 v[7:8], v[16:17], v[42:43], v[7:8]
	ds_read2_b64 v[14:17], v2 offset0:32 offset1:48
	s_waitcnt lgkmcnt(0)
	v_fma_f64 v[18:19], v[14:15], v[5:6], v[18:19]
	v_fma_f64 v[42:43], v[16:17], v[5:6], v[3:4]
	v_fma_f64 v[46:47], v[14:15], v[44:45], v[46:47]
	v_fma_f64 v[7:8], v[16:17], v[44:45], v[7:8]
	ds_read_b128 v[3:6], v51 offset:80
	ds_read2_b64 v[14:17], v2 offset0:64 offset1:80
	s_waitcnt lgkmcnt(0)
	v_fma_f64 v[18:19], v[14:15], v[3:4], v[18:19]
	v_fma_f64 v[3:4], v[16:17], v[3:4], v[42:43]
	ds_read_b128 v[42:45], v51 offset:4176
	s_waitcnt lgkmcnt(0)
	v_fma_f64 v[46:47], v[14:15], v[42:43], v[46:47]
	v_fma_f64 v[7:8], v[16:17], v[42:43], v[7:8]
	ds_read2_b64 v[14:17], v2 offset0:96 offset1:112
	s_waitcnt lgkmcnt(0)
	v_fma_f64 v[18:19], v[14:15], v[5:6], v[18:19]
	v_fma_f64 v[42:43], v[16:17], v[5:6], v[3:4]
	v_fma_f64 v[46:47], v[14:15], v[44:45], v[46:47]
	v_fma_f64 v[7:8], v[16:17], v[44:45], v[7:8]
	ds_read_b128 v[3:6], v51 offset:96
	ds_read2_b64 v[14:17], v2 offset0:128 offset1:144
	;; [unrolled: 15-line block ×3, first 2 shown]
	s_waitcnt lgkmcnt(0)
	v_fma_f64 v[18:19], v[14:15], v[3:4], v[18:19]
	v_fma_f64 v[3:4], v[16:17], v[3:4], v[42:43]
	ds_read_b128 v[42:45], v51 offset:4208
	s_waitcnt lgkmcnt(0)
	v_fma_f64 v[46:47], v[14:15], v[42:43], v[46:47]
	v_fma_f64 v[7:8], v[16:17], v[42:43], v[7:8]
	ds_read2_b64 v[14:17], v2 offset0:224 offset1:240
	v_add_u32_e32 v2, 0x1000, v0
	s_waitcnt lgkmcnt(0)
	v_fma_f64 v[18:19], v[14:15], v[5:6], v[18:19]
	v_fma_f64 v[42:43], v[16:17], v[5:6], v[3:4]
	;; [unrolled: 1-line block ×4, first 2 shown]
	ds_read_b128 v[3:6], v51 offset:128
	ds_read2_b64 v[14:17], v2 offset1:16
	s_waitcnt lgkmcnt(0)
	v_fma_f64 v[18:19], v[14:15], v[3:4], v[18:19]
	v_fma_f64 v[3:4], v[16:17], v[3:4], v[42:43]
	ds_read_b128 v[42:45], v51 offset:4224
	s_waitcnt lgkmcnt(0)
	v_fma_f64 v[46:47], v[14:15], v[42:43], v[46:47]
	v_fma_f64 v[7:8], v[16:17], v[42:43], v[7:8]
	ds_read2_b64 v[14:17], v2 offset0:32 offset1:48
	s_waitcnt lgkmcnt(0)
	v_fma_f64 v[18:19], v[14:15], v[5:6], v[18:19]
	v_fma_f64 v[42:43], v[16:17], v[5:6], v[3:4]
	v_fma_f64 v[46:47], v[14:15], v[44:45], v[46:47]
	v_fma_f64 v[7:8], v[16:17], v[44:45], v[7:8]
	ds_read_b128 v[3:6], v51 offset:144
	ds_read2_b64 v[14:17], v2 offset0:64 offset1:80
	s_waitcnt lgkmcnt(0)
	v_fma_f64 v[18:19], v[14:15], v[3:4], v[18:19]
	v_fma_f64 v[3:4], v[16:17], v[3:4], v[42:43]
	ds_read_b128 v[42:45], v51 offset:4240
	s_waitcnt lgkmcnt(0)
	v_fma_f64 v[46:47], v[14:15], v[42:43], v[46:47]
	v_fma_f64 v[7:8], v[16:17], v[42:43], v[7:8]
	ds_read2_b64 v[14:17], v2 offset0:96 offset1:112
	s_waitcnt lgkmcnt(0)
	v_fma_f64 v[18:19], v[14:15], v[5:6], v[18:19]
	v_fma_f64 v[42:43], v[16:17], v[5:6], v[3:4]
	v_fma_f64 v[46:47], v[14:15], v[44:45], v[46:47]
	v_fma_f64 v[7:8], v[16:17], v[44:45], v[7:8]
	ds_read_b128 v[3:6], v51 offset:160
	ds_read2_b64 v[14:17], v2 offset0:128 offset1:144
	s_waitcnt lgkmcnt(0)
	v_fma_f64 v[18:19], v[14:15], v[3:4], v[18:19]
	v_fma_f64 v[3:4], v[16:17], v[3:4], v[42:43]
	ds_read_b128 v[42:45], v51 offset:4256
	s_waitcnt lgkmcnt(0)
	v_fma_f64 v[46:47], v[14:15], v[42:43], v[46:47]
	v_fma_f64 v[7:8], v[16:17], v[42:43], v[7:8]
	ds_read2_b64 v[14:17], v2 offset0:160 offset1:176
	s_waitcnt lgkmcnt(0)
	v_fma_f64 v[18:19], v[14:15], v[5:6], v[18:19]
	v_fma_f64 v[42:43], v[16:17], v[5:6], v[3:4]
	v_fma_f64 v[46:47], v[14:15], v[44:45], v[46:47]
	v_fma_f64 v[7:8], v[16:17], v[44:45], v[7:8]
	ds_read_b128 v[3:6], v51 offset:176
	ds_read2_b64 v[14:17], v2 offset0:192 offset1:208
	s_waitcnt lgkmcnt(0)
	v_fma_f64 v[18:19], v[14:15], v[3:4], v[18:19]
	v_fma_f64 v[3:4], v[16:17], v[3:4], v[42:43]
	ds_read_b128 v[42:45], v51 offset:4272
	s_waitcnt lgkmcnt(0)
	v_fma_f64 v[46:47], v[14:15], v[42:43], v[46:47]
	v_fma_f64 v[7:8], v[16:17], v[42:43], v[7:8]
	ds_read2_b64 v[14:17], v2 offset0:224 offset1:240
	v_add_u32_e32 v2, 0x1800, v0
	s_waitcnt lgkmcnt(0)
	v_fma_f64 v[18:19], v[14:15], v[5:6], v[18:19]
	v_fma_f64 v[42:43], v[16:17], v[5:6], v[3:4]
	v_fma_f64 v[46:47], v[14:15], v[44:45], v[46:47]
	v_fma_f64 v[7:8], v[16:17], v[44:45], v[7:8]
	ds_read_b128 v[3:6], v51 offset:192
	ds_read2_b64 v[14:17], v2 offset1:16
	s_waitcnt lgkmcnt(0)
	v_fma_f64 v[18:19], v[14:15], v[3:4], v[18:19]
	v_fma_f64 v[3:4], v[16:17], v[3:4], v[42:43]
	ds_read_b128 v[42:45], v51 offset:4288
	s_waitcnt lgkmcnt(0)
	v_fma_f64 v[46:47], v[14:15], v[42:43], v[46:47]
	v_fma_f64 v[7:8], v[16:17], v[42:43], v[7:8]
	ds_read2_b64 v[14:17], v2 offset0:32 offset1:48
	s_waitcnt lgkmcnt(0)
	v_fma_f64 v[18:19], v[14:15], v[5:6], v[18:19]
	v_fma_f64 v[42:43], v[16:17], v[5:6], v[3:4]
	v_fma_f64 v[46:47], v[14:15], v[44:45], v[46:47]
	v_fma_f64 v[7:8], v[16:17], v[44:45], v[7:8]
	ds_read_b128 v[3:6], v51 offset:208
	ds_read2_b64 v[14:17], v2 offset0:64 offset1:80
	s_waitcnt lgkmcnt(0)
	v_fma_f64 v[18:19], v[14:15], v[3:4], v[18:19]
	v_fma_f64 v[3:4], v[16:17], v[3:4], v[42:43]
	ds_read_b128 v[42:45], v51 offset:4304
	s_waitcnt lgkmcnt(0)
	v_fma_f64 v[46:47], v[14:15], v[42:43], v[46:47]
	v_fma_f64 v[7:8], v[16:17], v[42:43], v[7:8]
	ds_read2_b64 v[14:17], v2 offset0:96 offset1:112
	s_waitcnt lgkmcnt(0)
	v_fma_f64 v[18:19], v[14:15], v[5:6], v[18:19]
	v_fma_f64 v[42:43], v[16:17], v[5:6], v[3:4]
	v_fma_f64 v[46:47], v[14:15], v[44:45], v[46:47]
	v_fma_f64 v[7:8], v[16:17], v[44:45], v[7:8]
	ds_read_b128 v[3:6], v51 offset:224
	ds_read2_b64 v[14:17], v2 offset0:128 offset1:144
	;; [unrolled: 15-line block ×3, first 2 shown]
	ds_read_b128 v[56:59], v51 offset:4336
	s_waitcnt lgkmcnt(1)
	v_fma_f64 v[18:19], v[14:15], v[3:4], v[18:19]
	v_fma_f64 v[3:4], v[16:17], v[3:4], v[42:43]
	s_waitcnt lgkmcnt(0)
	v_fma_f64 v[42:43], v[14:15], v[56:57], v[46:47]
	v_fma_f64 v[7:8], v[16:17], v[56:57], v[7:8]
	ds_read2_b64 v[14:17], v2 offset0:224 offset1:240
	v_mov_b32_e32 v2, s47
	v_addc_co_u32_e32 v41, vcc, v41, v2, vcc
	v_add_co_u32_e32 v34, vcc, s54, v34
	s_waitcnt lgkmcnt(0)
	v_fma_f64 v[48:49], v[14:15], v[5:6], v[18:19]
	v_fma_f64 v[46:47], v[16:17], v[5:6], v[3:4]
	;; [unrolled: 1-line block ×4, first 2 shown]
	v_addc_co_u32_e32 v35, vcc, 0, v35, vcc
	v_add_co_u32_e32 v38, vcc, s46, v38
	v_addc_co_u32_e32 v39, vcc, v39, v2, vcc
	v_add_co_u32_e32 v36, vcc, 0x100, v36
	v_addc_co_u32_e32 v37, vcc, 0, v37, vcc
	s_barrier
	s_cbranch_scc1 .LBB38_44
.LBB38_7:                               ;   Parent Loop BB38_4 Depth=1
                                        ; =>  This Inner Loop Header: Depth=2
	v_mov_b32_e32 v3, s39
	v_add_co_u32_e32 v2, vcc, s38, v10
	v_addc_co_u32_e32 v3, vcc, v11, v3, vcc
	s_waitcnt vmcnt(3)
	v_add_co_u32_e32 v4, vcc, v38, v28
	s_waitcnt vmcnt(2)
	v_addc_co_u32_e32 v5, vcc, v39, v29, vcc
	v_cmp_le_i64_e64 s[14:15], s[42:43], v[2:3]
	v_cmp_eq_u64_e32 vcc, s[38:39], v[20:21]
	v_cmp_lt_i64_e64 s[12:13], v[2:3], v[12:13]
	s_and_b64 vcc, s[40:41], vcc
	s_or_b64 s[16:17], s[14:15], s[12:13]
	s_or_b64 s[16:17], s[16:17], vcc
	s_nor_b64 s[16:17], s[0:1], s[16:17]
                                        ; implicit-def: $vgpr6_vgpr7
	s_and_saveexec_b64 s[20:21], s[16:17]
	s_xor_b64 s[16:17], exec, s[20:21]
	s_cbranch_execz .LBB38_9
; %bb.8:                                ;   in Loop: Header=BB38_7 Depth=2
	global_load_dwordx2 v[6:7], v[4:5], off
.LBB38_9:                               ;   in Loop: Header=BB38_7 Depth=2
	s_andn2_saveexec_b64 s[16:17], s[16:17]
	s_cbranch_execz .LBB38_11
; %bb.10:                               ;   in Loop: Header=BB38_7 Depth=2
	v_cndmask_b32_e32 v33, 0, v53, vcc
	s_waitcnt vmcnt(0)
	v_mov_b32_e32 v6, v32
	v_mov_b32_e32 v7, v33
.LBB38_11:                              ;   in Loop: Header=BB38_7 Depth=2
	s_or_b64 exec, exec, s[16:17]
	v_cmp_eq_u64_e64 s[16:17], s[38:39], v[22:23]
	v_cmp_gt_i64_e64 s[20:21], v[24:25], v[2:3]
	s_and_b64 s[16:17], s[40:41], s[16:17]
	s_or_b64 s[14:15], s[14:15], s[20:21]
	s_or_b64 s[14:15], s[14:15], s[16:17]
	s_nor_b64 s[14:15], s[2:3], s[14:15]
	s_waitcnt vmcnt(0)
	ds_write_b64 v50, v[6:7]
	s_and_saveexec_b64 s[20:21], s[14:15]
	s_xor_b64 s[14:15], exec, s[20:21]
	s_cbranch_execz .LBB38_13
; %bb.12:                               ;   in Loop: Header=BB38_7 Depth=2
	global_load_dwordx2 v[4:5], v[4:5], off offset:128
	s_waitcnt vmcnt(0)
	ds_write_b64 v50, v[4:5] offset:128
.LBB38_13:                              ;   in Loop: Header=BB38_7 Depth=2
	s_andn2_saveexec_b64 s[14:15], s[14:15]
	s_cbranch_execz .LBB38_19
; %bb.14:                               ;   in Loop: Header=BB38_7 Depth=2
	s_xor_b64 s[16:17], s[16:17], -1
	s_and_saveexec_b64 s[20:21], s[16:17]
	s_xor_b64 s[16:17], exec, s[20:21]
; %bb.15:                               ;   in Loop: Header=BB38_7 Depth=2
	v_mov_b32_e32 v33, v32
	ds_write_b64 v50, v[32:33] offset:128
; %bb.16:                               ;   in Loop: Header=BB38_7 Depth=2
	s_andn2_saveexec_b64 s[16:17], s[16:17]
; %bb.17:                               ;   in Loop: Header=BB38_7 Depth=2
	v_mov_b32_e32 v33, v53
	ds_write_b64 v50, v[32:33] offset:128
; %bb.18:                               ;   in Loop: Header=BB38_7 Depth=2
	s_or_b64 exec, exec, s[16:17]
.LBB38_19:                              ;   in Loop: Header=BB38_7 Depth=2
	s_or_b64 exec, exec, s[14:15]
	v_add_co_u32_e64 v4, s[14:15], 16, v2
	v_add_co_u32_e64 v2, s[16:17], v40, v28
	v_addc_co_u32_e64 v5, s[14:15], 0, v3, s[14:15]
	v_addc_co_u32_e64 v3, s[16:17], v41, v29, s[16:17]
	v_cmp_le_i64_e64 s[14:15], s[42:43], v[4:5]
	v_cmp_eq_u64_e64 s[16:17], s[38:39], v[26:27]
	v_cmp_lt_i64_e64 s[20:21], v[4:5], v[12:13]
	s_and_b64 s[16:17], s[40:41], s[16:17]
	s_or_b64 s[20:21], s[14:15], s[20:21]
	s_or_b64 s[20:21], s[20:21], s[16:17]
	s_nor_b64 s[20:21], s[0:1], s[20:21]
                                        ; implicit-def: $vgpr4_vgpr5
	s_and_saveexec_b64 s[56:57], s[20:21]
	s_xor_b64 s[20:21], exec, s[56:57]
	s_cbranch_execz .LBB38_21
; %bb.20:                               ;   in Loop: Header=BB38_7 Depth=2
	global_load_dwordx2 v[4:5], v[2:3], off
.LBB38_21:                              ;   in Loop: Header=BB38_7 Depth=2
	s_andn2_saveexec_b64 s[20:21], s[20:21]
	s_cbranch_execz .LBB38_23
; %bb.22:                               ;   in Loop: Header=BB38_7 Depth=2
	v_cndmask_b32_e64 v33, 0, v53, s[16:17]
	s_waitcnt vmcnt(0)
	v_mov_b32_e32 v4, v32
	v_mov_b32_e32 v5, v33
.LBB38_23:                              ;   in Loop: Header=BB38_7 Depth=2
	s_or_b64 exec, exec, s[20:21]
	s_or_b64 s[12:13], s[14:15], s[12:13]
	s_or_b64 s[12:13], s[12:13], vcc
	s_nor_b64 s[12:13], s[2:3], s[12:13]
	s_waitcnt vmcnt(0)
	ds_write_b64 v50, v[4:5] offset:4096
	s_and_saveexec_b64 s[14:15], s[12:13]
	s_xor_b64 s[12:13], exec, s[14:15]
	s_cbranch_execz .LBB38_25
; %bb.24:                               ;   in Loop: Header=BB38_7 Depth=2
	global_load_dwordx2 v[2:3], v[2:3], off offset:128
	s_waitcnt vmcnt(0)
	ds_write_b64 v50, v[2:3] offset:4224
.LBB38_25:                              ;   in Loop: Header=BB38_7 Depth=2
	s_andn2_saveexec_b64 s[12:13], s[12:13]
	s_cbranch_execz .LBB38_31
; %bb.26:                               ;   in Loop: Header=BB38_7 Depth=2
	s_xor_b64 s[14:15], vcc, -1
	s_and_saveexec_b64 s[16:17], s[14:15]
	s_xor_b64 s[14:15], exec, s[16:17]
; %bb.27:                               ;   in Loop: Header=BB38_7 Depth=2
	v_mov_b32_e32 v33, v32
	ds_write_b64 v50, v[32:33] offset:4224
; %bb.28:                               ;   in Loop: Header=BB38_7 Depth=2
	s_andn2_saveexec_b64 s[14:15], s[14:15]
; %bb.29:                               ;   in Loop: Header=BB38_7 Depth=2
	v_mov_b32_e32 v33, v53
	ds_write_b64 v50, v[32:33] offset:4224
; %bb.30:                               ;   in Loop: Header=BB38_7 Depth=2
	s_or_b64 exec, exec, s[14:15]
.LBB38_31:                              ;   in Loop: Header=BB38_7 Depth=2
	s_or_b64 exec, exec, s[12:13]
	v_mov_b32_e32 v2, s39
	v_add_co_u32_e32 v4, vcc, s38, v12
	v_addc_co_u32_e32 v5, vcc, v13, v2, vcc
	v_add_co_u32_e32 v2, vcc, v34, v28
	v_addc_co_u32_e32 v3, vcc, v35, v29, vcc
	v_cmp_gt_i64_e32 vcc, s[42:43], v[4:5]
	v_mov_b32_e32 v6, 0
	v_mov_b32_e32 v7, 0
	s_and_b64 s[14:15], s[8:9], vcc
	s_and_saveexec_b64 s[12:13], s[14:15]
	s_cbranch_execz .LBB38_33
; %bb.32:                               ;   in Loop: Header=BB38_7 Depth=2
	global_load_dwordx2 v[6:7], v[2:3], off offset:-128
.LBB38_33:                              ;   in Loop: Header=BB38_7 Depth=2
	s_or_b64 exec, exec, s[12:13]
	v_cmp_gt_i64_e64 s[12:13], s[48:49], v[4:5]
	s_waitcnt vmcnt(0)
	ds_write_b64 v52, v[6:7]
	s_and_b64 s[14:15], s[8:9], s[12:13]
	s_xor_b64 s[14:15], s[14:15], -1
	s_and_saveexec_b64 s[16:17], s[14:15]
	s_xor_b64 s[14:15], exec, s[16:17]
; %bb.34:                               ;   in Loop: Header=BB38_7 Depth=2
	v_mov_b32_e32 v33, v32
	ds_write_b64 v52, v[32:33] offset:128
                                        ; implicit-def: $vgpr2_vgpr3
; %bb.35:                               ;   in Loop: Header=BB38_7 Depth=2
	s_andn2_saveexec_b64 s[14:15], s[14:15]
	s_cbranch_execz .LBB38_37
; %bb.36:                               ;   in Loop: Header=BB38_7 Depth=2
	global_load_dwordx2 v[2:3], v[2:3], off
	s_waitcnt vmcnt(0)
	ds_write_b64 v52, v[2:3] offset:128
.LBB38_37:                              ;   in Loop: Header=BB38_7 Depth=2
	s_or_b64 exec, exec, s[14:15]
	v_add_co_u32_e64 v2, s[14:15], v36, v28
	v_mov_b32_e32 v4, 0
	v_addc_co_u32_e64 v3, s[14:15], v37, v29, s[14:15]
	v_mov_b32_e32 v5, 0
	s_and_b64 s[16:17], s[10:11], vcc
	s_and_saveexec_b64 s[14:15], s[16:17]
	s_cbranch_execz .LBB38_39
; %bb.38:                               ;   in Loop: Header=BB38_7 Depth=2
	global_load_dwordx2 v[4:5], v[2:3], off
.LBB38_39:                              ;   in Loop: Header=BB38_7 Depth=2
	s_or_b64 exec, exec, s[14:15]
	s_and_b64 s[12:13], s[10:11], s[12:13]
	s_xor_b64 s[12:13], s[12:13], -1
	s_waitcnt vmcnt(0)
	ds_write_b64 v52, v[4:5] offset:4096
	s_and_saveexec_b64 s[14:15], s[12:13]
	s_xor_b64 s[12:13], exec, s[14:15]
; %bb.40:                               ;   in Loop: Header=BB38_7 Depth=2
	v_mov_b32_e32 v33, v32
	ds_write_b64 v52, v[32:33] offset:4224
                                        ; implicit-def: $vgpr2_vgpr3
; %bb.41:                               ;   in Loop: Header=BB38_7 Depth=2
	s_andn2_saveexec_b64 s[12:13], s[12:13]
	s_cbranch_execz .LBB38_6
; %bb.42:                               ;   in Loop: Header=BB38_7 Depth=2
	global_load_dwordx2 v[2:3], v[2:3], off offset:128
	s_waitcnt vmcnt(0)
	ds_write_b64 v52, v[2:3] offset:4224
	s_branch .LBB38_6
.LBB38_43:                              ;   in Loop: Header=BB38_4 Depth=1
	v_mov_b32_e32 v48, 0
	v_mov_b32_e32 v46, 0
	;; [unrolled: 1-line block ×8, first 2 shown]
.LBB38_44:                              ;   in Loop: Header=BB38_4 Depth=1
	v_mul_lo_u32 v4, s45, v54
	v_mul_lo_u32 v5, s44, v55
	v_mad_u64_u32 v[2:3], s[8:9], s44, v54, 0
	v_cmp_gt_i32_e32 vcc, s30, v54
	v_add3_u32 v3, v3, v5, v4
	v_lshlrev_b64 v[2:3], 3, v[2:3]
	v_mov_b32_e32 v4, s51
	v_add_co_u32_e64 v2, s[8:9], s50, v2
	v_addc_co_u32_e64 v3, s[8:9], v4, v3, s[8:9]
	s_and_b64 s[8:9], s[4:5], vcc
	s_and_saveexec_b64 s[10:11], s[8:9]
	s_cbranch_execz .LBB38_46
; %bb.45:                               ;   in Loop: Header=BB38_4 Depth=1
	v_add_co_u32_e64 v4, s[8:9], v2, v28
	v_addc_co_u32_e64 v5, s[8:9], v3, v29, s[8:9]
	global_load_dwordx2 v[6:7], v[4:5], off
	s_waitcnt vmcnt(0)
	v_fma_f64 v[6:7], s[34:35], v[48:49], v[6:7]
	global_store_dwordx2 v[4:5], v[6:7], off
.LBB38_46:                              ;   in Loop: Header=BB38_4 Depth=1
	s_or_b64 exec, exec, s[10:11]
	s_and_b64 s[10:11], s[18:19], vcc
	s_and_saveexec_b64 s[8:9], s[10:11]
	s_cbranch_execz .LBB38_48
; %bb.47:                               ;   in Loop: Header=BB38_4 Depth=1
	buffer_load_dword v4, off, s[60:63], 0  ; 4-byte Folded Reload
	buffer_load_dword v5, off, s[60:63], 0 offset:4 ; 4-byte Folded Reload
	s_waitcnt vmcnt(0)
	v_lshlrev_b64 v[4:5], 3, v[4:5]
	v_add_co_u32_e32 v2, vcc, v2, v4
	v_addc_co_u32_e32 v3, vcc, v3, v5, vcc
	global_load_dwordx2 v[4:5], v[2:3], off
	s_waitcnt vmcnt(0)
	v_fma_f64 v[4:5], s[34:35], v[46:47], v[4:5]
	global_store_dwordx2 v[2:3], v[4:5], off
.LBB38_48:                              ;   in Loop: Header=BB38_4 Depth=1
	s_or_b64 exec, exec, s[8:9]
	v_add_u32_e32 v4, 16, v54
	v_ashrrev_i32_e32 v2, 31, v4
	v_mul_lo_u32 v5, s44, v2
	v_mul_lo_u32 v6, s45, v4
	v_mad_u64_u32 v[2:3], s[8:9], s44, v4, 0
	v_cmp_gt_i32_e32 vcc, s30, v4
	v_mov_b32_e32 v4, s51
	v_add3_u32 v3, v3, v5, v6
	v_lshlrev_b64 v[2:3], 3, v[2:3]
	v_add_co_u32_e64 v2, s[8:9], s50, v2
	v_addc_co_u32_e64 v3, s[8:9], v4, v3, s[8:9]
	s_and_b64 s[8:9], s[4:5], vcc
	s_and_saveexec_b64 s[10:11], s[8:9]
	s_cbranch_execz .LBB38_50
; %bb.49:                               ;   in Loop: Header=BB38_4 Depth=1
	v_add_co_u32_e64 v4, s[8:9], v2, v28
	v_addc_co_u32_e64 v5, s[8:9], v3, v29, s[8:9]
	global_load_dwordx2 v[6:7], v[4:5], off
	s_waitcnt vmcnt(0)
	v_fma_f64 v[6:7], s[34:35], v[44:45], v[6:7]
	global_store_dwordx2 v[4:5], v[6:7], off
.LBB38_50:                              ;   in Loop: Header=BB38_4 Depth=1
	s_or_b64 exec, exec, s[10:11]
	s_and_b64 s[10:11], s[18:19], vcc
	s_and_saveexec_b64 s[8:9], s[10:11]
	s_cbranch_execz .LBB38_3
; %bb.51:                               ;   in Loop: Header=BB38_4 Depth=1
	buffer_load_dword v4, off, s[60:63], 0  ; 4-byte Folded Reload
	buffer_load_dword v5, off, s[60:63], 0 offset:4 ; 4-byte Folded Reload
	s_waitcnt vmcnt(0)
	v_lshlrev_b64 v[4:5], 3, v[4:5]
	v_add_co_u32_e32 v2, vcc, v2, v4
	v_addc_co_u32_e32 v3, vcc, v3, v5, vcc
	global_load_dwordx2 v[4:5], v[2:3], off
	s_waitcnt vmcnt(0)
	v_fma_f64 v[4:5], s[34:35], v[42:43], v[4:5]
	global_store_dwordx2 v[2:3], v[4:5], off
	s_branch .LBB38_3
.LBB38_52:
	s_endpgm
	.section	.rodata,"a",@progbits
	.p2align	6, 0x0
	.amdhsa_kernel _ZL30rocblas_trmm_outofplace_kernelIdLi32ELi2ELb1ELb1ELb0ELb0EPKdS0_dEv17rocblas_diagonal_iiT6_lPT7_lllS5_lllPT8_llli
		.amdhsa_group_segment_fixed_size 16384
		.amdhsa_private_segment_fixed_size 28
		.amdhsa_kernarg_size 392
		.amdhsa_user_sgpr_count 6
		.amdhsa_user_sgpr_private_segment_buffer 1
		.amdhsa_user_sgpr_dispatch_ptr 0
		.amdhsa_user_sgpr_queue_ptr 0
		.amdhsa_user_sgpr_kernarg_segment_ptr 1
		.amdhsa_user_sgpr_dispatch_id 0
		.amdhsa_user_sgpr_flat_scratch_init 0
		.amdhsa_user_sgpr_private_segment_size 0
		.amdhsa_uses_dynamic_stack 0
		.amdhsa_system_sgpr_private_segment_wavefront_offset 1
		.amdhsa_system_sgpr_workgroup_id_x 1
		.amdhsa_system_sgpr_workgroup_id_y 1
		.amdhsa_system_sgpr_workgroup_id_z 1
		.amdhsa_system_sgpr_workgroup_info 0
		.amdhsa_system_vgpr_workitem_id 1
		.amdhsa_next_free_vgpr 64
		.amdhsa_next_free_sgpr 64
		.amdhsa_reserve_vcc 1
		.amdhsa_reserve_flat_scratch 0
		.amdhsa_float_round_mode_32 0
		.amdhsa_float_round_mode_16_64 0
		.amdhsa_float_denorm_mode_32 3
		.amdhsa_float_denorm_mode_16_64 3
		.amdhsa_dx10_clamp 1
		.amdhsa_ieee_mode 1
		.amdhsa_fp16_overflow 0
		.amdhsa_exception_fp_ieee_invalid_op 0
		.amdhsa_exception_fp_denorm_src 0
		.amdhsa_exception_fp_ieee_div_zero 0
		.amdhsa_exception_fp_ieee_overflow 0
		.amdhsa_exception_fp_ieee_underflow 0
		.amdhsa_exception_fp_ieee_inexact 0
		.amdhsa_exception_int_div_zero 0
	.end_amdhsa_kernel
	.section	.text._ZL30rocblas_trmm_outofplace_kernelIdLi32ELi2ELb1ELb1ELb0ELb0EPKdS0_dEv17rocblas_diagonal_iiT6_lPT7_lllS5_lllPT8_llli,"axG",@progbits,_ZL30rocblas_trmm_outofplace_kernelIdLi32ELi2ELb1ELb1ELb0ELb0EPKdS0_dEv17rocblas_diagonal_iiT6_lPT7_lllS5_lllPT8_llli,comdat
.Lfunc_end38:
	.size	_ZL30rocblas_trmm_outofplace_kernelIdLi32ELi2ELb1ELb1ELb0ELb0EPKdS0_dEv17rocblas_diagonal_iiT6_lPT7_lllS5_lllPT8_llli, .Lfunc_end38-_ZL30rocblas_trmm_outofplace_kernelIdLi32ELi2ELb1ELb1ELb0ELb0EPKdS0_dEv17rocblas_diagonal_iiT6_lPT7_lllS5_lllPT8_llli
                                        ; -- End function
	.set _ZL30rocblas_trmm_outofplace_kernelIdLi32ELi2ELb1ELb1ELb0ELb0EPKdS0_dEv17rocblas_diagonal_iiT6_lPT7_lllS5_lllPT8_llli.num_vgpr, 64
	.set _ZL30rocblas_trmm_outofplace_kernelIdLi32ELi2ELb1ELb1ELb0ELb0EPKdS0_dEv17rocblas_diagonal_iiT6_lPT7_lllS5_lllPT8_llli.num_agpr, 0
	.set _ZL30rocblas_trmm_outofplace_kernelIdLi32ELi2ELb1ELb1ELb0ELb0EPKdS0_dEv17rocblas_diagonal_iiT6_lPT7_lllS5_lllPT8_llli.numbered_sgpr, 64
	.set _ZL30rocblas_trmm_outofplace_kernelIdLi32ELi2ELb1ELb1ELb0ELb0EPKdS0_dEv17rocblas_diagonal_iiT6_lPT7_lllS5_lllPT8_llli.num_named_barrier, 0
	.set _ZL30rocblas_trmm_outofplace_kernelIdLi32ELi2ELb1ELb1ELb0ELb0EPKdS0_dEv17rocblas_diagonal_iiT6_lPT7_lllS5_lllPT8_llli.private_seg_size, 28
	.set _ZL30rocblas_trmm_outofplace_kernelIdLi32ELi2ELb1ELb1ELb0ELb0EPKdS0_dEv17rocblas_diagonal_iiT6_lPT7_lllS5_lllPT8_llli.uses_vcc, 1
	.set _ZL30rocblas_trmm_outofplace_kernelIdLi32ELi2ELb1ELb1ELb0ELb0EPKdS0_dEv17rocblas_diagonal_iiT6_lPT7_lllS5_lllPT8_llli.uses_flat_scratch, 0
	.set _ZL30rocblas_trmm_outofplace_kernelIdLi32ELi2ELb1ELb1ELb0ELb0EPKdS0_dEv17rocblas_diagonal_iiT6_lPT7_lllS5_lllPT8_llli.has_dyn_sized_stack, 0
	.set _ZL30rocblas_trmm_outofplace_kernelIdLi32ELi2ELb1ELb1ELb0ELb0EPKdS0_dEv17rocblas_diagonal_iiT6_lPT7_lllS5_lllPT8_llli.has_recursion, 0
	.set _ZL30rocblas_trmm_outofplace_kernelIdLi32ELi2ELb1ELb1ELb0ELb0EPKdS0_dEv17rocblas_diagonal_iiT6_lPT7_lllS5_lllPT8_llli.has_indirect_call, 0
	.section	.AMDGPU.csdata,"",@progbits
; Kernel info:
; codeLenInByte = 3936
; TotalNumSgprs: 68
; NumVgprs: 64
; ScratchSize: 28
; MemoryBound: 0
; FloatMode: 240
; IeeeMode: 1
; LDSByteSize: 16384 bytes/workgroup (compile time only)
; SGPRBlocks: 8
; VGPRBlocks: 15
; NumSGPRsForWavesPerEU: 68
; NumVGPRsForWavesPerEU: 64
; Occupancy: 4
; WaveLimiterHint : 0
; COMPUTE_PGM_RSRC2:SCRATCH_EN: 1
; COMPUTE_PGM_RSRC2:USER_SGPR: 6
; COMPUTE_PGM_RSRC2:TRAP_HANDLER: 0
; COMPUTE_PGM_RSRC2:TGID_X_EN: 1
; COMPUTE_PGM_RSRC2:TGID_Y_EN: 1
; COMPUTE_PGM_RSRC2:TGID_Z_EN: 1
; COMPUTE_PGM_RSRC2:TIDIG_COMP_CNT: 1
	.section	.text._ZL30rocblas_trmm_outofplace_kernelIdLi32ELi2ELb1ELb1ELb0ELb0EdKddEv17rocblas_diagonal_iiT6_lPT7_lllS4_lllPT8_llli,"axG",@progbits,_ZL30rocblas_trmm_outofplace_kernelIdLi32ELi2ELb1ELb1ELb0ELb0EdKddEv17rocblas_diagonal_iiT6_lPT7_lllS4_lllPT8_llli,comdat
	.globl	_ZL30rocblas_trmm_outofplace_kernelIdLi32ELi2ELb1ELb1ELb0ELb0EdKddEv17rocblas_diagonal_iiT6_lPT7_lllS4_lllPT8_llli ; -- Begin function _ZL30rocblas_trmm_outofplace_kernelIdLi32ELi2ELb1ELb1ELb0ELb0EdKddEv17rocblas_diagonal_iiT6_lPT7_lllS4_lllPT8_llli
	.p2align	8
	.type	_ZL30rocblas_trmm_outofplace_kernelIdLi32ELi2ELb1ELb1ELb0ELb0EdKddEv17rocblas_diagonal_iiT6_lPT7_lllS4_lllPT8_llli,@function
_ZL30rocblas_trmm_outofplace_kernelIdLi32ELi2ELb1ELb1ELb0ELb0EdKddEv17rocblas_diagonal_iiT6_lPT7_lllS4_lllPT8_llli: ; @_ZL30rocblas_trmm_outofplace_kernelIdLi32ELi2ELb1ELb1ELb0ELb0EdKddEv17rocblas_diagonal_iiT6_lPT7_lllS4_lllPT8_llli
; %bb.0:
	s_load_dwordx2 s[34:35], s[4:5], 0x10
	s_mov_b64 s[62:63], s[2:3]
	s_mov_b64 s[60:61], s[0:1]
	s_add_u32 s60, s60, s9
	s_addc_u32 s61, s61, 0
	s_waitcnt lgkmcnt(0)
	v_cmp_eq_f64_e64 s[0:1], s[34:35], 0
	s_and_b64 vcc, exec, s[0:1]
	s_cbranch_vccnz .LBB39_52
; %bb.1:
	s_load_dwordx4 s[28:31], s[4:5], 0x0
	s_waitcnt lgkmcnt(0)
	s_add_i32 s0, s30, -1
	s_ashr_i32 s1, s0, 31
	s_lshr_b32 s1, s1, 27
	s_add_i32 s0, s0, s1
	s_ashr_i32 s31, s0, 5
	s_cmp_gt_i32 s7, s31
	s_cbranch_scc1 .LBB39_52
; %bb.2:
	s_load_dwordx16 s[12:27], s[4:5], 0x20
	s_load_dwordx8 s[36:43], s[4:5], 0x60
	v_lshl_add_u32 v30, s7, 5, v1
	s_movk_i32 s54, 0x100
	v_mov_b32_e32 v53, 0x3ff00000
	s_waitcnt lgkmcnt(0)
	s_mul_i32 s1, s19, s8
	s_mul_hi_u32 s2, s18, s8
	s_mul_i32 s0, s18, s8
	s_add_i32 s1, s2, s1
	s_lshl_b64 s[10:11], s[0:1], 3
	s_add_u32 s0, s12, s10
	s_addc_u32 s1, s13, s11
	s_lshl_b64 s[14:15], s[14:15], 3
	s_add_u32 s2, s0, s14
	s_addc_u32 s3, s1, s15
	s_mul_i32 s0, s43, s8
	s_mul_hi_u32 s1, s42, s8
	s_add_i32 s1, s1, s0
	s_mul_i32 s0, s42, s8
	s_lshl_b64 s[0:1], s[0:1], 3
	s_add_u32 s9, s36, s0
	s_addc_u32 s18, s37, s1
	s_lshl_b64 s[0:1], s[38:39], 3
	s_add_u32 s33, s9, s0
	s_addc_u32 s50, s18, s1
	s_lshl_b32 s6, s6, 5
	v_add_u32_e32 v10, s6, v1
	v_ashrrev_i32_e32 v11, 31, v10
	v_mul_lo_u32 v4, s16, v11
	v_mul_lo_u32 v5, s17, v10
	v_mad_u64_u32 v[2:3], s[0:1], s16, v10, 0
	v_add_u32_e32 v12, s6, v0
	v_ashrrev_i32_e32 v13, 31, v12
	v_add3_u32 v3, v3, v4, v5
	v_lshlrev_b64 v[2:3], 3, v[2:3]
	v_mov_b32_e32 v4, s3
	v_add_co_u32_e32 v2, vcc, s2, v2
	v_addc_co_u32_e32 v3, vcc, v4, v3, vcc
	buffer_store_dword v2, off, s[60:63], 0 offset:8 ; 4-byte Folded Spill
	s_nop 0
	buffer_store_dword v3, off, s[60:63], 0 offset:12 ; 4-byte Folded Spill
	s_sub_i32 s6, s29, s6
	v_lshlrev_b32_e32 v2, 8, v1
	v_lshlrev_b32_e32 v0, 3, v0
	v_add_co_u32_e32 v24, vcc, 16, v12
	s_cmp_gt_i32 s6, 0
	v_add_u32_e32 v50, v0, v2
	v_add_u32_e32 v51, 0x2000, v2
	v_addc_co_u32_e32 v25, vcc, 0, v13, vcc
	v_add_u32_e32 v2, 16, v12
	s_cselect_b64 s[36:37], -1, 0
	s_cmpk_eq_i32 s28, 0x84
	v_ashrrev_i32_e32 v3, 31, v2
	v_sub_co_u32_e32 v20, vcc, v12, v10
	s_cselect_b64 s[38:39], -1, 0
	s_ashr_i32 s43, s29, 31
	s_ashr_i32 s51, s30, 31
	s_lshl_b64 s[44:45], s[16:17], 8
	s_load_dword s52, s[4:5], 0x8c
	v_cmp_gt_i32_e64 s[18:19], s29, v2
	buffer_store_dword v2, off, s[60:63], 0 ; 4-byte Folded Spill
	s_nop 0
	buffer_store_dword v3, off, s[60:63], 0 offset:4 ; 4-byte Folded Spill
	v_subb_co_u32_e32 v21, vcc, v13, v11, vcc
	s_add_u32 s46, s29, -16
	v_add_co_u32_e32 v22, vcc, 16, v20
	v_lshlrev_b64 v[2:3], 3, v[10:11]
	s_addc_u32 s47, s43, -1
	v_addc_co_u32_e32 v23, vcc, 0, v21, vcc
	s_movk_i32 s9, 0x80
	v_add_co_u32_e32 v4, vcc, s9, v2
	s_add_u32 s9, s12, s14
	s_addc_u32 s12, s13, s15
	s_add_u32 s10, s9, s10
	v_addc_co_u32_e32 v5, vcc, 0, v3, vcc
	s_addc_u32 s11, s12, s11
	v_mov_b32_e32 v2, s10
	v_mov_b32_e32 v3, s11
	v_mad_u64_u32 v[6:7], s[10:11], s16, v4, v[2:3]
	s_mul_i32 s9, s27, s8
	s_mul_hi_u32 s10, s26, s8
	s_add_i32 s9, s10, s9
	s_mul_i32 s8, s26, s8
	s_lshl_b64 s[8:9], s[8:9], 3
	s_lshl_b64 s[10:11], s[22:23], 3
	s_add_u32 s8, s8, s10
	v_mul_lo_u32 v2, s16, v5
	v_mul_lo_u32 v3, s17, v4
	s_addc_u32 s9, s9, s11
	s_add_u32 s22, s20, s8
	s_mov_b32 s42, s29
	s_addc_u32 s23, s21, s9
	v_cmp_le_i64_e64 s[2:3], s[42:43], v[24:25]
	v_add_co_u32_e32 v26, vcc, -16, v20
	v_lshlrev_b64 v[28:29], 3, v[12:13]
	s_add_u32 s26, s22, 0x80
	v_add_u32_e32 v52, v51, v0
	v_cmp_le_i32_e64 s[0:1], s29, v12
	v_cmp_gt_i32_e64 s[4:5], s29, v12
	v_addc_co_u32_e32 v27, vcc, -1, v21, vcc
	v_add3_u32 v7, v3, v7, v2
	s_addc_u32 s27, s23, 0
	s_lshl_b64 s[28:29], s[24:25], 3
	s_waitcnt lgkmcnt(0)
	s_lshl_b32 s53, s52, 5
	v_mov_b32_e32 v32, 0
	buffer_store_dword v6, off, s[60:63], 0 offset:16 ; 4-byte Folded Spill
	s_nop 0
	buffer_store_dword v7, off, s[60:63], 0 offset:20 ; 4-byte Folded Spill
	s_branch .LBB39_4
.LBB39_3:                               ;   in Loop: Header=BB39_4 Depth=1
	s_or_b64 exec, exec, s[8:9]
	s_add_i32 s7, s52, s7
	s_cmp_le_i32 s7, s31
	v_add_u32_e32 v30, s53, v30
	s_cbranch_scc0 .LBB39_52
.LBB39_4:                               ; =>This Loop Header: Depth=1
                                        ;     Child Loop BB39_7 Depth 2
	v_lshl_add_u32 v54, s7, 5, v1
	s_andn2_b64 vcc, exec, s[36:37]
	v_ashrrev_i32_e32 v55, 31, v54
	s_cbranch_vccnz .LBB39_43
; %bb.5:                                ;   in Loop: Header=BB39_4 Depth=1
	buffer_load_dword v38, off, s[60:63], 0 offset:8 ; 4-byte Folded Reload
	buffer_load_dword v39, off, s[60:63], 0 offset:12 ; 4-byte Folded Reload
	;; [unrolled: 1-line block ×4, first 2 shown]
	v_mov_b32_e32 v2, s26
	v_ashrrev_i32_e32 v31, 31, v30
	v_mov_b32_e32 v3, s27
	v_mad_u64_u32 v[34:35], s[8:9], s28, v30, v[2:3]
	v_lshlrev_b64 v[2:3], 3, v[30:31]
	v_mul_lo_u32 v4, s29, v30
	v_add_co_u32_e32 v6, vcc, 0x80, v2
	v_addc_co_u32_e32 v2, vcc, 0, v3, vcc
	v_mul_lo_u32 v7, s24, v2
	v_mov_b32_e32 v2, s22
	v_mov_b32_e32 v3, s23
	v_mul_lo_u32 v5, s28, v31
	v_mul_lo_u32 v8, s25, v6
	v_mad_u64_u32 v[36:37], s[8:9], s24, v6, v[2:3]
	v_mov_b32_e32 v3, s51
	v_sub_co_u32_e32 v2, vcc, s30, v54
	v_subb_co_u32_e32 v3, vcc, v3, v55, vcc
	v_cmp_lt_i64_e64 s[8:9], 0, v[2:3]
	v_cmp_lt_i64_e64 s[10:11], 16, v[2:3]
	v_mov_b32_e32 v42, 0
	v_mov_b32_e32 v44, 0
	;; [unrolled: 1-line block ×4, first 2 shown]
	v_add3_u32 v35, v4, v35, v5
	v_add3_u32 v37, v8, v37, v7
	s_mov_b64 s[48:49], 0
	v_mov_b32_e32 v43, 0
	v_mov_b32_e32 v45, 0
	;; [unrolled: 1-line block ×4, first 2 shown]
	s_branch .LBB39_7
.LBB39_6:                               ;   in Loop: Header=BB39_7 Depth=2
	s_or_b64 exec, exec, s[12:13]
	s_waitcnt lgkmcnt(0)
	s_barrier
	ds_read_b128 v[56:59], v51
	ds_read_b128 v[60:63], v51 offset:16
	ds_read_b128 v[6:9], v51 offset:32
	;; [unrolled: 1-line block ×3, first 2 shown]
	ds_read2_b64 v[14:17], v0 offset1:16
	v_add_co_u32_e32 v40, vcc, s44, v40
	s_add_u32 s48, s48, 32
	s_addc_u32 s49, s49, 0
	s_waitcnt lgkmcnt(0)
	v_fma_f64 v[18:19], v[14:15], v[56:57], v[48:49]
	v_fma_f64 v[56:57], v[16:17], v[56:57], v[46:47]
	ds_read_b128 v[46:49], v51 offset:4096
	s_cmp_ge_i32 s48, s6
	s_waitcnt lgkmcnt(0)
	v_fma_f64 v[44:45], v[14:15], v[46:47], v[44:45]
	v_fma_f64 v[42:43], v[16:17], v[46:47], v[42:43]
	ds_read2_b64 v[14:17], v0 offset0:32 offset1:48
	s_waitcnt lgkmcnt(0)
	v_fma_f64 v[18:19], v[14:15], v[58:59], v[18:19]
	v_fma_f64 v[46:47], v[16:17], v[58:59], v[56:57]
	v_fma_f64 v[56:57], v[14:15], v[48:49], v[44:45]
	v_fma_f64 v[48:49], v[16:17], v[48:49], v[42:43]
	ds_read2_b64 v[14:17], v0 offset0:64 offset1:80
	ds_read_b128 v[42:45], v51 offset:4112
	s_waitcnt lgkmcnt(1)
	v_fma_f64 v[18:19], v[14:15], v[60:61], v[18:19]
	v_fma_f64 v[46:47], v[16:17], v[60:61], v[46:47]
	s_waitcnt lgkmcnt(0)
	v_fma_f64 v[56:57], v[14:15], v[42:43], v[56:57]
	v_fma_f64 v[42:43], v[16:17], v[42:43], v[48:49]
	ds_read2_b64 v[14:17], v0 offset0:96 offset1:112
	s_waitcnt lgkmcnt(0)
	v_fma_f64 v[18:19], v[14:15], v[62:63], v[18:19]
	v_fma_f64 v[46:47], v[16:17], v[62:63], v[46:47]
	v_fma_f64 v[48:49], v[14:15], v[44:45], v[56:57]
	v_fma_f64 v[56:57], v[16:17], v[44:45], v[42:43]
	ds_read2_b64 v[14:17], v0 offset0:128 offset1:144
	ds_read_b128 v[42:45], v51 offset:4128
	s_waitcnt lgkmcnt(1)
	v_fma_f64 v[18:19], v[14:15], v[6:7], v[18:19]
	v_fma_f64 v[6:7], v[16:17], v[6:7], v[46:47]
	;; [unrolled: 14-line block ×3, first 2 shown]
	s_waitcnt lgkmcnt(0)
	v_fma_f64 v[44:45], v[6:7], v[14:15], v[46:47]
	v_fma_f64 v[14:15], v[8:9], v[14:15], v[42:43]
	ds_read2_b64 v[6:9], v0 offset0:224 offset1:240
	s_waitcnt lgkmcnt(0)
	v_fma_f64 v[18:19], v[6:7], v[4:5], v[18:19]
	v_fma_f64 v[42:43], v[8:9], v[4:5], v[2:3]
	v_add_u32_e32 v2, 0x800, v0
	v_fma_f64 v[46:47], v[6:7], v[16:17], v[44:45]
	v_fma_f64 v[7:8], v[8:9], v[16:17], v[14:15]
	ds_read_b128 v[3:6], v51 offset:64
	ds_read2_b64 v[14:17], v2 offset1:16
	s_waitcnt lgkmcnt(0)
	v_fma_f64 v[18:19], v[14:15], v[3:4], v[18:19]
	v_fma_f64 v[3:4], v[16:17], v[3:4], v[42:43]
	ds_read_b128 v[42:45], v51 offset:4160
	s_waitcnt lgkmcnt(0)
	v_fma_f64 v[46:47], v[14:15], v[42:43], v[46:47]
	v_fma_f64 v[7:8], v[16:17], v[42:43], v[7:8]
	ds_read2_b64 v[14:17], v2 offset0:32 offset1:48
	s_waitcnt lgkmcnt(0)
	v_fma_f64 v[18:19], v[14:15], v[5:6], v[18:19]
	v_fma_f64 v[42:43], v[16:17], v[5:6], v[3:4]
	v_fma_f64 v[46:47], v[14:15], v[44:45], v[46:47]
	v_fma_f64 v[7:8], v[16:17], v[44:45], v[7:8]
	ds_read_b128 v[3:6], v51 offset:80
	ds_read2_b64 v[14:17], v2 offset0:64 offset1:80
	s_waitcnt lgkmcnt(0)
	v_fma_f64 v[18:19], v[14:15], v[3:4], v[18:19]
	v_fma_f64 v[3:4], v[16:17], v[3:4], v[42:43]
	ds_read_b128 v[42:45], v51 offset:4176
	s_waitcnt lgkmcnt(0)
	v_fma_f64 v[46:47], v[14:15], v[42:43], v[46:47]
	v_fma_f64 v[7:8], v[16:17], v[42:43], v[7:8]
	ds_read2_b64 v[14:17], v2 offset0:96 offset1:112
	s_waitcnt lgkmcnt(0)
	v_fma_f64 v[18:19], v[14:15], v[5:6], v[18:19]
	v_fma_f64 v[42:43], v[16:17], v[5:6], v[3:4]
	v_fma_f64 v[46:47], v[14:15], v[44:45], v[46:47]
	v_fma_f64 v[7:8], v[16:17], v[44:45], v[7:8]
	ds_read_b128 v[3:6], v51 offset:96
	ds_read2_b64 v[14:17], v2 offset0:128 offset1:144
	;; [unrolled: 15-line block ×3, first 2 shown]
	s_waitcnt lgkmcnt(0)
	v_fma_f64 v[18:19], v[14:15], v[3:4], v[18:19]
	v_fma_f64 v[3:4], v[16:17], v[3:4], v[42:43]
	ds_read_b128 v[42:45], v51 offset:4208
	s_waitcnt lgkmcnt(0)
	v_fma_f64 v[46:47], v[14:15], v[42:43], v[46:47]
	v_fma_f64 v[7:8], v[16:17], v[42:43], v[7:8]
	ds_read2_b64 v[14:17], v2 offset0:224 offset1:240
	v_add_u32_e32 v2, 0x1000, v0
	s_waitcnt lgkmcnt(0)
	v_fma_f64 v[18:19], v[14:15], v[5:6], v[18:19]
	v_fma_f64 v[42:43], v[16:17], v[5:6], v[3:4]
	;; [unrolled: 1-line block ×4, first 2 shown]
	ds_read_b128 v[3:6], v51 offset:128
	ds_read2_b64 v[14:17], v2 offset1:16
	s_waitcnt lgkmcnt(0)
	v_fma_f64 v[18:19], v[14:15], v[3:4], v[18:19]
	v_fma_f64 v[3:4], v[16:17], v[3:4], v[42:43]
	ds_read_b128 v[42:45], v51 offset:4224
	s_waitcnt lgkmcnt(0)
	v_fma_f64 v[46:47], v[14:15], v[42:43], v[46:47]
	v_fma_f64 v[7:8], v[16:17], v[42:43], v[7:8]
	ds_read2_b64 v[14:17], v2 offset0:32 offset1:48
	s_waitcnt lgkmcnt(0)
	v_fma_f64 v[18:19], v[14:15], v[5:6], v[18:19]
	v_fma_f64 v[42:43], v[16:17], v[5:6], v[3:4]
	v_fma_f64 v[46:47], v[14:15], v[44:45], v[46:47]
	v_fma_f64 v[7:8], v[16:17], v[44:45], v[7:8]
	ds_read_b128 v[3:6], v51 offset:144
	ds_read2_b64 v[14:17], v2 offset0:64 offset1:80
	s_waitcnt lgkmcnt(0)
	v_fma_f64 v[18:19], v[14:15], v[3:4], v[18:19]
	v_fma_f64 v[3:4], v[16:17], v[3:4], v[42:43]
	ds_read_b128 v[42:45], v51 offset:4240
	s_waitcnt lgkmcnt(0)
	v_fma_f64 v[46:47], v[14:15], v[42:43], v[46:47]
	v_fma_f64 v[7:8], v[16:17], v[42:43], v[7:8]
	ds_read2_b64 v[14:17], v2 offset0:96 offset1:112
	s_waitcnt lgkmcnt(0)
	v_fma_f64 v[18:19], v[14:15], v[5:6], v[18:19]
	v_fma_f64 v[42:43], v[16:17], v[5:6], v[3:4]
	v_fma_f64 v[46:47], v[14:15], v[44:45], v[46:47]
	v_fma_f64 v[7:8], v[16:17], v[44:45], v[7:8]
	ds_read_b128 v[3:6], v51 offset:160
	ds_read2_b64 v[14:17], v2 offset0:128 offset1:144
	;; [unrolled: 15-line block ×3, first 2 shown]
	s_waitcnt lgkmcnt(0)
	v_fma_f64 v[18:19], v[14:15], v[3:4], v[18:19]
	v_fma_f64 v[3:4], v[16:17], v[3:4], v[42:43]
	ds_read_b128 v[42:45], v51 offset:4272
	s_waitcnt lgkmcnt(0)
	v_fma_f64 v[46:47], v[14:15], v[42:43], v[46:47]
	v_fma_f64 v[7:8], v[16:17], v[42:43], v[7:8]
	ds_read2_b64 v[14:17], v2 offset0:224 offset1:240
	v_add_u32_e32 v2, 0x1800, v0
	s_waitcnt lgkmcnt(0)
	v_fma_f64 v[18:19], v[14:15], v[5:6], v[18:19]
	v_fma_f64 v[42:43], v[16:17], v[5:6], v[3:4]
	;; [unrolled: 1-line block ×4, first 2 shown]
	ds_read_b128 v[3:6], v51 offset:192
	ds_read2_b64 v[14:17], v2 offset1:16
	s_waitcnt lgkmcnt(0)
	v_fma_f64 v[18:19], v[14:15], v[3:4], v[18:19]
	v_fma_f64 v[3:4], v[16:17], v[3:4], v[42:43]
	ds_read_b128 v[42:45], v51 offset:4288
	s_waitcnt lgkmcnt(0)
	v_fma_f64 v[46:47], v[14:15], v[42:43], v[46:47]
	v_fma_f64 v[7:8], v[16:17], v[42:43], v[7:8]
	ds_read2_b64 v[14:17], v2 offset0:32 offset1:48
	s_waitcnt lgkmcnt(0)
	v_fma_f64 v[18:19], v[14:15], v[5:6], v[18:19]
	v_fma_f64 v[42:43], v[16:17], v[5:6], v[3:4]
	v_fma_f64 v[46:47], v[14:15], v[44:45], v[46:47]
	v_fma_f64 v[7:8], v[16:17], v[44:45], v[7:8]
	ds_read_b128 v[3:6], v51 offset:208
	ds_read2_b64 v[14:17], v2 offset0:64 offset1:80
	s_waitcnt lgkmcnt(0)
	v_fma_f64 v[18:19], v[14:15], v[3:4], v[18:19]
	v_fma_f64 v[3:4], v[16:17], v[3:4], v[42:43]
	ds_read_b128 v[42:45], v51 offset:4304
	s_waitcnt lgkmcnt(0)
	v_fma_f64 v[46:47], v[14:15], v[42:43], v[46:47]
	v_fma_f64 v[7:8], v[16:17], v[42:43], v[7:8]
	ds_read2_b64 v[14:17], v2 offset0:96 offset1:112
	s_waitcnt lgkmcnt(0)
	v_fma_f64 v[18:19], v[14:15], v[5:6], v[18:19]
	v_fma_f64 v[42:43], v[16:17], v[5:6], v[3:4]
	v_fma_f64 v[46:47], v[14:15], v[44:45], v[46:47]
	v_fma_f64 v[7:8], v[16:17], v[44:45], v[7:8]
	ds_read_b128 v[3:6], v51 offset:224
	ds_read2_b64 v[14:17], v2 offset0:128 offset1:144
	s_waitcnt lgkmcnt(0)
	v_fma_f64 v[18:19], v[14:15], v[3:4], v[18:19]
	v_fma_f64 v[3:4], v[16:17], v[3:4], v[42:43]
	ds_read_b128 v[42:45], v51 offset:4320
	s_waitcnt lgkmcnt(0)
	v_fma_f64 v[46:47], v[14:15], v[42:43], v[46:47]
	v_fma_f64 v[7:8], v[16:17], v[42:43], v[7:8]
	ds_read2_b64 v[14:17], v2 offset0:160 offset1:176
	s_waitcnt lgkmcnt(0)
	v_fma_f64 v[18:19], v[14:15], v[5:6], v[18:19]
	v_fma_f64 v[42:43], v[16:17], v[5:6], v[3:4]
	v_fma_f64 v[46:47], v[14:15], v[44:45], v[46:47]
	v_fma_f64 v[7:8], v[16:17], v[44:45], v[7:8]
	ds_read_b128 v[3:6], v51 offset:240
	ds_read2_b64 v[14:17], v2 offset0:192 offset1:208
	ds_read_b128 v[56:59], v51 offset:4336
	s_waitcnt lgkmcnt(1)
	v_fma_f64 v[18:19], v[14:15], v[3:4], v[18:19]
	v_fma_f64 v[3:4], v[16:17], v[3:4], v[42:43]
	s_waitcnt lgkmcnt(0)
	v_fma_f64 v[42:43], v[14:15], v[56:57], v[46:47]
	v_fma_f64 v[7:8], v[16:17], v[56:57], v[7:8]
	ds_read2_b64 v[14:17], v2 offset0:224 offset1:240
	v_mov_b32_e32 v2, s45
	v_addc_co_u32_e32 v41, vcc, v41, v2, vcc
	v_add_co_u32_e32 v34, vcc, s54, v34
	s_waitcnt lgkmcnt(0)
	v_fma_f64 v[48:49], v[14:15], v[5:6], v[18:19]
	v_fma_f64 v[46:47], v[16:17], v[5:6], v[3:4]
	;; [unrolled: 1-line block ×4, first 2 shown]
	v_addc_co_u32_e32 v35, vcc, 0, v35, vcc
	v_add_co_u32_e32 v38, vcc, s44, v38
	v_addc_co_u32_e32 v39, vcc, v39, v2, vcc
	v_add_co_u32_e32 v36, vcc, 0x100, v36
	v_addc_co_u32_e32 v37, vcc, 0, v37, vcc
	s_barrier
	s_cbranch_scc1 .LBB39_44
.LBB39_7:                               ;   Parent Loop BB39_4 Depth=1
                                        ; =>  This Inner Loop Header: Depth=2
	v_mov_b32_e32 v3, s49
	v_add_co_u32_e32 v2, vcc, s48, v10
	v_addc_co_u32_e32 v3, vcc, v11, v3, vcc
	s_waitcnt vmcnt(3)
	v_add_co_u32_e32 v4, vcc, v38, v28
	s_waitcnt vmcnt(2)
	v_addc_co_u32_e32 v5, vcc, v39, v29, vcc
	v_cmp_le_i64_e64 s[14:15], s[42:43], v[2:3]
	v_cmp_eq_u64_e32 vcc, s[48:49], v[20:21]
	v_cmp_lt_i64_e64 s[12:13], v[2:3], v[12:13]
	s_and_b64 vcc, s[38:39], vcc
	s_or_b64 s[16:17], s[14:15], s[12:13]
	s_or_b64 s[16:17], s[16:17], vcc
	s_nor_b64 s[16:17], s[0:1], s[16:17]
                                        ; implicit-def: $vgpr6_vgpr7
	s_and_saveexec_b64 s[20:21], s[16:17]
	s_xor_b64 s[16:17], exec, s[20:21]
	s_cbranch_execz .LBB39_9
; %bb.8:                                ;   in Loop: Header=BB39_7 Depth=2
	global_load_dwordx2 v[6:7], v[4:5], off
.LBB39_9:                               ;   in Loop: Header=BB39_7 Depth=2
	s_andn2_saveexec_b64 s[16:17], s[16:17]
	s_cbranch_execz .LBB39_11
; %bb.10:                               ;   in Loop: Header=BB39_7 Depth=2
	v_cndmask_b32_e32 v33, 0, v53, vcc
	s_waitcnt vmcnt(0)
	v_mov_b32_e32 v6, v32
	v_mov_b32_e32 v7, v33
.LBB39_11:                              ;   in Loop: Header=BB39_7 Depth=2
	s_or_b64 exec, exec, s[16:17]
	v_cmp_eq_u64_e64 s[16:17], s[48:49], v[22:23]
	v_cmp_gt_i64_e64 s[20:21], v[24:25], v[2:3]
	s_and_b64 s[16:17], s[38:39], s[16:17]
	s_or_b64 s[14:15], s[14:15], s[20:21]
	s_or_b64 s[14:15], s[14:15], s[16:17]
	s_nor_b64 s[14:15], s[2:3], s[14:15]
	s_waitcnt vmcnt(0)
	ds_write_b64 v50, v[6:7]
	s_and_saveexec_b64 s[20:21], s[14:15]
	s_xor_b64 s[14:15], exec, s[20:21]
	s_cbranch_execz .LBB39_13
; %bb.12:                               ;   in Loop: Header=BB39_7 Depth=2
	global_load_dwordx2 v[4:5], v[4:5], off offset:128
	s_waitcnt vmcnt(0)
	ds_write_b64 v50, v[4:5] offset:128
.LBB39_13:                              ;   in Loop: Header=BB39_7 Depth=2
	s_andn2_saveexec_b64 s[14:15], s[14:15]
	s_cbranch_execz .LBB39_19
; %bb.14:                               ;   in Loop: Header=BB39_7 Depth=2
	s_xor_b64 s[16:17], s[16:17], -1
	s_and_saveexec_b64 s[20:21], s[16:17]
	s_xor_b64 s[16:17], exec, s[20:21]
; %bb.15:                               ;   in Loop: Header=BB39_7 Depth=2
	v_mov_b32_e32 v33, v32
	ds_write_b64 v50, v[32:33] offset:128
; %bb.16:                               ;   in Loop: Header=BB39_7 Depth=2
	s_andn2_saveexec_b64 s[16:17], s[16:17]
; %bb.17:                               ;   in Loop: Header=BB39_7 Depth=2
	v_mov_b32_e32 v33, v53
	ds_write_b64 v50, v[32:33] offset:128
; %bb.18:                               ;   in Loop: Header=BB39_7 Depth=2
	s_or_b64 exec, exec, s[16:17]
.LBB39_19:                              ;   in Loop: Header=BB39_7 Depth=2
	s_or_b64 exec, exec, s[14:15]
	v_add_co_u32_e64 v4, s[14:15], 16, v2
	v_add_co_u32_e64 v2, s[16:17], v40, v28
	v_addc_co_u32_e64 v5, s[14:15], 0, v3, s[14:15]
	v_addc_co_u32_e64 v3, s[16:17], v41, v29, s[16:17]
	v_cmp_le_i64_e64 s[14:15], s[42:43], v[4:5]
	v_cmp_eq_u64_e64 s[16:17], s[48:49], v[26:27]
	v_cmp_lt_i64_e64 s[20:21], v[4:5], v[12:13]
	s_and_b64 s[16:17], s[38:39], s[16:17]
	s_or_b64 s[20:21], s[14:15], s[20:21]
	s_or_b64 s[20:21], s[20:21], s[16:17]
	s_nor_b64 s[20:21], s[0:1], s[20:21]
                                        ; implicit-def: $vgpr4_vgpr5
	s_and_saveexec_b64 s[56:57], s[20:21]
	s_xor_b64 s[20:21], exec, s[56:57]
	s_cbranch_execz .LBB39_21
; %bb.20:                               ;   in Loop: Header=BB39_7 Depth=2
	global_load_dwordx2 v[4:5], v[2:3], off
.LBB39_21:                              ;   in Loop: Header=BB39_7 Depth=2
	s_andn2_saveexec_b64 s[20:21], s[20:21]
	s_cbranch_execz .LBB39_23
; %bb.22:                               ;   in Loop: Header=BB39_7 Depth=2
	v_cndmask_b32_e64 v33, 0, v53, s[16:17]
	s_waitcnt vmcnt(0)
	v_mov_b32_e32 v4, v32
	v_mov_b32_e32 v5, v33
.LBB39_23:                              ;   in Loop: Header=BB39_7 Depth=2
	s_or_b64 exec, exec, s[20:21]
	s_or_b64 s[12:13], s[14:15], s[12:13]
	s_or_b64 s[12:13], s[12:13], vcc
	s_nor_b64 s[12:13], s[2:3], s[12:13]
	s_waitcnt vmcnt(0)
	ds_write_b64 v50, v[4:5] offset:4096
	s_and_saveexec_b64 s[14:15], s[12:13]
	s_xor_b64 s[12:13], exec, s[14:15]
	s_cbranch_execz .LBB39_25
; %bb.24:                               ;   in Loop: Header=BB39_7 Depth=2
	global_load_dwordx2 v[2:3], v[2:3], off offset:128
	s_waitcnt vmcnt(0)
	ds_write_b64 v50, v[2:3] offset:4224
.LBB39_25:                              ;   in Loop: Header=BB39_7 Depth=2
	s_andn2_saveexec_b64 s[12:13], s[12:13]
	s_cbranch_execz .LBB39_31
; %bb.26:                               ;   in Loop: Header=BB39_7 Depth=2
	s_xor_b64 s[14:15], vcc, -1
	s_and_saveexec_b64 s[16:17], s[14:15]
	s_xor_b64 s[14:15], exec, s[16:17]
; %bb.27:                               ;   in Loop: Header=BB39_7 Depth=2
	v_mov_b32_e32 v33, v32
	ds_write_b64 v50, v[32:33] offset:4224
; %bb.28:                               ;   in Loop: Header=BB39_7 Depth=2
	s_andn2_saveexec_b64 s[14:15], s[14:15]
; %bb.29:                               ;   in Loop: Header=BB39_7 Depth=2
	v_mov_b32_e32 v33, v53
	ds_write_b64 v50, v[32:33] offset:4224
; %bb.30:                               ;   in Loop: Header=BB39_7 Depth=2
	s_or_b64 exec, exec, s[14:15]
.LBB39_31:                              ;   in Loop: Header=BB39_7 Depth=2
	s_or_b64 exec, exec, s[12:13]
	v_mov_b32_e32 v2, s49
	v_add_co_u32_e32 v4, vcc, s48, v12
	v_addc_co_u32_e32 v5, vcc, v13, v2, vcc
	v_add_co_u32_e32 v2, vcc, v34, v28
	v_addc_co_u32_e32 v3, vcc, v35, v29, vcc
	v_cmp_gt_i64_e32 vcc, s[42:43], v[4:5]
	v_mov_b32_e32 v6, 0
	v_mov_b32_e32 v7, 0
	s_and_b64 s[14:15], s[8:9], vcc
	s_and_saveexec_b64 s[12:13], s[14:15]
	s_cbranch_execz .LBB39_33
; %bb.32:                               ;   in Loop: Header=BB39_7 Depth=2
	global_load_dwordx2 v[6:7], v[2:3], off offset:-128
.LBB39_33:                              ;   in Loop: Header=BB39_7 Depth=2
	s_or_b64 exec, exec, s[12:13]
	v_cmp_gt_i64_e64 s[12:13], s[46:47], v[4:5]
	s_waitcnt vmcnt(0)
	ds_write_b64 v52, v[6:7]
	s_and_b64 s[14:15], s[8:9], s[12:13]
	s_xor_b64 s[14:15], s[14:15], -1
	s_and_saveexec_b64 s[16:17], s[14:15]
	s_xor_b64 s[14:15], exec, s[16:17]
; %bb.34:                               ;   in Loop: Header=BB39_7 Depth=2
	v_mov_b32_e32 v33, v32
	ds_write_b64 v52, v[32:33] offset:128
                                        ; implicit-def: $vgpr2_vgpr3
; %bb.35:                               ;   in Loop: Header=BB39_7 Depth=2
	s_andn2_saveexec_b64 s[14:15], s[14:15]
	s_cbranch_execz .LBB39_37
; %bb.36:                               ;   in Loop: Header=BB39_7 Depth=2
	global_load_dwordx2 v[2:3], v[2:3], off
	s_waitcnt vmcnt(0)
	ds_write_b64 v52, v[2:3] offset:128
.LBB39_37:                              ;   in Loop: Header=BB39_7 Depth=2
	s_or_b64 exec, exec, s[14:15]
	v_add_co_u32_e64 v2, s[14:15], v36, v28
	v_mov_b32_e32 v4, 0
	v_addc_co_u32_e64 v3, s[14:15], v37, v29, s[14:15]
	v_mov_b32_e32 v5, 0
	s_and_b64 s[16:17], s[10:11], vcc
	s_and_saveexec_b64 s[14:15], s[16:17]
	s_cbranch_execz .LBB39_39
; %bb.38:                               ;   in Loop: Header=BB39_7 Depth=2
	global_load_dwordx2 v[4:5], v[2:3], off
.LBB39_39:                              ;   in Loop: Header=BB39_7 Depth=2
	s_or_b64 exec, exec, s[14:15]
	s_and_b64 s[12:13], s[10:11], s[12:13]
	s_xor_b64 s[12:13], s[12:13], -1
	s_waitcnt vmcnt(0)
	ds_write_b64 v52, v[4:5] offset:4096
	s_and_saveexec_b64 s[14:15], s[12:13]
	s_xor_b64 s[12:13], exec, s[14:15]
; %bb.40:                               ;   in Loop: Header=BB39_7 Depth=2
	v_mov_b32_e32 v33, v32
	ds_write_b64 v52, v[32:33] offset:4224
                                        ; implicit-def: $vgpr2_vgpr3
; %bb.41:                               ;   in Loop: Header=BB39_7 Depth=2
	s_andn2_saveexec_b64 s[12:13], s[12:13]
	s_cbranch_execz .LBB39_6
; %bb.42:                               ;   in Loop: Header=BB39_7 Depth=2
	global_load_dwordx2 v[2:3], v[2:3], off offset:128
	s_waitcnt vmcnt(0)
	ds_write_b64 v52, v[2:3] offset:4224
	s_branch .LBB39_6
.LBB39_43:                              ;   in Loop: Header=BB39_4 Depth=1
	v_mov_b32_e32 v48, 0
	v_mov_b32_e32 v46, 0
	;; [unrolled: 1-line block ×8, first 2 shown]
.LBB39_44:                              ;   in Loop: Header=BB39_4 Depth=1
	v_mul_lo_u32 v4, s41, v54
	v_mul_lo_u32 v5, s40, v55
	v_mad_u64_u32 v[2:3], s[8:9], s40, v54, 0
	v_cmp_gt_i32_e32 vcc, s30, v54
	v_add3_u32 v3, v3, v5, v4
	v_lshlrev_b64 v[2:3], 3, v[2:3]
	v_mov_b32_e32 v4, s50
	v_add_co_u32_e64 v2, s[8:9], s33, v2
	v_addc_co_u32_e64 v3, s[8:9], v4, v3, s[8:9]
	s_and_b64 s[8:9], s[4:5], vcc
	s_and_saveexec_b64 s[10:11], s[8:9]
	s_cbranch_execz .LBB39_46
; %bb.45:                               ;   in Loop: Header=BB39_4 Depth=1
	v_add_co_u32_e64 v4, s[8:9], v2, v28
	v_addc_co_u32_e64 v5, s[8:9], v3, v29, s[8:9]
	global_load_dwordx2 v[6:7], v[4:5], off
	s_waitcnt vmcnt(0)
	v_fma_f64 v[6:7], s[34:35], v[48:49], v[6:7]
	global_store_dwordx2 v[4:5], v[6:7], off
.LBB39_46:                              ;   in Loop: Header=BB39_4 Depth=1
	s_or_b64 exec, exec, s[10:11]
	s_and_b64 s[10:11], s[18:19], vcc
	s_and_saveexec_b64 s[8:9], s[10:11]
	s_cbranch_execz .LBB39_48
; %bb.47:                               ;   in Loop: Header=BB39_4 Depth=1
	buffer_load_dword v4, off, s[60:63], 0  ; 4-byte Folded Reload
	buffer_load_dword v5, off, s[60:63], 0 offset:4 ; 4-byte Folded Reload
	s_waitcnt vmcnt(0)
	v_lshlrev_b64 v[4:5], 3, v[4:5]
	v_add_co_u32_e32 v2, vcc, v2, v4
	v_addc_co_u32_e32 v3, vcc, v3, v5, vcc
	global_load_dwordx2 v[4:5], v[2:3], off
	s_waitcnt vmcnt(0)
	v_fma_f64 v[4:5], s[34:35], v[46:47], v[4:5]
	global_store_dwordx2 v[2:3], v[4:5], off
.LBB39_48:                              ;   in Loop: Header=BB39_4 Depth=1
	s_or_b64 exec, exec, s[8:9]
	v_add_u32_e32 v4, 16, v54
	v_ashrrev_i32_e32 v2, 31, v4
	v_mul_lo_u32 v5, s40, v2
	v_mul_lo_u32 v6, s41, v4
	v_mad_u64_u32 v[2:3], s[8:9], s40, v4, 0
	v_cmp_gt_i32_e32 vcc, s30, v4
	v_mov_b32_e32 v4, s50
	v_add3_u32 v3, v3, v5, v6
	v_lshlrev_b64 v[2:3], 3, v[2:3]
	v_add_co_u32_e64 v2, s[8:9], s33, v2
	v_addc_co_u32_e64 v3, s[8:9], v4, v3, s[8:9]
	s_and_b64 s[8:9], s[4:5], vcc
	s_and_saveexec_b64 s[10:11], s[8:9]
	s_cbranch_execz .LBB39_50
; %bb.49:                               ;   in Loop: Header=BB39_4 Depth=1
	v_add_co_u32_e64 v4, s[8:9], v2, v28
	v_addc_co_u32_e64 v5, s[8:9], v3, v29, s[8:9]
	global_load_dwordx2 v[6:7], v[4:5], off
	s_waitcnt vmcnt(0)
	v_fma_f64 v[6:7], s[34:35], v[44:45], v[6:7]
	global_store_dwordx2 v[4:5], v[6:7], off
.LBB39_50:                              ;   in Loop: Header=BB39_4 Depth=1
	s_or_b64 exec, exec, s[10:11]
	s_and_b64 s[10:11], s[18:19], vcc
	s_and_saveexec_b64 s[8:9], s[10:11]
	s_cbranch_execz .LBB39_3
; %bb.51:                               ;   in Loop: Header=BB39_4 Depth=1
	buffer_load_dword v4, off, s[60:63], 0  ; 4-byte Folded Reload
	buffer_load_dword v5, off, s[60:63], 0 offset:4 ; 4-byte Folded Reload
	s_waitcnt vmcnt(0)
	v_lshlrev_b64 v[4:5], 3, v[4:5]
	v_add_co_u32_e32 v2, vcc, v2, v4
	v_addc_co_u32_e32 v3, vcc, v3, v5, vcc
	global_load_dwordx2 v[4:5], v[2:3], off
	s_waitcnt vmcnt(0)
	v_fma_f64 v[4:5], s[34:35], v[42:43], v[4:5]
	global_store_dwordx2 v[2:3], v[4:5], off
	s_branch .LBB39_3
.LBB39_52:
	s_endpgm
	.section	.rodata,"a",@progbits
	.p2align	6, 0x0
	.amdhsa_kernel _ZL30rocblas_trmm_outofplace_kernelIdLi32ELi2ELb1ELb1ELb0ELb0EdKddEv17rocblas_diagonal_iiT6_lPT7_lllS4_lllPT8_llli
		.amdhsa_group_segment_fixed_size 16384
		.amdhsa_private_segment_fixed_size 28
		.amdhsa_kernarg_size 392
		.amdhsa_user_sgpr_count 6
		.amdhsa_user_sgpr_private_segment_buffer 1
		.amdhsa_user_sgpr_dispatch_ptr 0
		.amdhsa_user_sgpr_queue_ptr 0
		.amdhsa_user_sgpr_kernarg_segment_ptr 1
		.amdhsa_user_sgpr_dispatch_id 0
		.amdhsa_user_sgpr_flat_scratch_init 0
		.amdhsa_user_sgpr_private_segment_size 0
		.amdhsa_uses_dynamic_stack 0
		.amdhsa_system_sgpr_private_segment_wavefront_offset 1
		.amdhsa_system_sgpr_workgroup_id_x 1
		.amdhsa_system_sgpr_workgroup_id_y 1
		.amdhsa_system_sgpr_workgroup_id_z 1
		.amdhsa_system_sgpr_workgroup_info 0
		.amdhsa_system_vgpr_workitem_id 1
		.amdhsa_next_free_vgpr 64
		.amdhsa_next_free_sgpr 64
		.amdhsa_reserve_vcc 1
		.amdhsa_reserve_flat_scratch 0
		.amdhsa_float_round_mode_32 0
		.amdhsa_float_round_mode_16_64 0
		.amdhsa_float_denorm_mode_32 3
		.amdhsa_float_denorm_mode_16_64 3
		.amdhsa_dx10_clamp 1
		.amdhsa_ieee_mode 1
		.amdhsa_fp16_overflow 0
		.amdhsa_exception_fp_ieee_invalid_op 0
		.amdhsa_exception_fp_denorm_src 0
		.amdhsa_exception_fp_ieee_div_zero 0
		.amdhsa_exception_fp_ieee_overflow 0
		.amdhsa_exception_fp_ieee_underflow 0
		.amdhsa_exception_fp_ieee_inexact 0
		.amdhsa_exception_int_div_zero 0
	.end_amdhsa_kernel
	.section	.text._ZL30rocblas_trmm_outofplace_kernelIdLi32ELi2ELb1ELb1ELb0ELb0EdKddEv17rocblas_diagonal_iiT6_lPT7_lllS4_lllPT8_llli,"axG",@progbits,_ZL30rocblas_trmm_outofplace_kernelIdLi32ELi2ELb1ELb1ELb0ELb0EdKddEv17rocblas_diagonal_iiT6_lPT7_lllS4_lllPT8_llli,comdat
.Lfunc_end39:
	.size	_ZL30rocblas_trmm_outofplace_kernelIdLi32ELi2ELb1ELb1ELb0ELb0EdKddEv17rocblas_diagonal_iiT6_lPT7_lllS4_lllPT8_llli, .Lfunc_end39-_ZL30rocblas_trmm_outofplace_kernelIdLi32ELi2ELb1ELb1ELb0ELb0EdKddEv17rocblas_diagonal_iiT6_lPT7_lllS4_lllPT8_llli
                                        ; -- End function
	.set _ZL30rocblas_trmm_outofplace_kernelIdLi32ELi2ELb1ELb1ELb0ELb0EdKddEv17rocblas_diagonal_iiT6_lPT7_lllS4_lllPT8_llli.num_vgpr, 64
	.set _ZL30rocblas_trmm_outofplace_kernelIdLi32ELi2ELb1ELb1ELb0ELb0EdKddEv17rocblas_diagonal_iiT6_lPT7_lllS4_lllPT8_llli.num_agpr, 0
	.set _ZL30rocblas_trmm_outofplace_kernelIdLi32ELi2ELb1ELb1ELb0ELb0EdKddEv17rocblas_diagonal_iiT6_lPT7_lllS4_lllPT8_llli.numbered_sgpr, 64
	.set _ZL30rocblas_trmm_outofplace_kernelIdLi32ELi2ELb1ELb1ELb0ELb0EdKddEv17rocblas_diagonal_iiT6_lPT7_lllS4_lllPT8_llli.num_named_barrier, 0
	.set _ZL30rocblas_trmm_outofplace_kernelIdLi32ELi2ELb1ELb1ELb0ELb0EdKddEv17rocblas_diagonal_iiT6_lPT7_lllS4_lllPT8_llli.private_seg_size, 28
	.set _ZL30rocblas_trmm_outofplace_kernelIdLi32ELi2ELb1ELb1ELb0ELb0EdKddEv17rocblas_diagonal_iiT6_lPT7_lllS4_lllPT8_llli.uses_vcc, 1
	.set _ZL30rocblas_trmm_outofplace_kernelIdLi32ELi2ELb1ELb1ELb0ELb0EdKddEv17rocblas_diagonal_iiT6_lPT7_lllS4_lllPT8_llli.uses_flat_scratch, 0
	.set _ZL30rocblas_trmm_outofplace_kernelIdLi32ELi2ELb1ELb1ELb0ELb0EdKddEv17rocblas_diagonal_iiT6_lPT7_lllS4_lllPT8_llli.has_dyn_sized_stack, 0
	.set _ZL30rocblas_trmm_outofplace_kernelIdLi32ELi2ELb1ELb1ELb0ELb0EdKddEv17rocblas_diagonal_iiT6_lPT7_lllS4_lllPT8_llli.has_recursion, 0
	.set _ZL30rocblas_trmm_outofplace_kernelIdLi32ELi2ELb1ELb1ELb0ELb0EdKddEv17rocblas_diagonal_iiT6_lPT7_lllS4_lllPT8_llli.has_indirect_call, 0
	.section	.AMDGPU.csdata,"",@progbits
; Kernel info:
; codeLenInByte = 3896
; TotalNumSgprs: 68
; NumVgprs: 64
; ScratchSize: 28
; MemoryBound: 0
; FloatMode: 240
; IeeeMode: 1
; LDSByteSize: 16384 bytes/workgroup (compile time only)
; SGPRBlocks: 8
; VGPRBlocks: 15
; NumSGPRsForWavesPerEU: 68
; NumVGPRsForWavesPerEU: 64
; Occupancy: 4
; WaveLimiterHint : 0
; COMPUTE_PGM_RSRC2:SCRATCH_EN: 1
; COMPUTE_PGM_RSRC2:USER_SGPR: 6
; COMPUTE_PGM_RSRC2:TRAP_HANDLER: 0
; COMPUTE_PGM_RSRC2:TGID_X_EN: 1
; COMPUTE_PGM_RSRC2:TGID_Y_EN: 1
; COMPUTE_PGM_RSRC2:TGID_Z_EN: 1
; COMPUTE_PGM_RSRC2:TIDIG_COMP_CNT: 1
	.section	.text._ZL30rocblas_trmm_outofplace_kernelIdLi32ELi2ELb1ELb0ELb1ELb0EPKdS0_dEv17rocblas_diagonal_iiT6_lPT7_lllS5_lllPT8_llli,"axG",@progbits,_ZL30rocblas_trmm_outofplace_kernelIdLi32ELi2ELb1ELb0ELb1ELb0EPKdS0_dEv17rocblas_diagonal_iiT6_lPT7_lllS5_lllPT8_llli,comdat
	.globl	_ZL30rocblas_trmm_outofplace_kernelIdLi32ELi2ELb1ELb0ELb1ELb0EPKdS0_dEv17rocblas_diagonal_iiT6_lPT7_lllS5_lllPT8_llli ; -- Begin function _ZL30rocblas_trmm_outofplace_kernelIdLi32ELi2ELb1ELb0ELb1ELb0EPKdS0_dEv17rocblas_diagonal_iiT6_lPT7_lllS5_lllPT8_llli
	.p2align	8
	.type	_ZL30rocblas_trmm_outofplace_kernelIdLi32ELi2ELb1ELb0ELb1ELb0EPKdS0_dEv17rocblas_diagonal_iiT6_lPT7_lllS5_lllPT8_llli,@function
_ZL30rocblas_trmm_outofplace_kernelIdLi32ELi2ELb1ELb0ELb1ELb0EPKdS0_dEv17rocblas_diagonal_iiT6_lPT7_lllS5_lllPT8_llli: ; @_ZL30rocblas_trmm_outofplace_kernelIdLi32ELi2ELb1ELb0ELb1ELb0EPKdS0_dEv17rocblas_diagonal_iiT6_lPT7_lllS5_lllPT8_llli
; %bb.0:
	s_load_dwordx16 s[12:27], s[4:5], 0x10
	s_mov_b64 s[58:59], s[2:3]
	s_mov_b64 s[56:57], s[0:1]
	s_add_u32 s56, s56, s9
	s_addc_u32 s57, s57, 0
	s_waitcnt lgkmcnt(0)
	s_mul_i32 s0, s15, s8
	s_mul_hi_u32 s1, s14, s8
	s_add_i32 s1, s1, s0
	s_mul_i32 s0, s14, s8
	s_lshl_b64 s[0:1], s[0:1], 3
	s_add_u32 s0, s12, s0
	s_addc_u32 s1, s13, s1
	s_load_dwordx2 s[34:35], s[0:1], 0x0
	s_waitcnt lgkmcnt(0)
	v_cmp_eq_f64_e64 s[0:1], s[34:35], 0
	s_and_b64 vcc, exec, s[0:1]
	s_cbranch_vccnz .LBB40_52
; %bb.1:
	s_load_dwordx4 s[28:31], s[4:5], 0x0
	s_waitcnt lgkmcnt(0)
	s_add_i32 s0, s30, -1
	s_ashr_i32 s1, s0, 31
	s_lshr_b32 s1, s1, 27
	s_add_i32 s0, s0, s1
	s_ashr_i32 s31, s0, 5
	s_cmp_gt_i32 s7, s31
	s_cbranch_scc1 .LBB40_52
; %bb.2:
	s_mul_i32 s0, s23, s8
	s_mul_hi_u32 s1, s22, s8
	s_load_dwordx8 s[36:43], s[4:5], 0x50
	s_load_dwordx4 s[44:47], s[4:5], 0x70
	s_add_i32 s1, s1, s0
	s_mul_i32 s0, s22, s8
	s_lshl_b64 s[10:11], s[0:1], 3
	s_add_u32 s0, s16, s10
	s_addc_u32 s1, s17, s11
	s_lshl_b64 s[12:13], s[18:19], 3
	s_add_u32 s2, s0, s12
	s_addc_u32 s3, s1, s13
	s_waitcnt lgkmcnt(0)
	s_mul_i32 s0, s47, s8
	s_mul_hi_u32 s1, s46, s8
	s_add_i32 s1, s1, s0
	s_mul_i32 s0, s46, s8
	s_lshl_b64 s[0:1], s[0:1], 3
	s_load_dword s33, s[4:5], 0x8c
	s_add_u32 s4, s40, s0
	s_addc_u32 s5, s41, s1
	s_lshl_b64 s[0:1], s[42:43], 3
	s_add_u32 s48, s4, s0
	s_addc_u32 s49, s5, s1
	s_lshl_b32 s4, s6, 5
	v_add_u32_e32 v2, s4, v0
	v_ashrrev_i32_e32 v3, 31, v2
	v_mul_lo_u32 v8, s20, v3
	v_mul_lo_u32 v9, s21, v2
	v_mad_u64_u32 v[6:7], s[0:1], s20, v2, 0
	s_sub_i32 s6, s29, s4
	v_add_u32_e32 v4, s4, v1
	v_add3_u32 v7, v7, v8, v9
	v_lshlrev_b64 v[6:7], 3, v[6:7]
	s_cmp_gt_i32 s6, 0
	v_ashrrev_i32_e32 v5, 31, v4
	s_cselect_b64 s[22:23], -1, 0
	s_cmpk_eq_i32 s28, 0x84
	v_mov_b32_e32 v8, s3
	v_add_co_u32_e32 v6, vcc, s2, v6
	v_lshlrev_b64 v[20:21], 3, v[4:5]
	s_cselect_b64 s[40:41], -1, 0
	s_ashr_i32 s43, s29, 31
	s_ashr_i32 s50, s30, 31
	v_addc_co_u32_e32 v7, vcc, v8, v7, vcc
	s_add_u32 s46, s29, -16
	s_mul_i32 s9, s39, s8
	s_mul_hi_u32 s14, s38, s8
	v_add_co_u32_e32 v44, vcc, v6, v20
	s_addc_u32 s47, s43, -1
	s_add_i32 s9, s14, s9
	s_mul_i32 s8, s38, s8
	v_addc_co_u32_e32 v45, vcc, v7, v21, vcc
	v_lshlrev_b32_e32 v6, 8, v1
	v_lshlrev_b32_e32 v0, 3, v0
	s_lshl_b64 s[8:9], s[8:9], 3
	s_lshl_b64 s[14:15], s[26:27], 3
	v_add_u32_e32 v46, v0, v6
	v_add_u32_e32 v47, 0x2000, v6
	v_add_co_u32_e32 v6, vcc, 16, v2
	s_add_u32 s8, s8, s14
	v_addc_co_u32_e32 v7, vcc, 0, v3, vcc
	s_addc_u32 s9, s9, s15
	v_sub_co_u32_e32 v10, vcc, v2, v4
	v_lshlrev_b64 v[12:13], 3, v[2:3]
	s_add_u32 s8, s24, s8
	v_subb_co_u32_e32 v11, vcc, v3, v5, vcc
	s_addc_u32 s9, s25, s9
	s_lshl_b64 s[24:25], s[36:37], 3
	s_waitcnt lgkmcnt(0)
	s_lshl_b32 s38, s33, 5
	v_mov_b32_e32 v15, s9
	v_add_co_u32_e32 v14, vcc, s8, v12
	s_add_u32 s8, s12, s10
	v_addc_co_u32_e32 v15, vcc, v15, v13, vcc
	s_movk_i32 s14, 0x80
	s_addc_u32 s9, s13, s11
	v_add_co_u32_e32 v18, vcc, s14, v12
	v_mov_b32_e32 v17, s9
	v_addc_co_u32_e32 v19, vcc, 0, v13, vcc
	v_mov_b32_e32 v16, s8
	v_mad_u64_u32 v[22:23], s[8:9], s20, v18, v[16:17]
	v_mul_lo_u32 v19, s20, v19
	v_mul_lo_u32 v18, s21, v18
	v_add_co_u32_e32 v16, vcc, 16, v10
	v_addc_co_u32_e32 v17, vcc, 0, v11, vcc
	v_add3_u32 v23, v18, v23, v19
	v_add_co_u32_e32 v18, vcc, -16, v10
	v_addc_co_u32_e32 v19, vcc, -1, v11, vcc
	v_add_co_u32_e32 v20, vcc, v22, v20
	v_addc_co_u32_e32 v21, vcc, v23, v21, vcc
	v_mov_b32_e32 v22, s17
	v_add_co_u32_e32 v48, vcc, s16, v20
	s_mov_b32 s42, s29
	v_addc_co_u32_e32 v49, vcc, v22, v21, vcc
	v_cmp_le_i64_e64 s[2:3], s[42:43], v[6:7]
	v_add_u32_e32 v8, 16, v2
	v_add_co_u32_e32 v20, vcc, s14, v14
	v_cmp_le_i32_e64 s[0:1], s29, v2
	v_cmp_gt_i32_e64 s[4:5], s29, v2
	v_cmp_gt_i32_e64 s[18:19], s29, v8
	v_ashrrev_i32_e32 v9, 31, v8
	v_addc_co_u32_e32 v21, vcc, 0, v15, vcc
	v_add_u32_e32 v50, v47, v0
	v_mov_b32_e32 v51, 0x3ff00000
	v_lshl_add_u32 v22, s7, 5, v1
	v_mov_b32_e32 v24, 0
	buffer_store_dword v20, off, s[56:59], 0 ; 4-byte Folded Spill
	s_nop 0
	buffer_store_dword v21, off, s[56:59], 0 offset:4 ; 4-byte Folded Spill
	s_branch .LBB40_4
.LBB40_3:                               ;   in Loop: Header=BB40_4 Depth=1
	s_or_b64 exec, exec, s[8:9]
	s_add_i32 s7, s33, s7
	s_cmp_le_i32 s7, s31
	v_add_u32_e32 v22, s38, v22
	s_cbranch_scc0 .LBB40_52
.LBB40_4:                               ; =>This Loop Header: Depth=1
                                        ;     Child Loop BB40_7 Depth 2
	v_lshl_add_u32 v52, s7, 5, v1
	s_andn2_b64 vcc, exec, s[22:23]
	v_ashrrev_i32_e32 v53, 31, v52
	s_cbranch_vccnz .LBB40_43
; %bb.5:                                ;   in Loop: Header=BB40_4 Depth=1
	buffer_load_dword v20, off, s[56:59], 0 ; 4-byte Folded Reload
	buffer_load_dword v21, off, s[56:59], 0 offset:4 ; 4-byte Folded Reload
	v_ashrrev_i32_e32 v23, 31, v22
	v_lshlrev_b64 v[28:29], 3, v[22:23]
	v_mov_b32_e32 v32, 0
	v_mov_b32_e32 v34, 0
	;; [unrolled: 1-line block ×3, first 2 shown]
	s_mov_b64 s[26:27], 0
	v_mov_b32_e32 v33, 0
	v_mov_b32_e32 v35, 0
	;; [unrolled: 1-line block ×3, first 2 shown]
	s_mov_b64 s[28:29], 0
	s_waitcnt vmcnt(0)
	v_mad_u64_u32 v[26:27], s[8:9], s24, v22, v[20:21]
	v_mul_lo_u32 v21, s24, v23
	v_add_co_u32_e32 v23, vcc, 0x80, v28
	v_addc_co_u32_e32 v25, vcc, 0, v29, vcc
	v_mul_lo_u32 v20, s25, v22
	v_mul_lo_u32 v25, s36, v25
	;; [unrolled: 1-line block ×3, first 2 shown]
	v_mad_u64_u32 v[28:29], s[8:9], s36, v23, v[14:15]
	v_add3_u32 v27, v20, v27, v21
	v_mov_b32_e32 v20, s50
	v_add3_u32 v29, v30, v29, v25
	v_sub_co_u32_e32 v30, vcc, s30, v52
	v_subb_co_u32_e32 v31, vcc, v20, v53, vcc
	v_cmp_lt_i64_e32 vcc, 0, v[30:31]
	v_cmp_lt_i64_e64 s[8:9], 16, v[30:31]
	v_mov_b32_e32 v30, 0
	v_mov_b32_e32 v31, 0
	s_branch .LBB40_7
.LBB40_6:                               ;   in Loop: Header=BB40_7 Depth=2
	s_or_b64 exec, exec, s[10:11]
	s_waitcnt lgkmcnt(0)
	s_barrier
	ds_read_b128 v[38:41], v47
	ds_read2_b64 v[54:57], v0 offset1:16
	ds_read_b128 v[58:61], v47 offset:4096
	v_add_u32_e32 v23, 0x800, v0
	s_add_u32 s28, s28, 32
	s_addc_u32 s29, s29, 0
	s_waitcnt lgkmcnt(1)
	v_fma_f64 v[42:43], v[54:55], v[38:39], v[36:37]
	v_fma_f64 v[62:63], v[56:57], v[38:39], v[34:35]
	s_waitcnt lgkmcnt(0)
	v_fma_f64 v[20:21], v[54:55], v[58:59], v[32:33]
	v_fma_f64 v[30:31], v[56:57], v[58:59], v[30:31]
	ds_read2_b64 v[32:35], v0 offset0:32 offset1:48
	ds_read_b128 v[36:39], v47 offset:16
	ds_read2_b64 v[54:57], v0 offset0:64 offset1:80
	s_add_u32 s26, s26, 0x100
	s_addc_u32 s27, s27, 0
	s_cmp_ge_i32 s28, s6
	s_waitcnt lgkmcnt(2)
	v_fma_f64 v[58:59], v[32:33], v[40:41], v[42:43]
	v_fma_f64 v[62:63], v[34:35], v[40:41], v[62:63]
	v_fma_f64 v[20:21], v[32:33], v[60:61], v[20:21]
	v_fma_f64 v[34:35], v[34:35], v[60:61], v[30:31]
	ds_read_b128 v[30:33], v47 offset:4112
	ds_read2_b64 v[40:43], v0 offset0:96 offset1:112
	s_waitcnt lgkmcnt(2)
	v_fma_f64 v[58:59], v[54:55], v[36:37], v[58:59]
	v_fma_f64 v[60:61], v[56:57], v[36:37], v[62:63]
	s_waitcnt lgkmcnt(1)
	v_fma_f64 v[20:21], v[54:55], v[30:31], v[20:21]
	v_fma_f64 v[30:31], v[56:57], v[30:31], v[34:35]
	ds_read_b128 v[34:37], v47 offset:32
	ds_read2_b64 v[54:57], v0 offset0:128 offset1:144
	s_waitcnt lgkmcnt(2)
	v_fma_f64 v[58:59], v[40:41], v[38:39], v[58:59]
	v_fma_f64 v[60:61], v[42:43], v[38:39], v[60:61]
	;; [unrolled: 1-line block ×4, first 2 shown]
	ds_read_b128 v[30:33], v47 offset:4128
	ds_read2_b64 v[38:41], v0 offset0:160 offset1:176
	s_waitcnt lgkmcnt(2)
	v_fma_f64 v[62:63], v[54:55], v[34:35], v[58:59]
	v_fma_f64 v[34:35], v[56:57], v[34:35], v[60:61]
	s_waitcnt lgkmcnt(1)
	v_fma_f64 v[20:21], v[54:55], v[30:31], v[20:21]
	v_fma_f64 v[30:31], v[56:57], v[30:31], v[42:43]
	ds_read_b128 v[54:57], v47 offset:48
	ds_read2_b64 v[58:61], v0 offset0:192 offset1:208
	s_waitcnt lgkmcnt(2)
	v_fma_f64 v[42:43], v[38:39], v[36:37], v[62:63]
	v_fma_f64 v[62:63], v[40:41], v[36:37], v[34:35]
	;; [unrolled: 1-line block ×4, first 2 shown]
	ds_read_b128 v[30:33], v47 offset:4144
	ds_read2_b64 v[34:37], v0 offset0:224 offset1:240
	s_waitcnt lgkmcnt(2)
	v_fma_f64 v[42:43], v[58:59], v[54:55], v[42:43]
	v_fma_f64 v[54:55], v[60:61], v[54:55], v[62:63]
	s_waitcnt lgkmcnt(1)
	v_fma_f64 v[20:21], v[58:59], v[30:31], v[20:21]
	v_fma_f64 v[30:31], v[60:61], v[30:31], v[38:39]
	ds_read_b128 v[38:41], v47 offset:64
	ds_read2_b64 v[58:61], v23 offset1:16
	s_waitcnt lgkmcnt(2)
	v_fma_f64 v[42:43], v[34:35], v[56:57], v[42:43]
	v_fma_f64 v[54:55], v[36:37], v[56:57], v[54:55]
	v_fma_f64 v[20:21], v[34:35], v[32:33], v[20:21]
	v_fma_f64 v[56:57], v[36:37], v[32:33], v[30:31]
	ds_read_b128 v[30:33], v47 offset:4160
	ds_read2_b64 v[34:37], v23 offset0:32 offset1:48
	s_waitcnt lgkmcnt(2)
	v_fma_f64 v[42:43], v[58:59], v[38:39], v[42:43]
	v_fma_f64 v[38:39], v[60:61], v[38:39], v[54:55]
	s_waitcnt lgkmcnt(1)
	v_fma_f64 v[20:21], v[58:59], v[30:31], v[20:21]
	v_fma_f64 v[30:31], v[60:61], v[30:31], v[56:57]
	ds_read_b128 v[54:57], v47 offset:80
	ds_read2_b64 v[58:61], v23 offset0:64 offset1:80
	s_waitcnt lgkmcnt(2)
	v_fma_f64 v[42:43], v[34:35], v[40:41], v[42:43]
	v_fma_f64 v[38:39], v[36:37], v[40:41], v[38:39]
	v_fma_f64 v[20:21], v[34:35], v[32:33], v[20:21]
	v_fma_f64 v[40:41], v[36:37], v[32:33], v[30:31]
	ds_read_b128 v[30:33], v47 offset:4176
	ds_read2_b64 v[34:37], v23 offset0:96 offset1:112
	s_waitcnt lgkmcnt(2)
	v_fma_f64 v[42:43], v[58:59], v[54:55], v[42:43]
	v_fma_f64 v[54:55], v[60:61], v[54:55], v[38:39]
	s_waitcnt lgkmcnt(1)
	v_fma_f64 v[20:21], v[58:59], v[30:31], v[20:21]
	v_fma_f64 v[30:31], v[60:61], v[30:31], v[40:41]
	ds_read_b128 v[38:41], v47 offset:96
	ds_read2_b64 v[58:61], v23 offset0:128 offset1:144
	;; [unrolled: 15-line block ×3, first 2 shown]
	s_waitcnt lgkmcnt(2)
	v_fma_f64 v[42:43], v[34:35], v[40:41], v[42:43]
	v_fma_f64 v[38:39], v[36:37], v[40:41], v[38:39]
	;; [unrolled: 1-line block ×4, first 2 shown]
	ds_read_b128 v[30:33], v47 offset:4208
	ds_read2_b64 v[34:37], v23 offset0:224 offset1:240
	v_add_u32_e32 v23, 0x1000, v0
	s_waitcnt lgkmcnt(2)
	v_fma_f64 v[42:43], v[58:59], v[54:55], v[42:43]
	v_fma_f64 v[54:55], v[60:61], v[54:55], v[38:39]
	s_waitcnt lgkmcnt(1)
	v_fma_f64 v[20:21], v[58:59], v[30:31], v[20:21]
	v_fma_f64 v[30:31], v[60:61], v[30:31], v[40:41]
	ds_read_b128 v[38:41], v47 offset:128
	ds_read2_b64 v[58:61], v23 offset1:16
	s_waitcnt lgkmcnt(2)
	v_fma_f64 v[42:43], v[34:35], v[56:57], v[42:43]
	v_fma_f64 v[54:55], v[36:37], v[56:57], v[54:55]
	v_fma_f64 v[20:21], v[34:35], v[32:33], v[20:21]
	v_fma_f64 v[56:57], v[36:37], v[32:33], v[30:31]
	ds_read_b128 v[30:33], v47 offset:4224
	ds_read2_b64 v[34:37], v23 offset0:32 offset1:48
	s_waitcnt lgkmcnt(2)
	v_fma_f64 v[42:43], v[58:59], v[38:39], v[42:43]
	v_fma_f64 v[38:39], v[60:61], v[38:39], v[54:55]
	s_waitcnt lgkmcnt(1)
	v_fma_f64 v[20:21], v[58:59], v[30:31], v[20:21]
	v_fma_f64 v[30:31], v[60:61], v[30:31], v[56:57]
	ds_read_b128 v[54:57], v47 offset:144
	ds_read2_b64 v[58:61], v23 offset0:64 offset1:80
	s_waitcnt lgkmcnt(2)
	v_fma_f64 v[42:43], v[34:35], v[40:41], v[42:43]
	v_fma_f64 v[38:39], v[36:37], v[40:41], v[38:39]
	v_fma_f64 v[20:21], v[34:35], v[32:33], v[20:21]
	v_fma_f64 v[40:41], v[36:37], v[32:33], v[30:31]
	ds_read_b128 v[30:33], v47 offset:4240
	ds_read2_b64 v[34:37], v23 offset0:96 offset1:112
	s_waitcnt lgkmcnt(2)
	v_fma_f64 v[42:43], v[58:59], v[54:55], v[42:43]
	v_fma_f64 v[54:55], v[60:61], v[54:55], v[38:39]
	s_waitcnt lgkmcnt(1)
	v_fma_f64 v[20:21], v[58:59], v[30:31], v[20:21]
	v_fma_f64 v[30:31], v[60:61], v[30:31], v[40:41]
	ds_read_b128 v[38:41], v47 offset:160
	ds_read2_b64 v[58:61], v23 offset0:128 offset1:144
	;; [unrolled: 15-line block ×3, first 2 shown]
	s_waitcnt lgkmcnt(2)
	v_fma_f64 v[42:43], v[34:35], v[40:41], v[42:43]
	v_fma_f64 v[38:39], v[36:37], v[40:41], v[38:39]
	;; [unrolled: 1-line block ×4, first 2 shown]
	ds_read_b128 v[30:33], v47 offset:4272
	ds_read2_b64 v[34:37], v23 offset0:224 offset1:240
	v_add_u32_e32 v23, 0x1800, v0
	s_waitcnt lgkmcnt(2)
	v_fma_f64 v[42:43], v[58:59], v[54:55], v[42:43]
	v_fma_f64 v[54:55], v[60:61], v[54:55], v[38:39]
	s_waitcnt lgkmcnt(1)
	v_fma_f64 v[20:21], v[58:59], v[30:31], v[20:21]
	v_fma_f64 v[30:31], v[60:61], v[30:31], v[40:41]
	ds_read_b128 v[38:41], v47 offset:192
	ds_read2_b64 v[58:61], v23 offset1:16
	s_waitcnt lgkmcnt(2)
	v_fma_f64 v[42:43], v[34:35], v[56:57], v[42:43]
	v_fma_f64 v[54:55], v[36:37], v[56:57], v[54:55]
	v_fma_f64 v[20:21], v[34:35], v[32:33], v[20:21]
	v_fma_f64 v[56:57], v[36:37], v[32:33], v[30:31]
	ds_read_b128 v[30:33], v47 offset:4288
	ds_read2_b64 v[34:37], v23 offset0:32 offset1:48
	s_waitcnt lgkmcnt(2)
	v_fma_f64 v[42:43], v[58:59], v[38:39], v[42:43]
	v_fma_f64 v[38:39], v[60:61], v[38:39], v[54:55]
	s_waitcnt lgkmcnt(1)
	v_fma_f64 v[20:21], v[58:59], v[30:31], v[20:21]
	v_fma_f64 v[30:31], v[60:61], v[30:31], v[56:57]
	ds_read_b128 v[54:57], v47 offset:208
	ds_read2_b64 v[58:61], v23 offset0:64 offset1:80
	s_waitcnt lgkmcnt(2)
	v_fma_f64 v[42:43], v[34:35], v[40:41], v[42:43]
	v_fma_f64 v[38:39], v[36:37], v[40:41], v[38:39]
	v_fma_f64 v[20:21], v[34:35], v[32:33], v[20:21]
	v_fma_f64 v[40:41], v[36:37], v[32:33], v[30:31]
	ds_read_b128 v[30:33], v47 offset:4304
	ds_read2_b64 v[34:37], v23 offset0:96 offset1:112
	s_waitcnt lgkmcnt(2)
	v_fma_f64 v[42:43], v[58:59], v[54:55], v[42:43]
	v_fma_f64 v[54:55], v[60:61], v[54:55], v[38:39]
	s_waitcnt lgkmcnt(1)
	v_fma_f64 v[20:21], v[58:59], v[30:31], v[20:21]
	v_fma_f64 v[30:31], v[60:61], v[30:31], v[40:41]
	ds_read_b128 v[38:41], v47 offset:224
	ds_read2_b64 v[58:61], v23 offset0:128 offset1:144
	;; [unrolled: 15-line block ×3, first 2 shown]
	s_waitcnt lgkmcnt(2)
	v_fma_f64 v[42:43], v[34:35], v[40:41], v[42:43]
	v_fma_f64 v[40:41], v[36:37], v[40:41], v[38:39]
	;; [unrolled: 1-line block ×4, first 2 shown]
	ds_read_b128 v[36:39], v47 offset:4336
	s_waitcnt lgkmcnt(1)
	v_fma_f64 v[32:33], v[58:59], v[54:55], v[42:43]
	v_fma_f64 v[34:35], v[60:61], v[54:55], v[40:41]
	s_waitcnt lgkmcnt(0)
	v_fma_f64 v[20:21], v[58:59], v[36:37], v[20:21]
	v_fma_f64 v[30:31], v[60:61], v[36:37], v[30:31]
	ds_read2_b64 v[40:43], v23 offset0:224 offset1:240
	s_waitcnt lgkmcnt(0)
	s_barrier
	v_fma_f64 v[36:37], v[40:41], v[56:57], v[32:33]
	v_fma_f64 v[34:35], v[42:43], v[56:57], v[34:35]
	;; [unrolled: 1-line block ×4, first 2 shown]
	s_cbranch_scc1 .LBB40_44
.LBB40_7:                               ;   Parent Loop BB40_4 Depth=1
                                        ; =>  This Inner Loop Header: Depth=2
	v_mov_b32_e32 v20, s29
	v_add_co_u32_e64 v40, s[10:11], s28, v4
	v_addc_co_u32_e64 v41, s[10:11], v5, v20, s[10:11]
	v_mov_b32_e32 v20, s27
	v_add_co_u32_e64 v38, s[10:11], s26, v44
	v_addc_co_u32_e64 v39, s[10:11], v45, v20, s[10:11]
	v_cmp_le_i64_e64 s[14:15], s[42:43], v[40:41]
	v_cmp_eq_u64_e64 s[10:11], s[28:29], v[10:11]
	v_cmp_lt_i64_e64 s[12:13], v[40:41], v[2:3]
	s_and_b64 s[10:11], s[40:41], s[10:11]
	s_or_b64 s[16:17], s[14:15], s[12:13]
	s_or_b64 s[16:17], s[16:17], s[10:11]
	s_nor_b64 s[16:17], s[0:1], s[16:17]
                                        ; implicit-def: $vgpr42_vgpr43
	s_and_saveexec_b64 s[20:21], s[16:17]
	s_xor_b64 s[16:17], exec, s[20:21]
	s_cbranch_execz .LBB40_9
; %bb.8:                                ;   in Loop: Header=BB40_7 Depth=2
	global_load_dwordx2 v[42:43], v[38:39], off
.LBB40_9:                               ;   in Loop: Header=BB40_7 Depth=2
	s_andn2_saveexec_b64 s[16:17], s[16:17]
	s_cbranch_execz .LBB40_11
; %bb.10:                               ;   in Loop: Header=BB40_7 Depth=2
	v_cndmask_b32_e64 v25, 0, v51, s[10:11]
	s_waitcnt vmcnt(0)
	v_mov_b32_e32 v43, v25
	v_mov_b32_e32 v42, v24
.LBB40_11:                              ;   in Loop: Header=BB40_7 Depth=2
	s_or_b64 exec, exec, s[16:17]
	v_cmp_eq_u64_e64 s[16:17], s[28:29], v[16:17]
	v_cmp_gt_i64_e64 s[20:21], v[6:7], v[40:41]
	s_and_b64 s[16:17], s[40:41], s[16:17]
	s_or_b64 s[14:15], s[14:15], s[20:21]
	s_or_b64 s[14:15], s[14:15], s[16:17]
	s_nor_b64 s[14:15], s[2:3], s[14:15]
	s_waitcnt vmcnt(0)
	ds_write_b64 v46, v[42:43]
	s_and_saveexec_b64 s[20:21], s[14:15]
	s_xor_b64 s[20:21], exec, s[20:21]
	s_cbranch_execz .LBB40_13
; %bb.12:                               ;   in Loop: Header=BB40_7 Depth=2
	v_mov_b32_e32 v20, s27
	v_add_co_u32_e64 v42, s[14:15], s26, v48
	v_addc_co_u32_e64 v43, s[14:15], v49, v20, s[14:15]
	global_load_dwordx2 v[42:43], v[42:43], off
	s_waitcnt vmcnt(0)
	ds_write_b64 v46, v[42:43] offset:128
.LBB40_13:                              ;   in Loop: Header=BB40_7 Depth=2
	s_andn2_saveexec_b64 s[14:15], s[20:21]
	s_cbranch_execz .LBB40_19
; %bb.14:                               ;   in Loop: Header=BB40_7 Depth=2
	s_xor_b64 s[16:17], s[16:17], -1
	s_and_saveexec_b64 s[20:21], s[16:17]
	s_xor_b64 s[16:17], exec, s[20:21]
; %bb.15:                               ;   in Loop: Header=BB40_7 Depth=2
	v_mov_b32_e32 v25, v24
	ds_write_b64 v46, v[24:25] offset:128
; %bb.16:                               ;   in Loop: Header=BB40_7 Depth=2
	s_andn2_saveexec_b64 s[16:17], s[16:17]
; %bb.17:                               ;   in Loop: Header=BB40_7 Depth=2
	v_mov_b32_e32 v25, v51
	ds_write_b64 v46, v[24:25] offset:128
; %bb.18:                               ;   in Loop: Header=BB40_7 Depth=2
	s_or_b64 exec, exec, s[16:17]
.LBB40_19:                              ;   in Loop: Header=BB40_7 Depth=2
	s_or_b64 exec, exec, s[14:15]
	v_add_co_u32_e64 v40, s[14:15], 16, v40
	v_addc_co_u32_e64 v41, s[14:15], 0, v41, s[14:15]
	v_cmp_le_i64_e64 s[14:15], s[42:43], v[40:41]
	v_cmp_eq_u64_e64 s[16:17], s[28:29], v[18:19]
	v_cmp_lt_i64_e64 s[20:21], v[40:41], v[2:3]
	s_and_b64 s[16:17], s[40:41], s[16:17]
	s_or_b64 s[20:21], s[14:15], s[20:21]
	s_or_b64 s[20:21], s[20:21], s[16:17]
	s_nor_b64 s[20:21], s[0:1], s[20:21]
                                        ; implicit-def: $vgpr40_vgpr41
	s_and_saveexec_b64 s[52:53], s[20:21]
	s_xor_b64 s[20:21], exec, s[52:53]
	s_cbranch_execz .LBB40_21
; %bb.20:                               ;   in Loop: Header=BB40_7 Depth=2
	global_load_dwordx2 v[40:41], v[38:39], off offset:128
.LBB40_21:                              ;   in Loop: Header=BB40_7 Depth=2
	s_andn2_saveexec_b64 s[20:21], s[20:21]
	s_cbranch_execz .LBB40_23
; %bb.22:                               ;   in Loop: Header=BB40_7 Depth=2
	v_cndmask_b32_e64 v25, 0, v51, s[16:17]
	s_waitcnt vmcnt(0)
	v_mov_b32_e32 v41, v25
	v_mov_b32_e32 v40, v24
.LBB40_23:                              ;   in Loop: Header=BB40_7 Depth=2
	s_or_b64 exec, exec, s[20:21]
	s_or_b64 s[12:13], s[14:15], s[12:13]
	s_or_b64 s[12:13], s[12:13], s[10:11]
	s_nor_b64 s[12:13], s[2:3], s[12:13]
	s_waitcnt vmcnt(0)
	ds_write_b64 v46, v[40:41] offset:4096
	s_and_saveexec_b64 s[14:15], s[12:13]
	s_xor_b64 s[14:15], exec, s[14:15]
	s_cbranch_execz .LBB40_25
; %bb.24:                               ;   in Loop: Header=BB40_7 Depth=2
	v_mov_b32_e32 v20, s27
	v_add_co_u32_e64 v38, s[12:13], s26, v48
	v_addc_co_u32_e64 v39, s[12:13], v49, v20, s[12:13]
	global_load_dwordx2 v[38:39], v[38:39], off offset:128
	s_waitcnt vmcnt(0)
	ds_write_b64 v46, v[38:39] offset:4224
.LBB40_25:                              ;   in Loop: Header=BB40_7 Depth=2
	s_andn2_saveexec_b64 s[12:13], s[14:15]
	s_cbranch_execz .LBB40_31
; %bb.26:                               ;   in Loop: Header=BB40_7 Depth=2
	s_xor_b64 s[10:11], s[10:11], -1
	s_and_saveexec_b64 s[14:15], s[10:11]
	s_xor_b64 s[10:11], exec, s[14:15]
; %bb.27:                               ;   in Loop: Header=BB40_7 Depth=2
	v_mov_b32_e32 v25, v24
	ds_write_b64 v46, v[24:25] offset:4224
; %bb.28:                               ;   in Loop: Header=BB40_7 Depth=2
	s_andn2_saveexec_b64 s[10:11], s[10:11]
; %bb.29:                               ;   in Loop: Header=BB40_7 Depth=2
	v_mov_b32_e32 v25, v51
	ds_write_b64 v46, v[24:25] offset:4224
; %bb.30:                               ;   in Loop: Header=BB40_7 Depth=2
	s_or_b64 exec, exec, s[10:11]
.LBB40_31:                              ;   in Loop: Header=BB40_7 Depth=2
	s_or_b64 exec, exec, s[12:13]
	v_mov_b32_e32 v20, s29
	v_add_co_u32_e64 v40, s[10:11], s28, v2
	v_addc_co_u32_e64 v41, s[10:11], v3, v20, s[10:11]
	v_mov_b32_e32 v20, s27
	v_add_co_u32_e64 v38, s[10:11], s26, v26
	v_addc_co_u32_e64 v39, s[10:11], v27, v20, s[10:11]
	v_cmp_gt_i64_e64 s[10:11], s[42:43], v[40:41]
	v_mov_b32_e32 v42, 0
	v_mov_b32_e32 v43, 0
	s_and_b64 s[14:15], vcc, s[10:11]
	s_and_saveexec_b64 s[12:13], s[14:15]
	s_cbranch_execz .LBB40_33
; %bb.32:                               ;   in Loop: Header=BB40_7 Depth=2
	global_load_dwordx2 v[42:43], v[38:39], off offset:-128
.LBB40_33:                              ;   in Loop: Header=BB40_7 Depth=2
	s_or_b64 exec, exec, s[12:13]
	v_cmp_gt_i64_e64 s[12:13], s[46:47], v[40:41]
	s_waitcnt vmcnt(0)
	ds_write_b64 v50, v[42:43]
	s_and_b64 s[14:15], vcc, s[12:13]
	s_xor_b64 s[14:15], s[14:15], -1
	s_and_saveexec_b64 s[16:17], s[14:15]
	s_xor_b64 s[14:15], exec, s[16:17]
; %bb.34:                               ;   in Loop: Header=BB40_7 Depth=2
	v_mov_b32_e32 v25, v24
	ds_write_b64 v50, v[24:25] offset:128
                                        ; implicit-def: $vgpr38_vgpr39
; %bb.35:                               ;   in Loop: Header=BB40_7 Depth=2
	s_andn2_saveexec_b64 s[14:15], s[14:15]
	s_cbranch_execz .LBB40_37
; %bb.36:                               ;   in Loop: Header=BB40_7 Depth=2
	global_load_dwordx2 v[38:39], v[38:39], off
	s_waitcnt vmcnt(0)
	ds_write_b64 v50, v[38:39] offset:128
.LBB40_37:                              ;   in Loop: Header=BB40_7 Depth=2
	s_or_b64 exec, exec, s[14:15]
	v_mov_b32_e32 v20, s27
	v_add_co_u32_e64 v38, s[14:15], s26, v28
	v_addc_co_u32_e64 v39, s[14:15], v29, v20, s[14:15]
	v_mov_b32_e32 v40, 0
	v_mov_b32_e32 v41, 0
	s_and_b64 s[14:15], s[8:9], s[10:11]
	s_and_saveexec_b64 s[10:11], s[14:15]
	s_cbranch_execz .LBB40_39
; %bb.38:                               ;   in Loop: Header=BB40_7 Depth=2
	global_load_dwordx2 v[40:41], v[38:39], off
.LBB40_39:                              ;   in Loop: Header=BB40_7 Depth=2
	s_or_b64 exec, exec, s[10:11]
	s_and_b64 s[10:11], s[8:9], s[12:13]
	s_xor_b64 s[10:11], s[10:11], -1
	s_waitcnt vmcnt(0)
	ds_write_b64 v50, v[40:41] offset:4096
	s_and_saveexec_b64 s[12:13], s[10:11]
	s_xor_b64 s[10:11], exec, s[12:13]
; %bb.40:                               ;   in Loop: Header=BB40_7 Depth=2
	v_mov_b32_e32 v25, v24
	ds_write_b64 v50, v[24:25] offset:4224
                                        ; implicit-def: $vgpr38_vgpr39
; %bb.41:                               ;   in Loop: Header=BB40_7 Depth=2
	s_andn2_saveexec_b64 s[10:11], s[10:11]
	s_cbranch_execz .LBB40_6
; %bb.42:                               ;   in Loop: Header=BB40_7 Depth=2
	global_load_dwordx2 v[38:39], v[38:39], off offset:128
	s_waitcnt vmcnt(0)
	ds_write_b64 v50, v[38:39] offset:4224
	s_branch .LBB40_6
.LBB40_43:                              ;   in Loop: Header=BB40_4 Depth=1
	v_mov_b32_e32 v36, 0
	v_mov_b32_e32 v34, 0
	;; [unrolled: 1-line block ×8, first 2 shown]
.LBB40_44:                              ;   in Loop: Header=BB40_4 Depth=1
	v_mul_lo_u32 v20, s45, v52
	v_mul_lo_u32 v21, s44, v53
	v_mad_u64_u32 v[25:26], s[8:9], s44, v52, 0
	v_cmp_gt_i32_e32 vcc, s30, v52
	v_add3_u32 v26, v26, v21, v20
	v_lshlrev_b64 v[25:26], 3, v[25:26]
	v_mov_b32_e32 v20, s49
	v_add_co_u32_e64 v23, s[8:9], s48, v25
	v_addc_co_u32_e64 v25, s[8:9], v20, v26, s[8:9]
	s_and_b64 s[8:9], s[4:5], vcc
	s_and_saveexec_b64 s[10:11], s[8:9]
	s_cbranch_execz .LBB40_46
; %bb.45:                               ;   in Loop: Header=BB40_4 Depth=1
	v_add_co_u32_e64 v20, s[8:9], v23, v12
	v_addc_co_u32_e64 v21, s[8:9], v25, v13, s[8:9]
	global_load_dwordx2 v[26:27], v[20:21], off
	s_waitcnt vmcnt(0)
	v_fma_f64 v[26:27], s[34:35], v[36:37], v[26:27]
	global_store_dwordx2 v[20:21], v[26:27], off
.LBB40_46:                              ;   in Loop: Header=BB40_4 Depth=1
	s_or_b64 exec, exec, s[10:11]
	s_and_b64 s[10:11], s[18:19], vcc
	s_and_saveexec_b64 s[8:9], s[10:11]
	s_cbranch_execz .LBB40_48
; %bb.47:                               ;   in Loop: Header=BB40_4 Depth=1
	v_lshlrev_b64 v[20:21], 3, v[8:9]
	v_add_co_u32_e32 v20, vcc, v23, v20
	v_addc_co_u32_e32 v21, vcc, v25, v21, vcc
	global_load_dwordx2 v[25:26], v[20:21], off
	s_waitcnt vmcnt(0)
	v_fma_f64 v[25:26], s[34:35], v[34:35], v[25:26]
	global_store_dwordx2 v[20:21], v[25:26], off
.LBB40_48:                              ;   in Loop: Header=BB40_4 Depth=1
	s_or_b64 exec, exec, s[8:9]
	v_add_u32_e32 v23, 16, v52
	v_ashrrev_i32_e32 v20, 31, v23
	v_mul_lo_u32 v25, s44, v20
	v_mul_lo_u32 v26, s45, v23
	v_mad_u64_u32 v[20:21], s[8:9], s44, v23, 0
	v_cmp_gt_i32_e32 vcc, s30, v23
	v_add3_u32 v21, v21, v25, v26
	v_lshlrev_b64 v[20:21], 3, v[20:21]
	v_mov_b32_e32 v25, s49
	v_add_co_u32_e64 v23, s[8:9], s48, v20
	v_addc_co_u32_e64 v25, s[8:9], v25, v21, s[8:9]
	s_and_b64 s[8:9], s[4:5], vcc
	s_and_saveexec_b64 s[10:11], s[8:9]
	s_cbranch_execz .LBB40_50
; %bb.49:                               ;   in Loop: Header=BB40_4 Depth=1
	v_add_co_u32_e64 v20, s[8:9], v23, v12
	v_addc_co_u32_e64 v21, s[8:9], v25, v13, s[8:9]
	global_load_dwordx2 v[26:27], v[20:21], off
	s_waitcnt vmcnt(0)
	v_fma_f64 v[26:27], s[34:35], v[32:33], v[26:27]
	global_store_dwordx2 v[20:21], v[26:27], off
.LBB40_50:                              ;   in Loop: Header=BB40_4 Depth=1
	s_or_b64 exec, exec, s[10:11]
	s_and_b64 s[10:11], s[18:19], vcc
	s_and_saveexec_b64 s[8:9], s[10:11]
	s_cbranch_execz .LBB40_3
; %bb.51:                               ;   in Loop: Header=BB40_4 Depth=1
	v_lshlrev_b64 v[20:21], 3, v[8:9]
	v_add_co_u32_e32 v20, vcc, v23, v20
	v_addc_co_u32_e32 v21, vcc, v25, v21, vcc
	global_load_dwordx2 v[25:26], v[20:21], off
	s_waitcnt vmcnt(0)
	v_fma_f64 v[25:26], s[34:35], v[30:31], v[25:26]
	global_store_dwordx2 v[20:21], v[25:26], off
	s_branch .LBB40_3
.LBB40_52:
	s_endpgm
	.section	.rodata,"a",@progbits
	.p2align	6, 0x0
	.amdhsa_kernel _ZL30rocblas_trmm_outofplace_kernelIdLi32ELi2ELb1ELb0ELb1ELb0EPKdS0_dEv17rocblas_diagonal_iiT6_lPT7_lllS5_lllPT8_llli
		.amdhsa_group_segment_fixed_size 16384
		.amdhsa_private_segment_fixed_size 12
		.amdhsa_kernarg_size 392
		.amdhsa_user_sgpr_count 6
		.amdhsa_user_sgpr_private_segment_buffer 1
		.amdhsa_user_sgpr_dispatch_ptr 0
		.amdhsa_user_sgpr_queue_ptr 0
		.amdhsa_user_sgpr_kernarg_segment_ptr 1
		.amdhsa_user_sgpr_dispatch_id 0
		.amdhsa_user_sgpr_flat_scratch_init 0
		.amdhsa_user_sgpr_private_segment_size 0
		.amdhsa_uses_dynamic_stack 0
		.amdhsa_system_sgpr_private_segment_wavefront_offset 1
		.amdhsa_system_sgpr_workgroup_id_x 1
		.amdhsa_system_sgpr_workgroup_id_y 1
		.amdhsa_system_sgpr_workgroup_id_z 1
		.amdhsa_system_sgpr_workgroup_info 0
		.amdhsa_system_vgpr_workitem_id 1
		.amdhsa_next_free_vgpr 64
		.amdhsa_next_free_sgpr 61
		.amdhsa_reserve_vcc 1
		.amdhsa_reserve_flat_scratch 0
		.amdhsa_float_round_mode_32 0
		.amdhsa_float_round_mode_16_64 0
		.amdhsa_float_denorm_mode_32 3
		.amdhsa_float_denorm_mode_16_64 3
		.amdhsa_dx10_clamp 1
		.amdhsa_ieee_mode 1
		.amdhsa_fp16_overflow 0
		.amdhsa_exception_fp_ieee_invalid_op 0
		.amdhsa_exception_fp_denorm_src 0
		.amdhsa_exception_fp_ieee_div_zero 0
		.amdhsa_exception_fp_ieee_overflow 0
		.amdhsa_exception_fp_ieee_underflow 0
		.amdhsa_exception_fp_ieee_inexact 0
		.amdhsa_exception_int_div_zero 0
	.end_amdhsa_kernel
	.section	.text._ZL30rocblas_trmm_outofplace_kernelIdLi32ELi2ELb1ELb0ELb1ELb0EPKdS0_dEv17rocblas_diagonal_iiT6_lPT7_lllS5_lllPT8_llli,"axG",@progbits,_ZL30rocblas_trmm_outofplace_kernelIdLi32ELi2ELb1ELb0ELb1ELb0EPKdS0_dEv17rocblas_diagonal_iiT6_lPT7_lllS5_lllPT8_llli,comdat
.Lfunc_end40:
	.size	_ZL30rocblas_trmm_outofplace_kernelIdLi32ELi2ELb1ELb0ELb1ELb0EPKdS0_dEv17rocblas_diagonal_iiT6_lPT7_lllS5_lllPT8_llli, .Lfunc_end40-_ZL30rocblas_trmm_outofplace_kernelIdLi32ELi2ELb1ELb0ELb1ELb0EPKdS0_dEv17rocblas_diagonal_iiT6_lPT7_lllS5_lllPT8_llli
                                        ; -- End function
	.set _ZL30rocblas_trmm_outofplace_kernelIdLi32ELi2ELb1ELb0ELb1ELb0EPKdS0_dEv17rocblas_diagonal_iiT6_lPT7_lllS5_lllPT8_llli.num_vgpr, 64
	.set _ZL30rocblas_trmm_outofplace_kernelIdLi32ELi2ELb1ELb0ELb1ELb0EPKdS0_dEv17rocblas_diagonal_iiT6_lPT7_lllS5_lllPT8_llli.num_agpr, 0
	.set _ZL30rocblas_trmm_outofplace_kernelIdLi32ELi2ELb1ELb0ELb1ELb0EPKdS0_dEv17rocblas_diagonal_iiT6_lPT7_lllS5_lllPT8_llli.numbered_sgpr, 60
	.set _ZL30rocblas_trmm_outofplace_kernelIdLi32ELi2ELb1ELb0ELb1ELb0EPKdS0_dEv17rocblas_diagonal_iiT6_lPT7_lllS5_lllPT8_llli.num_named_barrier, 0
	.set _ZL30rocblas_trmm_outofplace_kernelIdLi32ELi2ELb1ELb0ELb1ELb0EPKdS0_dEv17rocblas_diagonal_iiT6_lPT7_lllS5_lllPT8_llli.private_seg_size, 12
	.set _ZL30rocblas_trmm_outofplace_kernelIdLi32ELi2ELb1ELb0ELb1ELb0EPKdS0_dEv17rocblas_diagonal_iiT6_lPT7_lllS5_lllPT8_llli.uses_vcc, 1
	.set _ZL30rocblas_trmm_outofplace_kernelIdLi32ELi2ELb1ELb0ELb1ELb0EPKdS0_dEv17rocblas_diagonal_iiT6_lPT7_lllS5_lllPT8_llli.uses_flat_scratch, 0
	.set _ZL30rocblas_trmm_outofplace_kernelIdLi32ELi2ELb1ELb0ELb1ELb0EPKdS0_dEv17rocblas_diagonal_iiT6_lPT7_lllS5_lllPT8_llli.has_dyn_sized_stack, 0
	.set _ZL30rocblas_trmm_outofplace_kernelIdLi32ELi2ELb1ELb0ELb1ELb0EPKdS0_dEv17rocblas_diagonal_iiT6_lPT7_lllS5_lllPT8_llli.has_recursion, 0
	.set _ZL30rocblas_trmm_outofplace_kernelIdLi32ELi2ELb1ELb0ELb1ELb0EPKdS0_dEv17rocblas_diagonal_iiT6_lPT7_lllS5_lllPT8_llli.has_indirect_call, 0
	.section	.AMDGPU.csdata,"",@progbits
; Kernel info:
; codeLenInByte = 3892
; TotalNumSgprs: 64
; NumVgprs: 64
; ScratchSize: 12
; MemoryBound: 0
; FloatMode: 240
; IeeeMode: 1
; LDSByteSize: 16384 bytes/workgroup (compile time only)
; SGPRBlocks: 8
; VGPRBlocks: 15
; NumSGPRsForWavesPerEU: 65
; NumVGPRsForWavesPerEU: 64
; Occupancy: 4
; WaveLimiterHint : 0
; COMPUTE_PGM_RSRC2:SCRATCH_EN: 1
; COMPUTE_PGM_RSRC2:USER_SGPR: 6
; COMPUTE_PGM_RSRC2:TRAP_HANDLER: 0
; COMPUTE_PGM_RSRC2:TGID_X_EN: 1
; COMPUTE_PGM_RSRC2:TGID_Y_EN: 1
; COMPUTE_PGM_RSRC2:TGID_Z_EN: 1
; COMPUTE_PGM_RSRC2:TIDIG_COMP_CNT: 1
	.section	.text._ZL30rocblas_trmm_outofplace_kernelIdLi32ELi2ELb1ELb0ELb1ELb0EdKddEv17rocblas_diagonal_iiT6_lPT7_lllS4_lllPT8_llli,"axG",@progbits,_ZL30rocblas_trmm_outofplace_kernelIdLi32ELi2ELb1ELb0ELb1ELb0EdKddEv17rocblas_diagonal_iiT6_lPT7_lllS4_lllPT8_llli,comdat
	.globl	_ZL30rocblas_trmm_outofplace_kernelIdLi32ELi2ELb1ELb0ELb1ELb0EdKddEv17rocblas_diagonal_iiT6_lPT7_lllS4_lllPT8_llli ; -- Begin function _ZL30rocblas_trmm_outofplace_kernelIdLi32ELi2ELb1ELb0ELb1ELb0EdKddEv17rocblas_diagonal_iiT6_lPT7_lllS4_lllPT8_llli
	.p2align	8
	.type	_ZL30rocblas_trmm_outofplace_kernelIdLi32ELi2ELb1ELb0ELb1ELb0EdKddEv17rocblas_diagonal_iiT6_lPT7_lllS4_lllPT8_llli,@function
_ZL30rocblas_trmm_outofplace_kernelIdLi32ELi2ELb1ELb0ELb1ELb0EdKddEv17rocblas_diagonal_iiT6_lPT7_lllS4_lllPT8_llli: ; @_ZL30rocblas_trmm_outofplace_kernelIdLi32ELi2ELb1ELb0ELb1ELb0EdKddEv17rocblas_diagonal_iiT6_lPT7_lllS4_lllPT8_llli
; %bb.0:
	s_load_dwordx2 s[34:35], s[4:5], 0x10
	s_mov_b64 s[54:55], s[2:3]
	s_mov_b64 s[52:53], s[0:1]
	s_add_u32 s52, s52, s9
	s_addc_u32 s53, s53, 0
	s_waitcnt lgkmcnt(0)
	v_cmp_eq_f64_e64 s[0:1], s[34:35], 0
	s_and_b64 vcc, exec, s[0:1]
	s_cbranch_vccnz .LBB41_52
; %bb.1:
	s_load_dwordx4 s[28:31], s[4:5], 0x0
	s_waitcnt lgkmcnt(0)
	s_add_i32 s0, s30, -1
	s_ashr_i32 s1, s0, 31
	s_lshr_b32 s1, s1, 27
	s_add_i32 s0, s0, s1
	s_ashr_i32 s31, s0, 5
	s_cmp_gt_i32 s7, s31
	s_cbranch_scc1 .LBB41_52
; %bb.2:
	s_load_dwordx16 s[12:27], s[4:5], 0x20
	s_load_dwordx8 s[36:43], s[4:5], 0x60
	s_load_dword s48, s[4:5], 0x8c
	v_mov_b32_e32 v51, 0x3ff00000
	v_mov_b32_e32 v24, 0
	s_waitcnt lgkmcnt(0)
	s_mul_i32 s1, s19, s8
	s_mul_hi_u32 s2, s18, s8
	s_mul_i32 s0, s18, s8
	s_add_i32 s1, s2, s1
	s_lshl_b64 s[10:11], s[0:1], 3
	s_add_u32 s0, s12, s10
	s_addc_u32 s1, s13, s11
	s_lshl_b64 s[14:15], s[14:15], 3
	s_add_u32 s2, s0, s14
	s_addc_u32 s3, s1, s15
	s_mul_i32 s0, s43, s8
	s_mul_hi_u32 s1, s42, s8
	s_add_i32 s1, s1, s0
	s_mul_i32 s0, s42, s8
	s_lshl_b64 s[0:1], s[0:1], 3
	s_add_u32 s9, s36, s0
	s_addc_u32 s18, s37, s1
	s_lshl_b64 s[0:1], s[38:39], 3
	s_add_u32 s33, s9, s0
	s_addc_u32 s46, s18, s1
	s_lshl_b32 s6, s6, 5
	v_add_u32_e32 v2, s6, v0
	v_ashrrev_i32_e32 v3, 31, v2
	v_mul_lo_u32 v8, s16, v3
	v_mul_lo_u32 v9, s17, v2
	v_mad_u64_u32 v[6:7], s[0:1], s16, v2, 0
	v_add_u32_e32 v4, s6, v1
	s_sub_i32 s6, s29, s6
	v_add3_u32 v7, v7, v8, v9
	v_lshlrev_b64 v[6:7], 3, v[6:7]
	s_cmp_gt_i32 s6, 0
	v_ashrrev_i32_e32 v5, 31, v4
	s_cselect_b64 s[36:37], -1, 0
	s_cmpk_eq_i32 s28, 0x84
	v_mov_b32_e32 v8, s3
	v_add_co_u32_e32 v6, vcc, s2, v6
	v_lshlrev_b64 v[20:21], 3, v[4:5]
	s_cselect_b64 s[38:39], -1, 0
	s_ashr_i32 s43, s29, 31
	s_ashr_i32 s47, s30, 31
	v_addc_co_u32_e32 v7, vcc, v8, v7, vcc
	s_add_u32 s44, s29, -16
	s_mul_i32 s9, s27, s8
	s_mul_hi_u32 s27, s26, s8
	v_add_co_u32_e32 v44, vcc, v6, v20
	s_addc_u32 s45, s43, -1
	s_add_i32 s9, s27, s9
	s_mul_i32 s8, s26, s8
	v_addc_co_u32_e32 v45, vcc, v7, v21, vcc
	v_lshlrev_b32_e32 v6, 8, v1
	v_lshlrev_b32_e32 v0, 3, v0
	s_lshl_b64 s[8:9], s[8:9], 3
	s_lshl_b64 s[22:23], s[22:23], 3
	v_add_u32_e32 v46, v0, v6
	v_add_u32_e32 v47, 0x2000, v6
	v_add_co_u32_e32 v6, vcc, 16, v2
	s_add_u32 s8, s8, s22
	v_addc_co_u32_e32 v7, vcc, 0, v3, vcc
	s_addc_u32 s9, s9, s23
	v_sub_co_u32_e32 v10, vcc, v2, v4
	v_lshlrev_b64 v[12:13], 3, v[2:3]
	s_add_u32 s8, s20, s8
	v_subb_co_u32_e32 v11, vcc, v3, v5, vcc
	s_addc_u32 s9, s21, s9
	s_lshl_b64 s[22:23], s[24:25], 3
	s_lshl_b32 s49, s48, 5
	v_mov_b32_e32 v15, s9
	v_add_co_u32_e32 v14, vcc, s8, v12
	s_add_u32 s8, s14, s10
	v_addc_co_u32_e32 v15, vcc, v15, v13, vcc
	s_movk_i32 s20, 0x80
	s_addc_u32 s9, s15, s11
	v_add_co_u32_e32 v18, vcc, s20, v12
	v_mov_b32_e32 v17, s9
	v_addc_co_u32_e32 v19, vcc, 0, v13, vcc
	v_mov_b32_e32 v16, s8
	v_mad_u64_u32 v[22:23], s[8:9], s16, v18, v[16:17]
	v_mul_lo_u32 v19, s16, v19
	v_mul_lo_u32 v18, s17, v18
	v_add_co_u32_e32 v16, vcc, 16, v10
	v_addc_co_u32_e32 v17, vcc, 0, v11, vcc
	v_add3_u32 v23, v18, v23, v19
	v_add_co_u32_e32 v18, vcc, -16, v10
	v_addc_co_u32_e32 v19, vcc, -1, v11, vcc
	v_add_co_u32_e32 v20, vcc, v22, v20
	v_addc_co_u32_e32 v21, vcc, v23, v21, vcc
	v_mov_b32_e32 v22, s13
	v_add_co_u32_e32 v48, vcc, s12, v20
	s_mov_b32 s42, s29
	v_addc_co_u32_e32 v49, vcc, v22, v21, vcc
	v_cmp_le_i64_e64 s[2:3], s[42:43], v[6:7]
	v_add_u32_e32 v8, 16, v2
	v_add_co_u32_e32 v20, vcc, s20, v14
	v_cmp_le_i32_e64 s[0:1], s29, v2
	v_cmp_gt_i32_e64 s[4:5], s29, v2
	v_cmp_gt_i32_e64 s[18:19], s29, v8
	v_ashrrev_i32_e32 v9, 31, v8
	v_addc_co_u32_e32 v21, vcc, 0, v15, vcc
	v_add_u32_e32 v50, v47, v0
	v_lshl_add_u32 v22, s7, 5, v1
	buffer_store_dword v20, off, s[52:55], 0 ; 4-byte Folded Spill
	s_nop 0
	buffer_store_dword v21, off, s[52:55], 0 offset:4 ; 4-byte Folded Spill
	s_branch .LBB41_4
.LBB41_3:                               ;   in Loop: Header=BB41_4 Depth=1
	s_or_b64 exec, exec, s[8:9]
	s_add_i32 s7, s48, s7
	s_cmp_le_i32 s7, s31
	v_add_u32_e32 v22, s49, v22
	s_cbranch_scc0 .LBB41_52
.LBB41_4:                               ; =>This Loop Header: Depth=1
                                        ;     Child Loop BB41_7 Depth 2
	v_lshl_add_u32 v52, s7, 5, v1
	s_andn2_b64 vcc, exec, s[36:37]
	v_ashrrev_i32_e32 v53, 31, v52
	s_cbranch_vccnz .LBB41_43
; %bb.5:                                ;   in Loop: Header=BB41_4 Depth=1
	buffer_load_dword v20, off, s[52:55], 0 ; 4-byte Folded Reload
	buffer_load_dword v21, off, s[52:55], 0 offset:4 ; 4-byte Folded Reload
	v_ashrrev_i32_e32 v23, 31, v22
	v_lshlrev_b64 v[28:29], 3, v[22:23]
	v_mov_b32_e32 v32, 0
	v_mov_b32_e32 v34, 0
	;; [unrolled: 1-line block ×3, first 2 shown]
	s_mov_b64 s[26:27], 0
	v_mov_b32_e32 v33, 0
	v_mov_b32_e32 v35, 0
	;; [unrolled: 1-line block ×3, first 2 shown]
	s_mov_b64 s[28:29], 0
	s_waitcnt vmcnt(0)
	v_mad_u64_u32 v[26:27], s[8:9], s22, v22, v[20:21]
	v_mul_lo_u32 v21, s22, v23
	v_add_co_u32_e32 v23, vcc, 0x80, v28
	v_addc_co_u32_e32 v25, vcc, 0, v29, vcc
	v_mul_lo_u32 v20, s23, v22
	v_mul_lo_u32 v25, s24, v25
	;; [unrolled: 1-line block ×3, first 2 shown]
	v_mad_u64_u32 v[28:29], s[8:9], s24, v23, v[14:15]
	v_add3_u32 v27, v20, v27, v21
	v_mov_b32_e32 v20, s47
	v_add3_u32 v29, v30, v29, v25
	v_sub_co_u32_e32 v30, vcc, s30, v52
	v_subb_co_u32_e32 v31, vcc, v20, v53, vcc
	v_cmp_lt_i64_e32 vcc, 0, v[30:31]
	v_cmp_lt_i64_e64 s[8:9], 16, v[30:31]
	v_mov_b32_e32 v30, 0
	v_mov_b32_e32 v31, 0
	s_branch .LBB41_7
.LBB41_6:                               ;   in Loop: Header=BB41_7 Depth=2
	s_or_b64 exec, exec, s[10:11]
	s_waitcnt lgkmcnt(0)
	s_barrier
	ds_read_b128 v[38:41], v47
	ds_read2_b64 v[54:57], v0 offset1:16
	ds_read_b128 v[58:61], v47 offset:4096
	v_add_u32_e32 v23, 0x800, v0
	s_add_u32 s28, s28, 32
	s_addc_u32 s29, s29, 0
	s_waitcnt lgkmcnt(1)
	v_fma_f64 v[42:43], v[54:55], v[38:39], v[36:37]
	v_fma_f64 v[62:63], v[56:57], v[38:39], v[34:35]
	s_waitcnt lgkmcnt(0)
	v_fma_f64 v[20:21], v[54:55], v[58:59], v[32:33]
	v_fma_f64 v[30:31], v[56:57], v[58:59], v[30:31]
	ds_read2_b64 v[32:35], v0 offset0:32 offset1:48
	ds_read_b128 v[36:39], v47 offset:16
	ds_read2_b64 v[54:57], v0 offset0:64 offset1:80
	s_add_u32 s26, s26, 0x100
	s_addc_u32 s27, s27, 0
	s_cmp_ge_i32 s28, s6
	s_waitcnt lgkmcnt(2)
	v_fma_f64 v[58:59], v[32:33], v[40:41], v[42:43]
	v_fma_f64 v[62:63], v[34:35], v[40:41], v[62:63]
	;; [unrolled: 1-line block ×4, first 2 shown]
	ds_read_b128 v[30:33], v47 offset:4112
	ds_read2_b64 v[40:43], v0 offset0:96 offset1:112
	s_waitcnt lgkmcnt(2)
	v_fma_f64 v[58:59], v[54:55], v[36:37], v[58:59]
	v_fma_f64 v[60:61], v[56:57], v[36:37], v[62:63]
	s_waitcnt lgkmcnt(1)
	v_fma_f64 v[20:21], v[54:55], v[30:31], v[20:21]
	v_fma_f64 v[30:31], v[56:57], v[30:31], v[34:35]
	ds_read_b128 v[34:37], v47 offset:32
	ds_read2_b64 v[54:57], v0 offset0:128 offset1:144
	s_waitcnt lgkmcnt(2)
	v_fma_f64 v[58:59], v[40:41], v[38:39], v[58:59]
	v_fma_f64 v[60:61], v[42:43], v[38:39], v[60:61]
	;; [unrolled: 1-line block ×4, first 2 shown]
	ds_read_b128 v[30:33], v47 offset:4128
	ds_read2_b64 v[38:41], v0 offset0:160 offset1:176
	s_waitcnt lgkmcnt(2)
	v_fma_f64 v[62:63], v[54:55], v[34:35], v[58:59]
	v_fma_f64 v[34:35], v[56:57], v[34:35], v[60:61]
	s_waitcnt lgkmcnt(1)
	v_fma_f64 v[20:21], v[54:55], v[30:31], v[20:21]
	v_fma_f64 v[30:31], v[56:57], v[30:31], v[42:43]
	ds_read_b128 v[54:57], v47 offset:48
	ds_read2_b64 v[58:61], v0 offset0:192 offset1:208
	s_waitcnt lgkmcnt(2)
	v_fma_f64 v[42:43], v[38:39], v[36:37], v[62:63]
	v_fma_f64 v[62:63], v[40:41], v[36:37], v[34:35]
	;; [unrolled: 1-line block ×4, first 2 shown]
	ds_read_b128 v[30:33], v47 offset:4144
	ds_read2_b64 v[34:37], v0 offset0:224 offset1:240
	s_waitcnt lgkmcnt(2)
	v_fma_f64 v[42:43], v[58:59], v[54:55], v[42:43]
	v_fma_f64 v[54:55], v[60:61], v[54:55], v[62:63]
	s_waitcnt lgkmcnt(1)
	v_fma_f64 v[20:21], v[58:59], v[30:31], v[20:21]
	v_fma_f64 v[30:31], v[60:61], v[30:31], v[38:39]
	ds_read_b128 v[38:41], v47 offset:64
	ds_read2_b64 v[58:61], v23 offset1:16
	s_waitcnt lgkmcnt(2)
	v_fma_f64 v[42:43], v[34:35], v[56:57], v[42:43]
	v_fma_f64 v[54:55], v[36:37], v[56:57], v[54:55]
	v_fma_f64 v[20:21], v[34:35], v[32:33], v[20:21]
	v_fma_f64 v[56:57], v[36:37], v[32:33], v[30:31]
	ds_read_b128 v[30:33], v47 offset:4160
	ds_read2_b64 v[34:37], v23 offset0:32 offset1:48
	s_waitcnt lgkmcnt(2)
	v_fma_f64 v[42:43], v[58:59], v[38:39], v[42:43]
	v_fma_f64 v[38:39], v[60:61], v[38:39], v[54:55]
	s_waitcnt lgkmcnt(1)
	v_fma_f64 v[20:21], v[58:59], v[30:31], v[20:21]
	v_fma_f64 v[30:31], v[60:61], v[30:31], v[56:57]
	ds_read_b128 v[54:57], v47 offset:80
	ds_read2_b64 v[58:61], v23 offset0:64 offset1:80
	s_waitcnt lgkmcnt(2)
	v_fma_f64 v[42:43], v[34:35], v[40:41], v[42:43]
	v_fma_f64 v[38:39], v[36:37], v[40:41], v[38:39]
	v_fma_f64 v[20:21], v[34:35], v[32:33], v[20:21]
	v_fma_f64 v[40:41], v[36:37], v[32:33], v[30:31]
	ds_read_b128 v[30:33], v47 offset:4176
	ds_read2_b64 v[34:37], v23 offset0:96 offset1:112
	s_waitcnt lgkmcnt(2)
	v_fma_f64 v[42:43], v[58:59], v[54:55], v[42:43]
	v_fma_f64 v[54:55], v[60:61], v[54:55], v[38:39]
	s_waitcnt lgkmcnt(1)
	v_fma_f64 v[20:21], v[58:59], v[30:31], v[20:21]
	v_fma_f64 v[30:31], v[60:61], v[30:31], v[40:41]
	ds_read_b128 v[38:41], v47 offset:96
	ds_read2_b64 v[58:61], v23 offset0:128 offset1:144
	;; [unrolled: 15-line block ×3, first 2 shown]
	s_waitcnt lgkmcnt(2)
	v_fma_f64 v[42:43], v[34:35], v[40:41], v[42:43]
	v_fma_f64 v[38:39], v[36:37], v[40:41], v[38:39]
	;; [unrolled: 1-line block ×4, first 2 shown]
	ds_read_b128 v[30:33], v47 offset:4208
	ds_read2_b64 v[34:37], v23 offset0:224 offset1:240
	v_add_u32_e32 v23, 0x1000, v0
	s_waitcnt lgkmcnt(2)
	v_fma_f64 v[42:43], v[58:59], v[54:55], v[42:43]
	v_fma_f64 v[54:55], v[60:61], v[54:55], v[38:39]
	s_waitcnt lgkmcnt(1)
	v_fma_f64 v[20:21], v[58:59], v[30:31], v[20:21]
	v_fma_f64 v[30:31], v[60:61], v[30:31], v[40:41]
	ds_read_b128 v[38:41], v47 offset:128
	ds_read2_b64 v[58:61], v23 offset1:16
	s_waitcnt lgkmcnt(2)
	v_fma_f64 v[42:43], v[34:35], v[56:57], v[42:43]
	v_fma_f64 v[54:55], v[36:37], v[56:57], v[54:55]
	v_fma_f64 v[20:21], v[34:35], v[32:33], v[20:21]
	v_fma_f64 v[56:57], v[36:37], v[32:33], v[30:31]
	ds_read_b128 v[30:33], v47 offset:4224
	ds_read2_b64 v[34:37], v23 offset0:32 offset1:48
	s_waitcnt lgkmcnt(2)
	v_fma_f64 v[42:43], v[58:59], v[38:39], v[42:43]
	v_fma_f64 v[38:39], v[60:61], v[38:39], v[54:55]
	s_waitcnt lgkmcnt(1)
	v_fma_f64 v[20:21], v[58:59], v[30:31], v[20:21]
	v_fma_f64 v[30:31], v[60:61], v[30:31], v[56:57]
	ds_read_b128 v[54:57], v47 offset:144
	ds_read2_b64 v[58:61], v23 offset0:64 offset1:80
	s_waitcnt lgkmcnt(2)
	v_fma_f64 v[42:43], v[34:35], v[40:41], v[42:43]
	v_fma_f64 v[38:39], v[36:37], v[40:41], v[38:39]
	v_fma_f64 v[20:21], v[34:35], v[32:33], v[20:21]
	v_fma_f64 v[40:41], v[36:37], v[32:33], v[30:31]
	ds_read_b128 v[30:33], v47 offset:4240
	ds_read2_b64 v[34:37], v23 offset0:96 offset1:112
	s_waitcnt lgkmcnt(2)
	v_fma_f64 v[42:43], v[58:59], v[54:55], v[42:43]
	v_fma_f64 v[54:55], v[60:61], v[54:55], v[38:39]
	s_waitcnt lgkmcnt(1)
	v_fma_f64 v[20:21], v[58:59], v[30:31], v[20:21]
	v_fma_f64 v[30:31], v[60:61], v[30:31], v[40:41]
	ds_read_b128 v[38:41], v47 offset:160
	ds_read2_b64 v[58:61], v23 offset0:128 offset1:144
	;; [unrolled: 15-line block ×3, first 2 shown]
	s_waitcnt lgkmcnt(2)
	v_fma_f64 v[42:43], v[34:35], v[40:41], v[42:43]
	v_fma_f64 v[38:39], v[36:37], v[40:41], v[38:39]
	;; [unrolled: 1-line block ×4, first 2 shown]
	ds_read_b128 v[30:33], v47 offset:4272
	ds_read2_b64 v[34:37], v23 offset0:224 offset1:240
	v_add_u32_e32 v23, 0x1800, v0
	s_waitcnt lgkmcnt(2)
	v_fma_f64 v[42:43], v[58:59], v[54:55], v[42:43]
	v_fma_f64 v[54:55], v[60:61], v[54:55], v[38:39]
	s_waitcnt lgkmcnt(1)
	v_fma_f64 v[20:21], v[58:59], v[30:31], v[20:21]
	v_fma_f64 v[30:31], v[60:61], v[30:31], v[40:41]
	ds_read_b128 v[38:41], v47 offset:192
	ds_read2_b64 v[58:61], v23 offset1:16
	s_waitcnt lgkmcnt(2)
	v_fma_f64 v[42:43], v[34:35], v[56:57], v[42:43]
	v_fma_f64 v[54:55], v[36:37], v[56:57], v[54:55]
	v_fma_f64 v[20:21], v[34:35], v[32:33], v[20:21]
	v_fma_f64 v[56:57], v[36:37], v[32:33], v[30:31]
	ds_read_b128 v[30:33], v47 offset:4288
	ds_read2_b64 v[34:37], v23 offset0:32 offset1:48
	s_waitcnt lgkmcnt(2)
	v_fma_f64 v[42:43], v[58:59], v[38:39], v[42:43]
	v_fma_f64 v[38:39], v[60:61], v[38:39], v[54:55]
	s_waitcnt lgkmcnt(1)
	v_fma_f64 v[20:21], v[58:59], v[30:31], v[20:21]
	v_fma_f64 v[30:31], v[60:61], v[30:31], v[56:57]
	ds_read_b128 v[54:57], v47 offset:208
	ds_read2_b64 v[58:61], v23 offset0:64 offset1:80
	s_waitcnt lgkmcnt(2)
	v_fma_f64 v[42:43], v[34:35], v[40:41], v[42:43]
	v_fma_f64 v[38:39], v[36:37], v[40:41], v[38:39]
	v_fma_f64 v[20:21], v[34:35], v[32:33], v[20:21]
	v_fma_f64 v[40:41], v[36:37], v[32:33], v[30:31]
	ds_read_b128 v[30:33], v47 offset:4304
	ds_read2_b64 v[34:37], v23 offset0:96 offset1:112
	s_waitcnt lgkmcnt(2)
	v_fma_f64 v[42:43], v[58:59], v[54:55], v[42:43]
	v_fma_f64 v[54:55], v[60:61], v[54:55], v[38:39]
	s_waitcnt lgkmcnt(1)
	v_fma_f64 v[20:21], v[58:59], v[30:31], v[20:21]
	v_fma_f64 v[30:31], v[60:61], v[30:31], v[40:41]
	ds_read_b128 v[38:41], v47 offset:224
	ds_read2_b64 v[58:61], v23 offset0:128 offset1:144
	;; [unrolled: 15-line block ×3, first 2 shown]
	s_waitcnt lgkmcnt(2)
	v_fma_f64 v[42:43], v[34:35], v[40:41], v[42:43]
	v_fma_f64 v[40:41], v[36:37], v[40:41], v[38:39]
	;; [unrolled: 1-line block ×4, first 2 shown]
	ds_read_b128 v[36:39], v47 offset:4336
	s_waitcnt lgkmcnt(1)
	v_fma_f64 v[32:33], v[58:59], v[54:55], v[42:43]
	v_fma_f64 v[34:35], v[60:61], v[54:55], v[40:41]
	s_waitcnt lgkmcnt(0)
	v_fma_f64 v[20:21], v[58:59], v[36:37], v[20:21]
	v_fma_f64 v[30:31], v[60:61], v[36:37], v[30:31]
	ds_read2_b64 v[40:43], v23 offset0:224 offset1:240
	s_waitcnt lgkmcnt(0)
	s_barrier
	v_fma_f64 v[36:37], v[40:41], v[56:57], v[32:33]
	v_fma_f64 v[34:35], v[42:43], v[56:57], v[34:35]
	;; [unrolled: 1-line block ×4, first 2 shown]
	s_cbranch_scc1 .LBB41_44
.LBB41_7:                               ;   Parent Loop BB41_4 Depth=1
                                        ; =>  This Inner Loop Header: Depth=2
	v_mov_b32_e32 v20, s29
	v_add_co_u32_e64 v40, s[10:11], s28, v4
	v_addc_co_u32_e64 v41, s[10:11], v5, v20, s[10:11]
	v_mov_b32_e32 v20, s27
	v_add_co_u32_e64 v38, s[10:11], s26, v44
	v_addc_co_u32_e64 v39, s[10:11], v45, v20, s[10:11]
	v_cmp_le_i64_e64 s[14:15], s[42:43], v[40:41]
	v_cmp_eq_u64_e64 s[10:11], s[28:29], v[10:11]
	v_cmp_lt_i64_e64 s[12:13], v[40:41], v[2:3]
	s_and_b64 s[10:11], s[38:39], s[10:11]
	s_or_b64 s[16:17], s[14:15], s[12:13]
	s_or_b64 s[16:17], s[16:17], s[10:11]
	s_nor_b64 s[16:17], s[0:1], s[16:17]
                                        ; implicit-def: $vgpr42_vgpr43
	s_and_saveexec_b64 s[20:21], s[16:17]
	s_xor_b64 s[16:17], exec, s[20:21]
	s_cbranch_execz .LBB41_9
; %bb.8:                                ;   in Loop: Header=BB41_7 Depth=2
	global_load_dwordx2 v[42:43], v[38:39], off
.LBB41_9:                               ;   in Loop: Header=BB41_7 Depth=2
	s_andn2_saveexec_b64 s[16:17], s[16:17]
	s_cbranch_execz .LBB41_11
; %bb.10:                               ;   in Loop: Header=BB41_7 Depth=2
	v_cndmask_b32_e64 v25, 0, v51, s[10:11]
	s_waitcnt vmcnt(0)
	v_mov_b32_e32 v43, v25
	v_mov_b32_e32 v42, v24
.LBB41_11:                              ;   in Loop: Header=BB41_7 Depth=2
	s_or_b64 exec, exec, s[16:17]
	v_cmp_eq_u64_e64 s[16:17], s[28:29], v[16:17]
	v_cmp_gt_i64_e64 s[20:21], v[6:7], v[40:41]
	s_and_b64 s[16:17], s[38:39], s[16:17]
	s_or_b64 s[14:15], s[14:15], s[20:21]
	s_or_b64 s[14:15], s[14:15], s[16:17]
	s_nor_b64 s[14:15], s[2:3], s[14:15]
	s_waitcnt vmcnt(0)
	ds_write_b64 v46, v[42:43]
	s_and_saveexec_b64 s[20:21], s[14:15]
	s_xor_b64 s[20:21], exec, s[20:21]
	s_cbranch_execz .LBB41_13
; %bb.12:                               ;   in Loop: Header=BB41_7 Depth=2
	v_mov_b32_e32 v20, s27
	v_add_co_u32_e64 v42, s[14:15], s26, v48
	v_addc_co_u32_e64 v43, s[14:15], v49, v20, s[14:15]
	global_load_dwordx2 v[42:43], v[42:43], off
	s_waitcnt vmcnt(0)
	ds_write_b64 v46, v[42:43] offset:128
.LBB41_13:                              ;   in Loop: Header=BB41_7 Depth=2
	s_andn2_saveexec_b64 s[14:15], s[20:21]
	s_cbranch_execz .LBB41_19
; %bb.14:                               ;   in Loop: Header=BB41_7 Depth=2
	s_xor_b64 s[16:17], s[16:17], -1
	s_and_saveexec_b64 s[20:21], s[16:17]
	s_xor_b64 s[16:17], exec, s[20:21]
; %bb.15:                               ;   in Loop: Header=BB41_7 Depth=2
	v_mov_b32_e32 v25, v24
	ds_write_b64 v46, v[24:25] offset:128
; %bb.16:                               ;   in Loop: Header=BB41_7 Depth=2
	s_andn2_saveexec_b64 s[16:17], s[16:17]
; %bb.17:                               ;   in Loop: Header=BB41_7 Depth=2
	v_mov_b32_e32 v25, v51
	ds_write_b64 v46, v[24:25] offset:128
; %bb.18:                               ;   in Loop: Header=BB41_7 Depth=2
	s_or_b64 exec, exec, s[16:17]
.LBB41_19:                              ;   in Loop: Header=BB41_7 Depth=2
	s_or_b64 exec, exec, s[14:15]
	v_add_co_u32_e64 v40, s[14:15], 16, v40
	v_addc_co_u32_e64 v41, s[14:15], 0, v41, s[14:15]
	v_cmp_le_i64_e64 s[14:15], s[42:43], v[40:41]
	v_cmp_eq_u64_e64 s[16:17], s[28:29], v[18:19]
	v_cmp_lt_i64_e64 s[20:21], v[40:41], v[2:3]
	s_and_b64 s[16:17], s[38:39], s[16:17]
	s_or_b64 s[20:21], s[14:15], s[20:21]
	s_or_b64 s[20:21], s[20:21], s[16:17]
	s_nor_b64 s[20:21], s[0:1], s[20:21]
                                        ; implicit-def: $vgpr40_vgpr41
	s_and_saveexec_b64 s[50:51], s[20:21]
	s_xor_b64 s[20:21], exec, s[50:51]
	s_cbranch_execz .LBB41_21
; %bb.20:                               ;   in Loop: Header=BB41_7 Depth=2
	global_load_dwordx2 v[40:41], v[38:39], off offset:128
.LBB41_21:                              ;   in Loop: Header=BB41_7 Depth=2
	s_andn2_saveexec_b64 s[20:21], s[20:21]
	s_cbranch_execz .LBB41_23
; %bb.22:                               ;   in Loop: Header=BB41_7 Depth=2
	v_cndmask_b32_e64 v25, 0, v51, s[16:17]
	s_waitcnt vmcnt(0)
	v_mov_b32_e32 v41, v25
	v_mov_b32_e32 v40, v24
.LBB41_23:                              ;   in Loop: Header=BB41_7 Depth=2
	s_or_b64 exec, exec, s[20:21]
	s_or_b64 s[12:13], s[14:15], s[12:13]
	s_or_b64 s[12:13], s[12:13], s[10:11]
	s_nor_b64 s[12:13], s[2:3], s[12:13]
	s_waitcnt vmcnt(0)
	ds_write_b64 v46, v[40:41] offset:4096
	s_and_saveexec_b64 s[14:15], s[12:13]
	s_xor_b64 s[14:15], exec, s[14:15]
	s_cbranch_execz .LBB41_25
; %bb.24:                               ;   in Loop: Header=BB41_7 Depth=2
	v_mov_b32_e32 v20, s27
	v_add_co_u32_e64 v38, s[12:13], s26, v48
	v_addc_co_u32_e64 v39, s[12:13], v49, v20, s[12:13]
	global_load_dwordx2 v[38:39], v[38:39], off offset:128
	s_waitcnt vmcnt(0)
	ds_write_b64 v46, v[38:39] offset:4224
.LBB41_25:                              ;   in Loop: Header=BB41_7 Depth=2
	s_andn2_saveexec_b64 s[12:13], s[14:15]
	s_cbranch_execz .LBB41_31
; %bb.26:                               ;   in Loop: Header=BB41_7 Depth=2
	s_xor_b64 s[10:11], s[10:11], -1
	s_and_saveexec_b64 s[14:15], s[10:11]
	s_xor_b64 s[10:11], exec, s[14:15]
; %bb.27:                               ;   in Loop: Header=BB41_7 Depth=2
	v_mov_b32_e32 v25, v24
	ds_write_b64 v46, v[24:25] offset:4224
; %bb.28:                               ;   in Loop: Header=BB41_7 Depth=2
	s_andn2_saveexec_b64 s[10:11], s[10:11]
; %bb.29:                               ;   in Loop: Header=BB41_7 Depth=2
	v_mov_b32_e32 v25, v51
	ds_write_b64 v46, v[24:25] offset:4224
; %bb.30:                               ;   in Loop: Header=BB41_7 Depth=2
	s_or_b64 exec, exec, s[10:11]
.LBB41_31:                              ;   in Loop: Header=BB41_7 Depth=2
	s_or_b64 exec, exec, s[12:13]
	v_mov_b32_e32 v20, s29
	v_add_co_u32_e64 v40, s[10:11], s28, v2
	v_addc_co_u32_e64 v41, s[10:11], v3, v20, s[10:11]
	v_mov_b32_e32 v20, s27
	v_add_co_u32_e64 v38, s[10:11], s26, v26
	v_addc_co_u32_e64 v39, s[10:11], v27, v20, s[10:11]
	v_cmp_gt_i64_e64 s[10:11], s[42:43], v[40:41]
	v_mov_b32_e32 v42, 0
	v_mov_b32_e32 v43, 0
	s_and_b64 s[14:15], vcc, s[10:11]
	s_and_saveexec_b64 s[12:13], s[14:15]
	s_cbranch_execz .LBB41_33
; %bb.32:                               ;   in Loop: Header=BB41_7 Depth=2
	global_load_dwordx2 v[42:43], v[38:39], off offset:-128
.LBB41_33:                              ;   in Loop: Header=BB41_7 Depth=2
	s_or_b64 exec, exec, s[12:13]
	v_cmp_gt_i64_e64 s[12:13], s[44:45], v[40:41]
	s_waitcnt vmcnt(0)
	ds_write_b64 v50, v[42:43]
	s_and_b64 s[14:15], vcc, s[12:13]
	s_xor_b64 s[14:15], s[14:15], -1
	s_and_saveexec_b64 s[16:17], s[14:15]
	s_xor_b64 s[14:15], exec, s[16:17]
; %bb.34:                               ;   in Loop: Header=BB41_7 Depth=2
	v_mov_b32_e32 v25, v24
	ds_write_b64 v50, v[24:25] offset:128
                                        ; implicit-def: $vgpr38_vgpr39
; %bb.35:                               ;   in Loop: Header=BB41_7 Depth=2
	s_andn2_saveexec_b64 s[14:15], s[14:15]
	s_cbranch_execz .LBB41_37
; %bb.36:                               ;   in Loop: Header=BB41_7 Depth=2
	global_load_dwordx2 v[38:39], v[38:39], off
	s_waitcnt vmcnt(0)
	ds_write_b64 v50, v[38:39] offset:128
.LBB41_37:                              ;   in Loop: Header=BB41_7 Depth=2
	s_or_b64 exec, exec, s[14:15]
	v_mov_b32_e32 v20, s27
	v_add_co_u32_e64 v38, s[14:15], s26, v28
	v_addc_co_u32_e64 v39, s[14:15], v29, v20, s[14:15]
	v_mov_b32_e32 v40, 0
	v_mov_b32_e32 v41, 0
	s_and_b64 s[14:15], s[8:9], s[10:11]
	s_and_saveexec_b64 s[10:11], s[14:15]
	s_cbranch_execz .LBB41_39
; %bb.38:                               ;   in Loop: Header=BB41_7 Depth=2
	global_load_dwordx2 v[40:41], v[38:39], off
.LBB41_39:                              ;   in Loop: Header=BB41_7 Depth=2
	s_or_b64 exec, exec, s[10:11]
	s_and_b64 s[10:11], s[8:9], s[12:13]
	s_xor_b64 s[10:11], s[10:11], -1
	s_waitcnt vmcnt(0)
	ds_write_b64 v50, v[40:41] offset:4096
	s_and_saveexec_b64 s[12:13], s[10:11]
	s_xor_b64 s[10:11], exec, s[12:13]
; %bb.40:                               ;   in Loop: Header=BB41_7 Depth=2
	v_mov_b32_e32 v25, v24
	ds_write_b64 v50, v[24:25] offset:4224
                                        ; implicit-def: $vgpr38_vgpr39
; %bb.41:                               ;   in Loop: Header=BB41_7 Depth=2
	s_andn2_saveexec_b64 s[10:11], s[10:11]
	s_cbranch_execz .LBB41_6
; %bb.42:                               ;   in Loop: Header=BB41_7 Depth=2
	global_load_dwordx2 v[38:39], v[38:39], off offset:128
	s_waitcnt vmcnt(0)
	ds_write_b64 v50, v[38:39] offset:4224
	s_branch .LBB41_6
.LBB41_43:                              ;   in Loop: Header=BB41_4 Depth=1
	v_mov_b32_e32 v36, 0
	v_mov_b32_e32 v34, 0
	;; [unrolled: 1-line block ×8, first 2 shown]
.LBB41_44:                              ;   in Loop: Header=BB41_4 Depth=1
	v_mul_lo_u32 v20, s41, v52
	v_mul_lo_u32 v21, s40, v53
	v_mad_u64_u32 v[25:26], s[8:9], s40, v52, 0
	v_cmp_gt_i32_e32 vcc, s30, v52
	v_add3_u32 v26, v26, v21, v20
	v_lshlrev_b64 v[25:26], 3, v[25:26]
	v_mov_b32_e32 v20, s46
	v_add_co_u32_e64 v23, s[8:9], s33, v25
	v_addc_co_u32_e64 v25, s[8:9], v20, v26, s[8:9]
	s_and_b64 s[8:9], s[4:5], vcc
	s_and_saveexec_b64 s[10:11], s[8:9]
	s_cbranch_execz .LBB41_46
; %bb.45:                               ;   in Loop: Header=BB41_4 Depth=1
	v_add_co_u32_e64 v20, s[8:9], v23, v12
	v_addc_co_u32_e64 v21, s[8:9], v25, v13, s[8:9]
	global_load_dwordx2 v[26:27], v[20:21], off
	s_waitcnt vmcnt(0)
	v_fma_f64 v[26:27], s[34:35], v[36:37], v[26:27]
	global_store_dwordx2 v[20:21], v[26:27], off
.LBB41_46:                              ;   in Loop: Header=BB41_4 Depth=1
	s_or_b64 exec, exec, s[10:11]
	s_and_b64 s[10:11], s[18:19], vcc
	s_and_saveexec_b64 s[8:9], s[10:11]
	s_cbranch_execz .LBB41_48
; %bb.47:                               ;   in Loop: Header=BB41_4 Depth=1
	v_lshlrev_b64 v[20:21], 3, v[8:9]
	v_add_co_u32_e32 v20, vcc, v23, v20
	v_addc_co_u32_e32 v21, vcc, v25, v21, vcc
	global_load_dwordx2 v[25:26], v[20:21], off
	s_waitcnt vmcnt(0)
	v_fma_f64 v[25:26], s[34:35], v[34:35], v[25:26]
	global_store_dwordx2 v[20:21], v[25:26], off
.LBB41_48:                              ;   in Loop: Header=BB41_4 Depth=1
	s_or_b64 exec, exec, s[8:9]
	v_add_u32_e32 v23, 16, v52
	v_ashrrev_i32_e32 v20, 31, v23
	v_mul_lo_u32 v25, s40, v20
	v_mul_lo_u32 v26, s41, v23
	v_mad_u64_u32 v[20:21], s[8:9], s40, v23, 0
	v_cmp_gt_i32_e32 vcc, s30, v23
	v_add3_u32 v21, v21, v25, v26
	v_lshlrev_b64 v[20:21], 3, v[20:21]
	v_mov_b32_e32 v25, s46
	v_add_co_u32_e64 v23, s[8:9], s33, v20
	v_addc_co_u32_e64 v25, s[8:9], v25, v21, s[8:9]
	s_and_b64 s[8:9], s[4:5], vcc
	s_and_saveexec_b64 s[10:11], s[8:9]
	s_cbranch_execz .LBB41_50
; %bb.49:                               ;   in Loop: Header=BB41_4 Depth=1
	v_add_co_u32_e64 v20, s[8:9], v23, v12
	v_addc_co_u32_e64 v21, s[8:9], v25, v13, s[8:9]
	global_load_dwordx2 v[26:27], v[20:21], off
	s_waitcnt vmcnt(0)
	v_fma_f64 v[26:27], s[34:35], v[32:33], v[26:27]
	global_store_dwordx2 v[20:21], v[26:27], off
.LBB41_50:                              ;   in Loop: Header=BB41_4 Depth=1
	s_or_b64 exec, exec, s[10:11]
	s_and_b64 s[10:11], s[18:19], vcc
	s_and_saveexec_b64 s[8:9], s[10:11]
	s_cbranch_execz .LBB41_3
; %bb.51:                               ;   in Loop: Header=BB41_4 Depth=1
	v_lshlrev_b64 v[20:21], 3, v[8:9]
	v_add_co_u32_e32 v20, vcc, v23, v20
	v_addc_co_u32_e32 v21, vcc, v25, v21, vcc
	global_load_dwordx2 v[25:26], v[20:21], off
	s_waitcnt vmcnt(0)
	v_fma_f64 v[25:26], s[34:35], v[30:31], v[25:26]
	global_store_dwordx2 v[20:21], v[25:26], off
	s_branch .LBB41_3
.LBB41_52:
	s_endpgm
	.section	.rodata,"a",@progbits
	.p2align	6, 0x0
	.amdhsa_kernel _ZL30rocblas_trmm_outofplace_kernelIdLi32ELi2ELb1ELb0ELb1ELb0EdKddEv17rocblas_diagonal_iiT6_lPT7_lllS4_lllPT8_llli
		.amdhsa_group_segment_fixed_size 16384
		.amdhsa_private_segment_fixed_size 12
		.amdhsa_kernarg_size 392
		.amdhsa_user_sgpr_count 6
		.amdhsa_user_sgpr_private_segment_buffer 1
		.amdhsa_user_sgpr_dispatch_ptr 0
		.amdhsa_user_sgpr_queue_ptr 0
		.amdhsa_user_sgpr_kernarg_segment_ptr 1
		.amdhsa_user_sgpr_dispatch_id 0
		.amdhsa_user_sgpr_flat_scratch_init 0
		.amdhsa_user_sgpr_private_segment_size 0
		.amdhsa_uses_dynamic_stack 0
		.amdhsa_system_sgpr_private_segment_wavefront_offset 1
		.amdhsa_system_sgpr_workgroup_id_x 1
		.amdhsa_system_sgpr_workgroup_id_y 1
		.amdhsa_system_sgpr_workgroup_id_z 1
		.amdhsa_system_sgpr_workgroup_info 0
		.amdhsa_system_vgpr_workitem_id 1
		.amdhsa_next_free_vgpr 64
		.amdhsa_next_free_sgpr 61
		.amdhsa_reserve_vcc 1
		.amdhsa_reserve_flat_scratch 0
		.amdhsa_float_round_mode_32 0
		.amdhsa_float_round_mode_16_64 0
		.amdhsa_float_denorm_mode_32 3
		.amdhsa_float_denorm_mode_16_64 3
		.amdhsa_dx10_clamp 1
		.amdhsa_ieee_mode 1
		.amdhsa_fp16_overflow 0
		.amdhsa_exception_fp_ieee_invalid_op 0
		.amdhsa_exception_fp_denorm_src 0
		.amdhsa_exception_fp_ieee_div_zero 0
		.amdhsa_exception_fp_ieee_overflow 0
		.amdhsa_exception_fp_ieee_underflow 0
		.amdhsa_exception_fp_ieee_inexact 0
		.amdhsa_exception_int_div_zero 0
	.end_amdhsa_kernel
	.section	.text._ZL30rocblas_trmm_outofplace_kernelIdLi32ELi2ELb1ELb0ELb1ELb0EdKddEv17rocblas_diagonal_iiT6_lPT7_lllS4_lllPT8_llli,"axG",@progbits,_ZL30rocblas_trmm_outofplace_kernelIdLi32ELi2ELb1ELb0ELb1ELb0EdKddEv17rocblas_diagonal_iiT6_lPT7_lllS4_lllPT8_llli,comdat
.Lfunc_end41:
	.size	_ZL30rocblas_trmm_outofplace_kernelIdLi32ELi2ELb1ELb0ELb1ELb0EdKddEv17rocblas_diagonal_iiT6_lPT7_lllS4_lllPT8_llli, .Lfunc_end41-_ZL30rocblas_trmm_outofplace_kernelIdLi32ELi2ELb1ELb0ELb1ELb0EdKddEv17rocblas_diagonal_iiT6_lPT7_lllS4_lllPT8_llli
                                        ; -- End function
	.set _ZL30rocblas_trmm_outofplace_kernelIdLi32ELi2ELb1ELb0ELb1ELb0EdKddEv17rocblas_diagonal_iiT6_lPT7_lllS4_lllPT8_llli.num_vgpr, 64
	.set _ZL30rocblas_trmm_outofplace_kernelIdLi32ELi2ELb1ELb0ELb1ELb0EdKddEv17rocblas_diagonal_iiT6_lPT7_lllS4_lllPT8_llli.num_agpr, 0
	.set _ZL30rocblas_trmm_outofplace_kernelIdLi32ELi2ELb1ELb0ELb1ELb0EdKddEv17rocblas_diagonal_iiT6_lPT7_lllS4_lllPT8_llli.numbered_sgpr, 56
	.set _ZL30rocblas_trmm_outofplace_kernelIdLi32ELi2ELb1ELb0ELb1ELb0EdKddEv17rocblas_diagonal_iiT6_lPT7_lllS4_lllPT8_llli.num_named_barrier, 0
	.set _ZL30rocblas_trmm_outofplace_kernelIdLi32ELi2ELb1ELb0ELb1ELb0EdKddEv17rocblas_diagonal_iiT6_lPT7_lllS4_lllPT8_llli.private_seg_size, 12
	.set _ZL30rocblas_trmm_outofplace_kernelIdLi32ELi2ELb1ELb0ELb1ELb0EdKddEv17rocblas_diagonal_iiT6_lPT7_lllS4_lllPT8_llli.uses_vcc, 1
	.set _ZL30rocblas_trmm_outofplace_kernelIdLi32ELi2ELb1ELb0ELb1ELb0EdKddEv17rocblas_diagonal_iiT6_lPT7_lllS4_lllPT8_llli.uses_flat_scratch, 0
	.set _ZL30rocblas_trmm_outofplace_kernelIdLi32ELi2ELb1ELb0ELb1ELb0EdKddEv17rocblas_diagonal_iiT6_lPT7_lllS4_lllPT8_llli.has_dyn_sized_stack, 0
	.set _ZL30rocblas_trmm_outofplace_kernelIdLi32ELi2ELb1ELb0ELb1ELb0EdKddEv17rocblas_diagonal_iiT6_lPT7_lllS4_lllPT8_llli.has_recursion, 0
	.set _ZL30rocblas_trmm_outofplace_kernelIdLi32ELi2ELb1ELb0ELb1ELb0EdKddEv17rocblas_diagonal_iiT6_lPT7_lllS4_lllPT8_llli.has_indirect_call, 0
	.section	.AMDGPU.csdata,"",@progbits
; Kernel info:
; codeLenInByte = 3848
; TotalNumSgprs: 60
; NumVgprs: 64
; ScratchSize: 12
; MemoryBound: 0
; FloatMode: 240
; IeeeMode: 1
; LDSByteSize: 16384 bytes/workgroup (compile time only)
; SGPRBlocks: 8
; VGPRBlocks: 15
; NumSGPRsForWavesPerEU: 65
; NumVGPRsForWavesPerEU: 64
; Occupancy: 4
; WaveLimiterHint : 0
; COMPUTE_PGM_RSRC2:SCRATCH_EN: 1
; COMPUTE_PGM_RSRC2:USER_SGPR: 6
; COMPUTE_PGM_RSRC2:TRAP_HANDLER: 0
; COMPUTE_PGM_RSRC2:TGID_X_EN: 1
; COMPUTE_PGM_RSRC2:TGID_Y_EN: 1
; COMPUTE_PGM_RSRC2:TGID_Z_EN: 1
; COMPUTE_PGM_RSRC2:TIDIG_COMP_CNT: 1
	.section	.text._ZL30rocblas_trmm_outofplace_kernelIdLi32ELi2ELb1ELb1ELb1ELb0EPKdS0_dEv17rocblas_diagonal_iiT6_lPT7_lllS5_lllPT8_llli,"axG",@progbits,_ZL30rocblas_trmm_outofplace_kernelIdLi32ELi2ELb1ELb1ELb1ELb0EPKdS0_dEv17rocblas_diagonal_iiT6_lPT7_lllS5_lllPT8_llli,comdat
	.globl	_ZL30rocblas_trmm_outofplace_kernelIdLi32ELi2ELb1ELb1ELb1ELb0EPKdS0_dEv17rocblas_diagonal_iiT6_lPT7_lllS5_lllPT8_llli ; -- Begin function _ZL30rocblas_trmm_outofplace_kernelIdLi32ELi2ELb1ELb1ELb1ELb0EPKdS0_dEv17rocblas_diagonal_iiT6_lPT7_lllS5_lllPT8_llli
	.p2align	8
	.type	_ZL30rocblas_trmm_outofplace_kernelIdLi32ELi2ELb1ELb1ELb1ELb0EPKdS0_dEv17rocblas_diagonal_iiT6_lPT7_lllS5_lllPT8_llli,@function
_ZL30rocblas_trmm_outofplace_kernelIdLi32ELi2ELb1ELb1ELb1ELb0EPKdS0_dEv17rocblas_diagonal_iiT6_lPT7_lllS5_lllPT8_llli: ; @_ZL30rocblas_trmm_outofplace_kernelIdLi32ELi2ELb1ELb1ELb1ELb0EPKdS0_dEv17rocblas_diagonal_iiT6_lPT7_lllS5_lllPT8_llli
; %bb.0:
	s_load_dwordx16 s[12:27], s[4:5], 0x10
	s_mov_b64 s[58:59], s[2:3]
	s_mov_b64 s[56:57], s[0:1]
	s_add_u32 s56, s56, s9
	s_addc_u32 s57, s57, 0
	s_waitcnt lgkmcnt(0)
	s_mul_i32 s0, s15, s8
	s_mul_hi_u32 s1, s14, s8
	s_add_i32 s1, s1, s0
	s_mul_i32 s0, s14, s8
	s_lshl_b64 s[0:1], s[0:1], 3
	s_add_u32 s0, s12, s0
	s_addc_u32 s1, s13, s1
	s_load_dwordx2 s[34:35], s[0:1], 0x0
	s_waitcnt lgkmcnt(0)
	v_cmp_eq_f64_e64 s[0:1], s[34:35], 0
	s_and_b64 vcc, exec, s[0:1]
	s_cbranch_vccnz .LBB42_51
; %bb.1:
	s_load_dwordx4 s[28:31], s[4:5], 0x0
	s_waitcnt lgkmcnt(0)
	s_add_i32 s0, s30, -1
	s_ashr_i32 s1, s0, 31
	s_lshr_b32 s1, s1, 27
	s_add_i32 s0, s0, s1
	s_ashr_i32 s31, s0, 5
	s_cmp_gt_i32 s7, s31
	s_cbranch_scc1 .LBB42_51
; %bb.2:
	s_mul_i32 s0, s23, s8
	s_mul_hi_u32 s1, s22, s8
	s_load_dwordx8 s[36:43], s[4:5], 0x50
	s_load_dwordx4 s[44:47], s[4:5], 0x70
	s_add_i32 s1, s1, s0
	s_mul_i32 s0, s22, s8
	s_lshl_b64 s[10:11], s[0:1], 3
	s_add_u32 s0, s16, s10
	s_addc_u32 s1, s17, s11
	s_lshl_b64 s[12:13], s[18:19], 3
	s_add_u32 s2, s0, s12
	s_addc_u32 s3, s1, s13
	s_waitcnt lgkmcnt(0)
	s_mul_i32 s0, s47, s8
	s_mul_hi_u32 s1, s46, s8
	s_add_i32 s1, s1, s0
	s_mul_i32 s0, s46, s8
	s_lshl_b64 s[0:1], s[0:1], 3
	s_load_dword s33, s[4:5], 0x8c
	s_add_u32 s4, s40, s0
	s_addc_u32 s5, s41, s1
	s_lshl_b64 s[0:1], s[42:43], 3
	s_add_u32 s48, s4, s0
	s_addc_u32 s49, s5, s1
	s_lshl_b32 s50, s6, 5
	v_add_u32_e32 v2, s50, v0
	v_ashrrev_i32_e32 v3, 31, v2
	v_mul_lo_u32 v6, s20, v3
	v_mul_lo_u32 v7, s21, v2
	v_mad_u64_u32 v[4:5], s[0:1], s20, v2, 0
	s_cmp_gt_i32 s6, -1
	s_cselect_b64 s[22:23], -1, 0
	v_add3_u32 v5, v5, v6, v7
	v_lshlrev_b64 v[4:5], 3, v[4:5]
	s_cmpk_eq_i32 s28, 0x84
	v_mov_b32_e32 v6, s3
	v_add_co_u32_e32 v4, vcc, s2, v4
	s_cselect_b64 s[40:41], -1, 0
	s_ashr_i32 s43, s29, 31
	s_ashr_i32 s6, s30, 31
	v_addc_co_u32_e32 v5, vcc, v6, v5, vcc
	v_lshlrev_b32_e32 v20, 3, v1
	s_add_u32 s46, s29, -16
	s_mul_i32 s9, s39, s8
	s_mul_hi_u32 s14, s38, s8
	v_add_co_u32_e32 v42, vcc, v4, v20
	s_addc_u32 s47, s43, -1
	s_add_i32 s9, s14, s9
	s_mul_i32 s8, s38, s8
	v_addc_co_u32_e32 v43, vcc, 0, v5, vcc
	v_lshlrev_b32_e32 v4, 8, v1
	v_lshlrev_b32_e32 v44, 3, v0
	s_lshl_b64 s[8:9], s[8:9], 3
	s_lshl_b64 s[14:15], s[26:27], 3
	v_add_u32_e32 v45, v44, v4
	v_add_u32_e32 v46, 0x2000, v4
	v_add_co_u32_e32 v4, vcc, 16, v2
	s_add_u32 s8, s8, s14
	v_addc_co_u32_e32 v5, vcc, 0, v3, vcc
	s_addc_u32 s9, s9, s15
	v_sub_co_u32_e32 v6, vcc, v2, v1
	s_add_u32 s14, s24, s8
	v_subbrev_co_u32_e32 v7, vcc, 0, v3, vcc
	s_addc_u32 s8, s25, s9
	s_lshl_b64 s[24:25], s[36:37], 3
	s_waitcnt lgkmcnt(0)
	s_lshl_b32 s38, s33, 5
	v_add_co_u32_e32 v8, vcc, 16, v6
	v_mov_b32_e32 v14, s8
	v_lshlrev_b64 v[10:11], 3, v[2:3]
	s_add_u32 s8, s12, s10
	v_addc_co_u32_e32 v9, vcc, 0, v7, vcc
	s_movk_i32 s15, 0x80
	s_addc_u32 s9, s13, s11
	v_add_co_u32_e32 v15, vcc, s15, v10
	v_mov_b32_e32 v13, s9
	v_addc_co_u32_e32 v21, vcc, 0, v11, vcc
	v_mov_b32_e32 v12, s8
	v_mad_u64_u32 v[16:17], s[8:9], s20, v15, v[12:13]
	v_mul_lo_u32 v21, s20, v21
	v_mul_lo_u32 v15, s21, v15
	v_add_co_u32_e32 v12, vcc, s14, v44
	v_addc_co_u32_e32 v13, vcc, 0, v14, vcc
	v_add_co_u32_e32 v14, vcc, -16, v6
	v_add3_u32 v17, v15, v17, v21
	v_addc_co_u32_e32 v15, vcc, -1, v7, vcc
	v_add_co_u32_e32 v16, vcc, v16, v20
	v_addc_co_u32_e32 v17, vcc, 0, v17, vcc
	v_add_u32_e32 v18, 16, v2
	v_mov_b32_e32 v20, s17
	v_add_co_u32_e32 v48, vcc, s16, v16
	s_mov_b32 s42, s29
	v_ashrrev_i32_e32 v19, 31, v18
	v_addc_co_u32_e32 v49, vcc, v20, v17, vcc
	v_cmp_le_i64_e64 s[2:3], s[42:43], v[4:5]
	v_cmp_gt_i32_e64 s[18:19], s29, v18
	v_add_co_u32_e32 v16, vcc, s15, v12
	v_lshlrev_b64 v[18:19], 3, v[18:19]
	v_add_u32_e32 v47, v46, v44
	v_cmp_le_i32_e64 s[0:1], s29, v2
	v_cmp_gt_i32_e64 s[4:5], s29, v2
	v_addc_co_u32_e32 v17, vcc, 0, v13, vcc
	v_mov_b32_e32 v50, 0x3ff00000
	v_mov_b32_e32 v20, 0
	v_lshl_add_u32 v22, s7, 5, v1
	buffer_store_dword v16, off, s[56:59], 0 ; 4-byte Folded Spill
	s_nop 0
	buffer_store_dword v17, off, s[56:59], 0 offset:4 ; 4-byte Folded Spill
	s_branch .LBB42_4
.LBB42_3:                               ;   in Loop: Header=BB42_4 Depth=1
	s_or_b64 exec, exec, s[8:9]
	s_add_i32 s7, s33, s7
	s_cmp_le_i32 s7, s31
	v_add_u32_e32 v22, s38, v22
	s_cbranch_scc0 .LBB42_51
.LBB42_4:                               ; =>This Loop Header: Depth=1
                                        ;     Child Loop BB42_7 Depth 2
	v_lshl_add_u32 v51, s7, 5, v1
	v_mov_b32_e32 v34, 0
	v_mov_b32_e32 v32, 0
	;; [unrolled: 1-line block ×5, first 2 shown]
	s_andn2_b64 vcc, exec, s[22:23]
	v_mov_b32_e32 v33, 0
	v_mov_b32_e32 v31, 0
	;; [unrolled: 1-line block ×3, first 2 shown]
	v_ashrrev_i32_e32 v52, 31, v51
	s_cbranch_vccnz .LBB42_43
; %bb.5:                                ;   in Loop: Header=BB42_4 Depth=1
	buffer_load_dword v16, off, s[56:59], 0 ; 4-byte Folded Reload
	buffer_load_dword v17, off, s[56:59], 0 offset:4 ; 4-byte Folded Reload
	v_ashrrev_i32_e32 v23, 31, v22
	v_lshlrev_b64 v[26:27], 3, v[22:23]
	v_mov_b32_e32 v30, 0
	v_add_co_u32_e32 v21, vcc, 0x80, v26
	v_mul_lo_u32 v28, s37, v21
	v_mov_b32_e32 v32, 0
	v_mov_b32_e32 v34, 0
	s_mov_b64 s[26:27], 0
	v_mov_b32_e32 v31, 0
	v_mov_b32_e32 v33, 0
	v_mov_b32_e32 v35, 0
	s_mov_b64 s[28:29], 0
	s_waitcnt vmcnt(0)
	v_mad_u64_u32 v[24:25], s[8:9], s24, v22, v[16:17]
	v_mul_lo_u32 v17, s24, v23
	v_addc_co_u32_e32 v23, vcc, 0, v27, vcc
	v_mul_lo_u32 v16, s25, v22
	v_mul_lo_u32 v23, s36, v23
	v_mad_u64_u32 v[26:27], s[8:9], s36, v21, v[12:13]
	v_add3_u32 v25, v16, v25, v17
	v_mov_b32_e32 v16, s6
	v_add3_u32 v27, v28, v27, v23
	v_sub_co_u32_e32 v28, vcc, s30, v51
	v_subb_co_u32_e32 v29, vcc, v16, v52, vcc
	v_cmp_lt_i64_e32 vcc, 0, v[28:29]
	v_cmp_lt_i64_e64 s[8:9], 16, v[28:29]
	v_mov_b32_e32 v28, 0
	v_mov_b32_e32 v29, 0
	s_branch .LBB42_7
.LBB42_6:                               ;   in Loop: Header=BB42_7 Depth=2
	s_or_b64 exec, exec, s[10:11]
	s_waitcnt lgkmcnt(0)
	s_barrier
	ds_read_b128 v[36:39], v46
	ds_read2_b64 v[53:56], v44 offset1:16
	ds_read_b128 v[57:60], v46 offset:4096
	v_add_u32_e32 v21, 0x800, v44
	s_add_u32 s28, s28, 32
	s_addc_u32 s29, s29, 0
	s_waitcnt lgkmcnt(1)
	v_fma_f64 v[40:41], v[53:54], v[36:37], v[34:35]
	v_fma_f64 v[61:62], v[55:56], v[36:37], v[32:33]
	s_waitcnt lgkmcnt(0)
	v_fma_f64 v[16:17], v[53:54], v[57:58], v[30:31]
	v_fma_f64 v[28:29], v[55:56], v[57:58], v[28:29]
	ds_read2_b64 v[30:33], v44 offset0:32 offset1:48
	ds_read_b128 v[34:37], v46 offset:16
	ds_read2_b64 v[53:56], v44 offset0:64 offset1:80
	s_sub_i32 s10, s28, 32
	s_add_u32 s26, s26, 0x100
	s_addc_u32 s27, s27, 0
	s_waitcnt lgkmcnt(2)
	v_fma_f64 v[57:58], v[30:31], v[38:39], v[40:41]
	v_fma_f64 v[61:62], v[32:33], v[38:39], v[61:62]
	;; [unrolled: 1-line block ×4, first 2 shown]
	ds_read_b128 v[28:31], v46 offset:4112
	ds_read2_b64 v[38:41], v44 offset0:96 offset1:112
	s_cmp_ge_i32 s10, s50
	s_waitcnt lgkmcnt(2)
	v_fma_f64 v[57:58], v[53:54], v[34:35], v[57:58]
	v_fma_f64 v[59:60], v[55:56], v[34:35], v[61:62]
	s_waitcnt lgkmcnt(1)
	v_fma_f64 v[16:17], v[53:54], v[28:29], v[16:17]
	v_fma_f64 v[28:29], v[55:56], v[28:29], v[32:33]
	ds_read_b128 v[32:35], v46 offset:32
	ds_read2_b64 v[53:56], v44 offset0:128 offset1:144
	s_waitcnt lgkmcnt(2)
	v_fma_f64 v[57:58], v[38:39], v[36:37], v[57:58]
	v_fma_f64 v[59:60], v[40:41], v[36:37], v[59:60]
	;; [unrolled: 1-line block ×4, first 2 shown]
	ds_read_b128 v[28:31], v46 offset:4128
	ds_read2_b64 v[36:39], v44 offset0:160 offset1:176
	s_waitcnt lgkmcnt(2)
	v_fma_f64 v[61:62], v[53:54], v[32:33], v[57:58]
	v_fma_f64 v[32:33], v[55:56], v[32:33], v[59:60]
	s_waitcnt lgkmcnt(1)
	v_fma_f64 v[16:17], v[53:54], v[28:29], v[16:17]
	v_fma_f64 v[28:29], v[55:56], v[28:29], v[40:41]
	ds_read_b128 v[53:56], v46 offset:48
	ds_read2_b64 v[57:60], v44 offset0:192 offset1:208
	s_waitcnt lgkmcnt(2)
	v_fma_f64 v[40:41], v[36:37], v[34:35], v[61:62]
	v_fma_f64 v[61:62], v[38:39], v[34:35], v[32:33]
	;; [unrolled: 1-line block ×4, first 2 shown]
	ds_read_b128 v[28:31], v46 offset:4144
	ds_read2_b64 v[32:35], v44 offset0:224 offset1:240
	s_waitcnt lgkmcnt(2)
	v_fma_f64 v[40:41], v[57:58], v[53:54], v[40:41]
	v_fma_f64 v[53:54], v[59:60], v[53:54], v[61:62]
	s_waitcnt lgkmcnt(1)
	v_fma_f64 v[16:17], v[57:58], v[28:29], v[16:17]
	v_fma_f64 v[28:29], v[59:60], v[28:29], v[36:37]
	ds_read_b128 v[36:39], v46 offset:64
	ds_read2_b64 v[57:60], v21 offset1:16
	s_waitcnt lgkmcnt(2)
	v_fma_f64 v[40:41], v[32:33], v[55:56], v[40:41]
	v_fma_f64 v[53:54], v[34:35], v[55:56], v[53:54]
	v_fma_f64 v[16:17], v[32:33], v[30:31], v[16:17]
	v_fma_f64 v[55:56], v[34:35], v[30:31], v[28:29]
	ds_read_b128 v[28:31], v46 offset:4160
	ds_read2_b64 v[32:35], v21 offset0:32 offset1:48
	s_waitcnt lgkmcnt(2)
	v_fma_f64 v[40:41], v[57:58], v[36:37], v[40:41]
	v_fma_f64 v[36:37], v[59:60], v[36:37], v[53:54]
	s_waitcnt lgkmcnt(1)
	v_fma_f64 v[16:17], v[57:58], v[28:29], v[16:17]
	v_fma_f64 v[28:29], v[59:60], v[28:29], v[55:56]
	ds_read_b128 v[53:56], v46 offset:80
	ds_read2_b64 v[57:60], v21 offset0:64 offset1:80
	s_waitcnt lgkmcnt(2)
	v_fma_f64 v[40:41], v[32:33], v[38:39], v[40:41]
	v_fma_f64 v[36:37], v[34:35], v[38:39], v[36:37]
	v_fma_f64 v[16:17], v[32:33], v[30:31], v[16:17]
	v_fma_f64 v[38:39], v[34:35], v[30:31], v[28:29]
	ds_read_b128 v[28:31], v46 offset:4176
	ds_read2_b64 v[32:35], v21 offset0:96 offset1:112
	s_waitcnt lgkmcnt(2)
	v_fma_f64 v[40:41], v[57:58], v[53:54], v[40:41]
	v_fma_f64 v[53:54], v[59:60], v[53:54], v[36:37]
	s_waitcnt lgkmcnt(1)
	v_fma_f64 v[16:17], v[57:58], v[28:29], v[16:17]
	v_fma_f64 v[28:29], v[59:60], v[28:29], v[38:39]
	ds_read_b128 v[36:39], v46 offset:96
	ds_read2_b64 v[57:60], v21 offset0:128 offset1:144
	;; [unrolled: 15-line block ×3, first 2 shown]
	s_waitcnt lgkmcnt(2)
	v_fma_f64 v[40:41], v[32:33], v[38:39], v[40:41]
	v_fma_f64 v[36:37], v[34:35], v[38:39], v[36:37]
	;; [unrolled: 1-line block ×4, first 2 shown]
	ds_read_b128 v[28:31], v46 offset:4208
	ds_read2_b64 v[32:35], v21 offset0:224 offset1:240
	v_add_u32_e32 v21, 0x1000, v44
	s_waitcnt lgkmcnt(2)
	v_fma_f64 v[40:41], v[57:58], v[53:54], v[40:41]
	v_fma_f64 v[53:54], v[59:60], v[53:54], v[36:37]
	s_waitcnt lgkmcnt(1)
	v_fma_f64 v[16:17], v[57:58], v[28:29], v[16:17]
	v_fma_f64 v[28:29], v[59:60], v[28:29], v[38:39]
	ds_read_b128 v[36:39], v46 offset:128
	ds_read2_b64 v[57:60], v21 offset1:16
	s_waitcnt lgkmcnt(2)
	v_fma_f64 v[40:41], v[32:33], v[55:56], v[40:41]
	v_fma_f64 v[53:54], v[34:35], v[55:56], v[53:54]
	v_fma_f64 v[16:17], v[32:33], v[30:31], v[16:17]
	v_fma_f64 v[55:56], v[34:35], v[30:31], v[28:29]
	ds_read_b128 v[28:31], v46 offset:4224
	ds_read2_b64 v[32:35], v21 offset0:32 offset1:48
	s_waitcnt lgkmcnt(2)
	v_fma_f64 v[40:41], v[57:58], v[36:37], v[40:41]
	v_fma_f64 v[36:37], v[59:60], v[36:37], v[53:54]
	s_waitcnt lgkmcnt(1)
	v_fma_f64 v[16:17], v[57:58], v[28:29], v[16:17]
	v_fma_f64 v[28:29], v[59:60], v[28:29], v[55:56]
	ds_read_b128 v[53:56], v46 offset:144
	ds_read2_b64 v[57:60], v21 offset0:64 offset1:80
	s_waitcnt lgkmcnt(2)
	v_fma_f64 v[40:41], v[32:33], v[38:39], v[40:41]
	v_fma_f64 v[36:37], v[34:35], v[38:39], v[36:37]
	v_fma_f64 v[16:17], v[32:33], v[30:31], v[16:17]
	v_fma_f64 v[38:39], v[34:35], v[30:31], v[28:29]
	ds_read_b128 v[28:31], v46 offset:4240
	ds_read2_b64 v[32:35], v21 offset0:96 offset1:112
	s_waitcnt lgkmcnt(2)
	v_fma_f64 v[40:41], v[57:58], v[53:54], v[40:41]
	v_fma_f64 v[53:54], v[59:60], v[53:54], v[36:37]
	s_waitcnt lgkmcnt(1)
	v_fma_f64 v[16:17], v[57:58], v[28:29], v[16:17]
	v_fma_f64 v[28:29], v[59:60], v[28:29], v[38:39]
	ds_read_b128 v[36:39], v46 offset:160
	ds_read2_b64 v[57:60], v21 offset0:128 offset1:144
	;; [unrolled: 15-line block ×3, first 2 shown]
	s_waitcnt lgkmcnt(2)
	v_fma_f64 v[40:41], v[32:33], v[38:39], v[40:41]
	v_fma_f64 v[36:37], v[34:35], v[38:39], v[36:37]
	;; [unrolled: 1-line block ×4, first 2 shown]
	ds_read_b128 v[28:31], v46 offset:4272
	ds_read2_b64 v[32:35], v21 offset0:224 offset1:240
	v_add_u32_e32 v21, 0x1800, v44
	s_waitcnt lgkmcnt(2)
	v_fma_f64 v[40:41], v[57:58], v[53:54], v[40:41]
	v_fma_f64 v[53:54], v[59:60], v[53:54], v[36:37]
	s_waitcnt lgkmcnt(1)
	v_fma_f64 v[16:17], v[57:58], v[28:29], v[16:17]
	v_fma_f64 v[28:29], v[59:60], v[28:29], v[38:39]
	ds_read_b128 v[36:39], v46 offset:192
	ds_read2_b64 v[57:60], v21 offset1:16
	s_waitcnt lgkmcnt(2)
	v_fma_f64 v[40:41], v[32:33], v[55:56], v[40:41]
	v_fma_f64 v[53:54], v[34:35], v[55:56], v[53:54]
	v_fma_f64 v[16:17], v[32:33], v[30:31], v[16:17]
	v_fma_f64 v[55:56], v[34:35], v[30:31], v[28:29]
	ds_read_b128 v[28:31], v46 offset:4288
	ds_read2_b64 v[32:35], v21 offset0:32 offset1:48
	s_waitcnt lgkmcnt(2)
	v_fma_f64 v[40:41], v[57:58], v[36:37], v[40:41]
	v_fma_f64 v[36:37], v[59:60], v[36:37], v[53:54]
	s_waitcnt lgkmcnt(1)
	v_fma_f64 v[16:17], v[57:58], v[28:29], v[16:17]
	v_fma_f64 v[28:29], v[59:60], v[28:29], v[55:56]
	ds_read_b128 v[53:56], v46 offset:208
	ds_read2_b64 v[57:60], v21 offset0:64 offset1:80
	s_waitcnt lgkmcnt(2)
	v_fma_f64 v[40:41], v[32:33], v[38:39], v[40:41]
	v_fma_f64 v[36:37], v[34:35], v[38:39], v[36:37]
	v_fma_f64 v[16:17], v[32:33], v[30:31], v[16:17]
	v_fma_f64 v[38:39], v[34:35], v[30:31], v[28:29]
	ds_read_b128 v[28:31], v46 offset:4304
	ds_read2_b64 v[32:35], v21 offset0:96 offset1:112
	s_waitcnt lgkmcnt(2)
	v_fma_f64 v[40:41], v[57:58], v[53:54], v[40:41]
	v_fma_f64 v[53:54], v[59:60], v[53:54], v[36:37]
	s_waitcnt lgkmcnt(1)
	v_fma_f64 v[16:17], v[57:58], v[28:29], v[16:17]
	v_fma_f64 v[28:29], v[59:60], v[28:29], v[38:39]
	ds_read_b128 v[36:39], v46 offset:224
	ds_read2_b64 v[57:60], v21 offset0:128 offset1:144
	;; [unrolled: 15-line block ×3, first 2 shown]
	s_waitcnt lgkmcnt(2)
	v_fma_f64 v[40:41], v[32:33], v[38:39], v[40:41]
	v_fma_f64 v[38:39], v[34:35], v[38:39], v[36:37]
	;; [unrolled: 1-line block ×4, first 2 shown]
	ds_read_b128 v[34:37], v46 offset:4336
	s_waitcnt lgkmcnt(1)
	v_fma_f64 v[30:31], v[57:58], v[53:54], v[40:41]
	v_fma_f64 v[32:33], v[59:60], v[53:54], v[38:39]
	s_waitcnt lgkmcnt(0)
	v_fma_f64 v[16:17], v[57:58], v[34:35], v[16:17]
	v_fma_f64 v[28:29], v[59:60], v[34:35], v[28:29]
	ds_read2_b64 v[38:41], v21 offset0:224 offset1:240
	s_waitcnt lgkmcnt(0)
	s_barrier
	v_fma_f64 v[34:35], v[38:39], v[55:56], v[30:31]
	v_fma_f64 v[32:33], v[40:41], v[55:56], v[32:33]
	;; [unrolled: 1-line block ×4, first 2 shown]
	s_cbranch_scc1 .LBB42_43
.LBB42_7:                               ;   Parent Loop BB42_4 Depth=1
                                        ; =>  This Inner Loop Header: Depth=2
	v_mov_b32_e32 v16, s29
	v_add_co_u32_e64 v38, s[10:11], s28, v1
	v_addc_co_u32_e64 v39, s[10:11], 0, v16, s[10:11]
	v_mov_b32_e32 v16, s27
	v_add_co_u32_e64 v36, s[10:11], s26, v42
	v_addc_co_u32_e64 v37, s[10:11], v43, v16, s[10:11]
	v_cmp_le_i64_e64 s[14:15], s[42:43], v[38:39]
	v_cmp_eq_u64_e64 s[10:11], s[28:29], v[6:7]
	v_cmp_gt_i64_e64 s[12:13], v[38:39], v[2:3]
	s_and_b64 s[10:11], s[40:41], s[10:11]
	s_or_b64 s[16:17], s[14:15], s[12:13]
	s_or_b64 s[16:17], s[16:17], s[10:11]
	s_nor_b64 s[16:17], s[0:1], s[16:17]
                                        ; implicit-def: $vgpr40_vgpr41
	s_and_saveexec_b64 s[20:21], s[16:17]
	s_xor_b64 s[16:17], exec, s[20:21]
	s_cbranch_execz .LBB42_9
; %bb.8:                                ;   in Loop: Header=BB42_7 Depth=2
	global_load_dwordx2 v[40:41], v[36:37], off
.LBB42_9:                               ;   in Loop: Header=BB42_7 Depth=2
	s_andn2_saveexec_b64 s[16:17], s[16:17]
	s_cbranch_execz .LBB42_11
; %bb.10:                               ;   in Loop: Header=BB42_7 Depth=2
	v_cndmask_b32_e64 v21, 0, v50, s[10:11]
	s_waitcnt vmcnt(0)
	v_mov_b32_e32 v41, v21
	v_mov_b32_e32 v40, v20
.LBB42_11:                              ;   in Loop: Header=BB42_7 Depth=2
	s_or_b64 exec, exec, s[16:17]
	v_cmp_eq_u64_e64 s[16:17], s[28:29], v[8:9]
	v_cmp_lt_i64_e64 s[20:21], v[4:5], v[38:39]
	s_and_b64 s[16:17], s[40:41], s[16:17]
	s_or_b64 s[14:15], s[14:15], s[20:21]
	s_or_b64 s[14:15], s[14:15], s[16:17]
	s_nor_b64 s[14:15], s[2:3], s[14:15]
	s_waitcnt vmcnt(0)
	ds_write_b64 v45, v[40:41]
	s_and_saveexec_b64 s[20:21], s[14:15]
	s_xor_b64 s[20:21], exec, s[20:21]
	s_cbranch_execz .LBB42_13
; %bb.12:                               ;   in Loop: Header=BB42_7 Depth=2
	v_mov_b32_e32 v16, s27
	v_add_co_u32_e64 v40, s[14:15], s26, v48
	v_addc_co_u32_e64 v41, s[14:15], v49, v16, s[14:15]
	global_load_dwordx2 v[40:41], v[40:41], off
	s_waitcnt vmcnt(0)
	ds_write_b64 v45, v[40:41] offset:128
.LBB42_13:                              ;   in Loop: Header=BB42_7 Depth=2
	s_andn2_saveexec_b64 s[14:15], s[20:21]
	s_cbranch_execz .LBB42_19
; %bb.14:                               ;   in Loop: Header=BB42_7 Depth=2
	s_xor_b64 s[16:17], s[16:17], -1
	s_and_saveexec_b64 s[20:21], s[16:17]
	s_xor_b64 s[16:17], exec, s[20:21]
; %bb.15:                               ;   in Loop: Header=BB42_7 Depth=2
	v_mov_b32_e32 v21, v20
	ds_write_b64 v45, v[20:21] offset:128
; %bb.16:                               ;   in Loop: Header=BB42_7 Depth=2
	s_andn2_saveexec_b64 s[16:17], s[16:17]
; %bb.17:                               ;   in Loop: Header=BB42_7 Depth=2
	v_mov_b32_e32 v21, v50
	ds_write_b64 v45, v[20:21] offset:128
; %bb.18:                               ;   in Loop: Header=BB42_7 Depth=2
	s_or_b64 exec, exec, s[16:17]
.LBB42_19:                              ;   in Loop: Header=BB42_7 Depth=2
	s_or_b64 exec, exec, s[14:15]
	v_add_co_u32_e64 v38, s[14:15], 16, v38
	v_addc_co_u32_e64 v39, s[14:15], 0, v39, s[14:15]
	v_cmp_le_i64_e64 s[14:15], s[42:43], v[38:39]
	v_cmp_eq_u64_e64 s[16:17], s[28:29], v[14:15]
	v_cmp_gt_i64_e64 s[20:21], v[38:39], v[2:3]
	s_and_b64 s[16:17], s[40:41], s[16:17]
	s_or_b64 s[20:21], s[14:15], s[20:21]
	s_or_b64 s[20:21], s[20:21], s[16:17]
	s_nor_b64 s[20:21], s[0:1], s[20:21]
                                        ; implicit-def: $vgpr38_vgpr39
	s_and_saveexec_b64 s[52:53], s[20:21]
	s_xor_b64 s[20:21], exec, s[52:53]
	s_cbranch_execz .LBB42_21
; %bb.20:                               ;   in Loop: Header=BB42_7 Depth=2
	global_load_dwordx2 v[38:39], v[36:37], off offset:128
.LBB42_21:                              ;   in Loop: Header=BB42_7 Depth=2
	s_andn2_saveexec_b64 s[20:21], s[20:21]
	s_cbranch_execz .LBB42_23
; %bb.22:                               ;   in Loop: Header=BB42_7 Depth=2
	v_cndmask_b32_e64 v21, 0, v50, s[16:17]
	s_waitcnt vmcnt(0)
	v_mov_b32_e32 v39, v21
	v_mov_b32_e32 v38, v20
.LBB42_23:                              ;   in Loop: Header=BB42_7 Depth=2
	s_or_b64 exec, exec, s[20:21]
	s_or_b64 s[12:13], s[14:15], s[12:13]
	s_or_b64 s[12:13], s[12:13], s[10:11]
	s_nor_b64 s[12:13], s[2:3], s[12:13]
	s_waitcnt vmcnt(0)
	ds_write_b64 v45, v[38:39] offset:4096
	s_and_saveexec_b64 s[14:15], s[12:13]
	s_xor_b64 s[14:15], exec, s[14:15]
	s_cbranch_execz .LBB42_25
; %bb.24:                               ;   in Loop: Header=BB42_7 Depth=2
	v_mov_b32_e32 v16, s27
	v_add_co_u32_e64 v36, s[12:13], s26, v48
	v_addc_co_u32_e64 v37, s[12:13], v49, v16, s[12:13]
	global_load_dwordx2 v[36:37], v[36:37], off offset:128
	s_waitcnt vmcnt(0)
	ds_write_b64 v45, v[36:37] offset:4224
.LBB42_25:                              ;   in Loop: Header=BB42_7 Depth=2
	s_andn2_saveexec_b64 s[12:13], s[14:15]
	s_cbranch_execz .LBB42_31
; %bb.26:                               ;   in Loop: Header=BB42_7 Depth=2
	s_xor_b64 s[10:11], s[10:11], -1
	s_and_saveexec_b64 s[14:15], s[10:11]
	s_xor_b64 s[10:11], exec, s[14:15]
; %bb.27:                               ;   in Loop: Header=BB42_7 Depth=2
	v_mov_b32_e32 v21, v20
	ds_write_b64 v45, v[20:21] offset:4224
; %bb.28:                               ;   in Loop: Header=BB42_7 Depth=2
	s_andn2_saveexec_b64 s[10:11], s[10:11]
; %bb.29:                               ;   in Loop: Header=BB42_7 Depth=2
	v_mov_b32_e32 v21, v50
	ds_write_b64 v45, v[20:21] offset:4224
; %bb.30:                               ;   in Loop: Header=BB42_7 Depth=2
	s_or_b64 exec, exec, s[10:11]
.LBB42_31:                              ;   in Loop: Header=BB42_7 Depth=2
	s_or_b64 exec, exec, s[12:13]
	v_mov_b32_e32 v16, s29
	v_add_co_u32_e64 v38, s[10:11], s28, v0
	v_addc_co_u32_e64 v39, s[10:11], 0, v16, s[10:11]
	v_mov_b32_e32 v16, s27
	v_add_co_u32_e64 v36, s[10:11], s26, v24
	v_addc_co_u32_e64 v37, s[10:11], v25, v16, s[10:11]
	v_cmp_gt_i64_e64 s[10:11], s[42:43], v[38:39]
	v_mov_b32_e32 v40, 0
	v_mov_b32_e32 v41, 0
	s_and_b64 s[14:15], vcc, s[10:11]
	s_and_saveexec_b64 s[12:13], s[14:15]
	s_cbranch_execz .LBB42_33
; %bb.32:                               ;   in Loop: Header=BB42_7 Depth=2
	global_load_dwordx2 v[40:41], v[36:37], off offset:-128
.LBB42_33:                              ;   in Loop: Header=BB42_7 Depth=2
	s_or_b64 exec, exec, s[12:13]
	v_cmp_gt_i64_e64 s[12:13], s[46:47], v[38:39]
	s_waitcnt vmcnt(0)
	ds_write_b64 v47, v[40:41]
	s_and_b64 s[14:15], vcc, s[12:13]
	s_xor_b64 s[14:15], s[14:15], -1
	s_and_saveexec_b64 s[16:17], s[14:15]
	s_xor_b64 s[14:15], exec, s[16:17]
; %bb.34:                               ;   in Loop: Header=BB42_7 Depth=2
	v_mov_b32_e32 v21, v20
	ds_write_b64 v47, v[20:21] offset:128
                                        ; implicit-def: $vgpr36_vgpr37
; %bb.35:                               ;   in Loop: Header=BB42_7 Depth=2
	s_andn2_saveexec_b64 s[14:15], s[14:15]
	s_cbranch_execz .LBB42_37
; %bb.36:                               ;   in Loop: Header=BB42_7 Depth=2
	global_load_dwordx2 v[36:37], v[36:37], off
	s_waitcnt vmcnt(0)
	ds_write_b64 v47, v[36:37] offset:128
.LBB42_37:                              ;   in Loop: Header=BB42_7 Depth=2
	s_or_b64 exec, exec, s[14:15]
	v_mov_b32_e32 v16, s27
	v_add_co_u32_e64 v36, s[14:15], s26, v26
	v_addc_co_u32_e64 v37, s[14:15], v27, v16, s[14:15]
	v_mov_b32_e32 v38, 0
	v_mov_b32_e32 v39, 0
	s_and_b64 s[14:15], s[8:9], s[10:11]
	s_and_saveexec_b64 s[10:11], s[14:15]
	s_cbranch_execz .LBB42_39
; %bb.38:                               ;   in Loop: Header=BB42_7 Depth=2
	global_load_dwordx2 v[38:39], v[36:37], off
.LBB42_39:                              ;   in Loop: Header=BB42_7 Depth=2
	s_or_b64 exec, exec, s[10:11]
	s_and_b64 s[10:11], s[8:9], s[12:13]
	s_xor_b64 s[10:11], s[10:11], -1
	s_waitcnt vmcnt(0)
	ds_write_b64 v47, v[38:39] offset:4096
	s_and_saveexec_b64 s[12:13], s[10:11]
	s_xor_b64 s[10:11], exec, s[12:13]
; %bb.40:                               ;   in Loop: Header=BB42_7 Depth=2
	v_mov_b32_e32 v21, v20
	ds_write_b64 v47, v[20:21] offset:4224
                                        ; implicit-def: $vgpr36_vgpr37
; %bb.41:                               ;   in Loop: Header=BB42_7 Depth=2
	s_andn2_saveexec_b64 s[10:11], s[10:11]
	s_cbranch_execz .LBB42_6
; %bb.42:                               ;   in Loop: Header=BB42_7 Depth=2
	global_load_dwordx2 v[36:37], v[36:37], off offset:128
	s_waitcnt vmcnt(0)
	ds_write_b64 v47, v[36:37] offset:4224
	s_branch .LBB42_6
.LBB42_43:                              ;   in Loop: Header=BB42_4 Depth=1
	v_mul_lo_u32 v16, s45, v51
	v_mul_lo_u32 v17, s44, v52
	v_mad_u64_u32 v[23:24], s[8:9], s44, v51, 0
	v_cmp_gt_i32_e32 vcc, s30, v51
	v_add3_u32 v24, v24, v17, v16
	v_lshlrev_b64 v[23:24], 3, v[23:24]
	v_mov_b32_e32 v16, s49
	v_add_co_u32_e64 v21, s[8:9], s48, v23
	v_addc_co_u32_e64 v23, s[8:9], v16, v24, s[8:9]
	s_and_b64 s[8:9], s[4:5], vcc
	s_and_saveexec_b64 s[10:11], s[8:9]
	s_cbranch_execz .LBB42_45
; %bb.44:                               ;   in Loop: Header=BB42_4 Depth=1
	v_add_co_u32_e64 v16, s[8:9], v21, v10
	v_addc_co_u32_e64 v17, s[8:9], v23, v11, s[8:9]
	global_load_dwordx2 v[24:25], v[16:17], off
	s_waitcnt vmcnt(0)
	v_fma_f64 v[24:25], s[34:35], v[34:35], v[24:25]
	global_store_dwordx2 v[16:17], v[24:25], off
.LBB42_45:                              ;   in Loop: Header=BB42_4 Depth=1
	s_or_b64 exec, exec, s[10:11]
	s_and_b64 s[10:11], s[18:19], vcc
	s_and_saveexec_b64 s[8:9], s[10:11]
	s_cbranch_execz .LBB42_47
; %bb.46:                               ;   in Loop: Header=BB42_4 Depth=1
	v_add_co_u32_e32 v16, vcc, v21, v18
	v_addc_co_u32_e32 v17, vcc, v23, v19, vcc
	global_load_dwordx2 v[23:24], v[16:17], off
	s_waitcnt vmcnt(0)
	v_fma_f64 v[23:24], s[34:35], v[32:33], v[23:24]
	global_store_dwordx2 v[16:17], v[23:24], off
.LBB42_47:                              ;   in Loop: Header=BB42_4 Depth=1
	s_or_b64 exec, exec, s[8:9]
	v_add_u32_e32 v21, 16, v51
	v_ashrrev_i32_e32 v16, 31, v21
	v_mul_lo_u32 v23, s44, v16
	v_mul_lo_u32 v24, s45, v21
	v_mad_u64_u32 v[16:17], s[8:9], s44, v21, 0
	v_cmp_gt_i32_e32 vcc, s30, v21
	v_add3_u32 v17, v17, v23, v24
	v_lshlrev_b64 v[16:17], 3, v[16:17]
	v_mov_b32_e32 v23, s49
	v_add_co_u32_e64 v21, s[8:9], s48, v16
	v_addc_co_u32_e64 v23, s[8:9], v23, v17, s[8:9]
	s_and_b64 s[8:9], s[4:5], vcc
	s_and_saveexec_b64 s[10:11], s[8:9]
	s_cbranch_execz .LBB42_49
; %bb.48:                               ;   in Loop: Header=BB42_4 Depth=1
	v_add_co_u32_e64 v16, s[8:9], v21, v10
	v_addc_co_u32_e64 v17, s[8:9], v23, v11, s[8:9]
	global_load_dwordx2 v[24:25], v[16:17], off
	s_waitcnt vmcnt(0)
	v_fma_f64 v[24:25], s[34:35], v[30:31], v[24:25]
	global_store_dwordx2 v[16:17], v[24:25], off
.LBB42_49:                              ;   in Loop: Header=BB42_4 Depth=1
	s_or_b64 exec, exec, s[10:11]
	s_and_b64 s[10:11], s[18:19], vcc
	s_and_saveexec_b64 s[8:9], s[10:11]
	s_cbranch_execz .LBB42_3
; %bb.50:                               ;   in Loop: Header=BB42_4 Depth=1
	v_add_co_u32_e32 v16, vcc, v21, v18
	v_addc_co_u32_e32 v17, vcc, v23, v19, vcc
	global_load_dwordx2 v[23:24], v[16:17], off
	s_waitcnt vmcnt(0)
	v_fma_f64 v[23:24], s[34:35], v[28:29], v[23:24]
	global_store_dwordx2 v[16:17], v[23:24], off
	s_branch .LBB42_3
.LBB42_51:
	s_endpgm
	.section	.rodata,"a",@progbits
	.p2align	6, 0x0
	.amdhsa_kernel _ZL30rocblas_trmm_outofplace_kernelIdLi32ELi2ELb1ELb1ELb1ELb0EPKdS0_dEv17rocblas_diagonal_iiT6_lPT7_lllS5_lllPT8_llli
		.amdhsa_group_segment_fixed_size 16384
		.amdhsa_private_segment_fixed_size 12
		.amdhsa_kernarg_size 392
		.amdhsa_user_sgpr_count 6
		.amdhsa_user_sgpr_private_segment_buffer 1
		.amdhsa_user_sgpr_dispatch_ptr 0
		.amdhsa_user_sgpr_queue_ptr 0
		.amdhsa_user_sgpr_kernarg_segment_ptr 1
		.amdhsa_user_sgpr_dispatch_id 0
		.amdhsa_user_sgpr_flat_scratch_init 0
		.amdhsa_user_sgpr_private_segment_size 0
		.amdhsa_uses_dynamic_stack 0
		.amdhsa_system_sgpr_private_segment_wavefront_offset 1
		.amdhsa_system_sgpr_workgroup_id_x 1
		.amdhsa_system_sgpr_workgroup_id_y 1
		.amdhsa_system_sgpr_workgroup_id_z 1
		.amdhsa_system_sgpr_workgroup_info 0
		.amdhsa_system_vgpr_workitem_id 1
		.amdhsa_next_free_vgpr 63
		.amdhsa_next_free_sgpr 61
		.amdhsa_reserve_vcc 1
		.amdhsa_reserve_flat_scratch 0
		.amdhsa_float_round_mode_32 0
		.amdhsa_float_round_mode_16_64 0
		.amdhsa_float_denorm_mode_32 3
		.amdhsa_float_denorm_mode_16_64 3
		.amdhsa_dx10_clamp 1
		.amdhsa_ieee_mode 1
		.amdhsa_fp16_overflow 0
		.amdhsa_exception_fp_ieee_invalid_op 0
		.amdhsa_exception_fp_denorm_src 0
		.amdhsa_exception_fp_ieee_div_zero 0
		.amdhsa_exception_fp_ieee_overflow 0
		.amdhsa_exception_fp_ieee_underflow 0
		.amdhsa_exception_fp_ieee_inexact 0
		.amdhsa_exception_int_div_zero 0
	.end_amdhsa_kernel
	.section	.text._ZL30rocblas_trmm_outofplace_kernelIdLi32ELi2ELb1ELb1ELb1ELb0EPKdS0_dEv17rocblas_diagonal_iiT6_lPT7_lllS5_lllPT8_llli,"axG",@progbits,_ZL30rocblas_trmm_outofplace_kernelIdLi32ELi2ELb1ELb1ELb1ELb0EPKdS0_dEv17rocblas_diagonal_iiT6_lPT7_lllS5_lllPT8_llli,comdat
.Lfunc_end42:
	.size	_ZL30rocblas_trmm_outofplace_kernelIdLi32ELi2ELb1ELb1ELb1ELb0EPKdS0_dEv17rocblas_diagonal_iiT6_lPT7_lllS5_lllPT8_llli, .Lfunc_end42-_ZL30rocblas_trmm_outofplace_kernelIdLi32ELi2ELb1ELb1ELb1ELb0EPKdS0_dEv17rocblas_diagonal_iiT6_lPT7_lllS5_lllPT8_llli
                                        ; -- End function
	.set _ZL30rocblas_trmm_outofplace_kernelIdLi32ELi2ELb1ELb1ELb1ELb0EPKdS0_dEv17rocblas_diagonal_iiT6_lPT7_lllS5_lllPT8_llli.num_vgpr, 63
	.set _ZL30rocblas_trmm_outofplace_kernelIdLi32ELi2ELb1ELb1ELb1ELb0EPKdS0_dEv17rocblas_diagonal_iiT6_lPT7_lllS5_lllPT8_llli.num_agpr, 0
	.set _ZL30rocblas_trmm_outofplace_kernelIdLi32ELi2ELb1ELb1ELb1ELb0EPKdS0_dEv17rocblas_diagonal_iiT6_lPT7_lllS5_lllPT8_llli.numbered_sgpr, 60
	.set _ZL30rocblas_trmm_outofplace_kernelIdLi32ELi2ELb1ELb1ELb1ELb0EPKdS0_dEv17rocblas_diagonal_iiT6_lPT7_lllS5_lllPT8_llli.num_named_barrier, 0
	.set _ZL30rocblas_trmm_outofplace_kernelIdLi32ELi2ELb1ELb1ELb1ELb0EPKdS0_dEv17rocblas_diagonal_iiT6_lPT7_lllS5_lllPT8_llli.private_seg_size, 12
	.set _ZL30rocblas_trmm_outofplace_kernelIdLi32ELi2ELb1ELb1ELb1ELb0EPKdS0_dEv17rocblas_diagonal_iiT6_lPT7_lllS5_lllPT8_llli.uses_vcc, 1
	.set _ZL30rocblas_trmm_outofplace_kernelIdLi32ELi2ELb1ELb1ELb1ELb0EPKdS0_dEv17rocblas_diagonal_iiT6_lPT7_lllS5_lllPT8_llli.uses_flat_scratch, 0
	.set _ZL30rocblas_trmm_outofplace_kernelIdLi32ELi2ELb1ELb1ELb1ELb0EPKdS0_dEv17rocblas_diagonal_iiT6_lPT7_lllS5_lllPT8_llli.has_dyn_sized_stack, 0
	.set _ZL30rocblas_trmm_outofplace_kernelIdLi32ELi2ELb1ELb1ELb1ELb0EPKdS0_dEv17rocblas_diagonal_iiT6_lPT7_lllS5_lllPT8_llli.has_recursion, 0
	.set _ZL30rocblas_trmm_outofplace_kernelIdLi32ELi2ELb1ELb1ELb1ELb0EPKdS0_dEv17rocblas_diagonal_iiT6_lPT7_lllS5_lllPT8_llli.has_indirect_call, 0
	.section	.AMDGPU.csdata,"",@progbits
; Kernel info:
; codeLenInByte = 3872
; TotalNumSgprs: 64
; NumVgprs: 63
; ScratchSize: 12
; MemoryBound: 0
; FloatMode: 240
; IeeeMode: 1
; LDSByteSize: 16384 bytes/workgroup (compile time only)
; SGPRBlocks: 8
; VGPRBlocks: 15
; NumSGPRsForWavesPerEU: 65
; NumVGPRsForWavesPerEU: 63
; Occupancy: 4
; WaveLimiterHint : 0
; COMPUTE_PGM_RSRC2:SCRATCH_EN: 1
; COMPUTE_PGM_RSRC2:USER_SGPR: 6
; COMPUTE_PGM_RSRC2:TRAP_HANDLER: 0
; COMPUTE_PGM_RSRC2:TGID_X_EN: 1
; COMPUTE_PGM_RSRC2:TGID_Y_EN: 1
; COMPUTE_PGM_RSRC2:TGID_Z_EN: 1
; COMPUTE_PGM_RSRC2:TIDIG_COMP_CNT: 1
	.section	.text._ZL30rocblas_trmm_outofplace_kernelIdLi32ELi2ELb1ELb1ELb1ELb0EdKddEv17rocblas_diagonal_iiT6_lPT7_lllS4_lllPT8_llli,"axG",@progbits,_ZL30rocblas_trmm_outofplace_kernelIdLi32ELi2ELb1ELb1ELb1ELb0EdKddEv17rocblas_diagonal_iiT6_lPT7_lllS4_lllPT8_llli,comdat
	.globl	_ZL30rocblas_trmm_outofplace_kernelIdLi32ELi2ELb1ELb1ELb1ELb0EdKddEv17rocblas_diagonal_iiT6_lPT7_lllS4_lllPT8_llli ; -- Begin function _ZL30rocblas_trmm_outofplace_kernelIdLi32ELi2ELb1ELb1ELb1ELb0EdKddEv17rocblas_diagonal_iiT6_lPT7_lllS4_lllPT8_llli
	.p2align	8
	.type	_ZL30rocblas_trmm_outofplace_kernelIdLi32ELi2ELb1ELb1ELb1ELb0EdKddEv17rocblas_diagonal_iiT6_lPT7_lllS4_lllPT8_llli,@function
_ZL30rocblas_trmm_outofplace_kernelIdLi32ELi2ELb1ELb1ELb1ELb0EdKddEv17rocblas_diagonal_iiT6_lPT7_lllS4_lllPT8_llli: ; @_ZL30rocblas_trmm_outofplace_kernelIdLi32ELi2ELb1ELb1ELb1ELb0EdKddEv17rocblas_diagonal_iiT6_lPT7_lllS4_lllPT8_llli
; %bb.0:
	s_load_dwordx2 s[34:35], s[4:5], 0x10
	s_mov_b64 s[54:55], s[2:3]
	s_mov_b64 s[52:53], s[0:1]
	s_add_u32 s52, s52, s9
	s_addc_u32 s53, s53, 0
	s_waitcnt lgkmcnt(0)
	v_cmp_eq_f64_e64 s[0:1], s[34:35], 0
	s_and_b64 vcc, exec, s[0:1]
	s_cbranch_vccnz .LBB43_51
; %bb.1:
	s_load_dwordx4 s[28:31], s[4:5], 0x0
	s_waitcnt lgkmcnt(0)
	s_add_i32 s0, s30, -1
	s_ashr_i32 s1, s0, 31
	s_lshr_b32 s1, s1, 27
	s_add_i32 s0, s0, s1
	s_ashr_i32 s31, s0, 5
	s_cmp_gt_i32 s7, s31
	s_cbranch_scc1 .LBB43_51
; %bb.2:
	s_load_dwordx16 s[12:27], s[4:5], 0x20
	s_load_dwordx8 s[36:43], s[4:5], 0x60
	v_lshlrev_b32_e32 v20, 3, v1
	s_load_dword s48, s[4:5], 0x8c
	v_lshlrev_b32_e32 v44, 3, v0
	s_waitcnt lgkmcnt(0)
	s_mul_i32 s1, s19, s8
	s_mul_hi_u32 s2, s18, s8
	s_mul_i32 s0, s18, s8
	s_add_i32 s1, s2, s1
	s_lshl_b64 s[10:11], s[0:1], 3
	s_add_u32 s0, s12, s10
	s_addc_u32 s1, s13, s11
	s_lshl_b64 s[14:15], s[14:15], 3
	s_add_u32 s2, s0, s14
	s_addc_u32 s3, s1, s15
	s_mul_i32 s0, s43, s8
	s_mul_hi_u32 s1, s42, s8
	s_add_i32 s1, s1, s0
	s_mul_i32 s0, s42, s8
	s_lshl_b64 s[0:1], s[0:1], 3
	s_add_u32 s9, s36, s0
	s_addc_u32 s18, s37, s1
	s_lshl_b64 s[0:1], s[38:39], 3
	s_add_u32 s33, s9, s0
	s_addc_u32 s46, s18, s1
	s_lshl_b32 s47, s6, 5
	v_add_u32_e32 v2, s47, v0
	v_ashrrev_i32_e32 v3, 31, v2
	v_mul_lo_u32 v6, s16, v3
	v_mul_lo_u32 v7, s17, v2
	v_mad_u64_u32 v[4:5], s[0:1], s16, v2, 0
	s_cmp_gt_i32 s6, -1
	s_cselect_b64 s[36:37], -1, 0
	v_add3_u32 v5, v5, v6, v7
	v_lshlrev_b64 v[4:5], 3, v[4:5]
	s_cmpk_eq_i32 s28, 0x84
	v_mov_b32_e32 v6, s3
	v_add_co_u32_e32 v4, vcc, s2, v4
	s_cselect_b64 s[38:39], -1, 0
	s_ashr_i32 s43, s29, 31
	s_ashr_i32 s6, s30, 31
	v_addc_co_u32_e32 v5, vcc, v6, v5, vcc
	s_add_u32 s44, s29, -16
	s_mul_i32 s9, s27, s8
	s_mul_hi_u32 s27, s26, s8
	v_add_co_u32_e32 v42, vcc, v4, v20
	s_addc_u32 s45, s43, -1
	s_add_i32 s9, s27, s9
	s_mul_i32 s8, s26, s8
	v_addc_co_u32_e32 v43, vcc, 0, v5, vcc
	v_lshlrev_b32_e32 v4, 8, v1
	s_lshl_b64 s[8:9], s[8:9], 3
	s_lshl_b64 s[22:23], s[22:23], 3
	v_add_u32_e32 v45, v44, v4
	v_add_u32_e32 v46, 0x2000, v4
	v_add_co_u32_e32 v4, vcc, 16, v2
	s_add_u32 s8, s8, s22
	v_addc_co_u32_e32 v5, vcc, 0, v3, vcc
	s_addc_u32 s9, s9, s23
	v_sub_co_u32_e32 v6, vcc, v2, v1
	s_add_u32 s20, s20, s8
	v_subbrev_co_u32_e32 v7, vcc, 0, v3, vcc
	s_addc_u32 s8, s21, s9
	s_lshl_b64 s[22:23], s[24:25], 3
	s_lshl_b32 s49, s48, 5
	v_add_co_u32_e32 v8, vcc, 16, v6
	v_mov_b32_e32 v14, s8
	v_lshlrev_b64 v[10:11], 3, v[2:3]
	s_add_u32 s8, s14, s10
	v_addc_co_u32_e32 v9, vcc, 0, v7, vcc
	s_movk_i32 s21, 0x80
	s_addc_u32 s9, s15, s11
	v_add_co_u32_e32 v15, vcc, s21, v10
	v_mov_b32_e32 v13, s9
	v_addc_co_u32_e32 v21, vcc, 0, v11, vcc
	v_mov_b32_e32 v12, s8
	v_mad_u64_u32 v[16:17], s[8:9], s16, v15, v[12:13]
	v_mul_lo_u32 v21, s16, v21
	v_mul_lo_u32 v15, s17, v15
	v_add_co_u32_e32 v12, vcc, s20, v44
	v_addc_co_u32_e32 v13, vcc, 0, v14, vcc
	v_add_co_u32_e32 v14, vcc, -16, v6
	v_add3_u32 v17, v15, v17, v21
	v_addc_co_u32_e32 v15, vcc, -1, v7, vcc
	v_add_co_u32_e32 v16, vcc, v16, v20
	v_addc_co_u32_e32 v17, vcc, 0, v17, vcc
	v_add_u32_e32 v18, 16, v2
	v_mov_b32_e32 v20, s13
	v_add_co_u32_e32 v48, vcc, s12, v16
	s_mov_b32 s42, s29
	v_ashrrev_i32_e32 v19, 31, v18
	v_addc_co_u32_e32 v49, vcc, v20, v17, vcc
	v_cmp_le_i64_e64 s[2:3], s[42:43], v[4:5]
	v_cmp_gt_i32_e64 s[18:19], s29, v18
	v_add_co_u32_e32 v16, vcc, s21, v12
	v_lshlrev_b64 v[18:19], 3, v[18:19]
	v_add_u32_e32 v47, v46, v44
	v_cmp_le_i32_e64 s[0:1], s29, v2
	v_cmp_gt_i32_e64 s[4:5], s29, v2
	v_addc_co_u32_e32 v17, vcc, 0, v13, vcc
	v_mov_b32_e32 v50, 0x3ff00000
	v_mov_b32_e32 v20, 0
	v_lshl_add_u32 v22, s7, 5, v1
	buffer_store_dword v16, off, s[52:55], 0 ; 4-byte Folded Spill
	s_nop 0
	buffer_store_dword v17, off, s[52:55], 0 offset:4 ; 4-byte Folded Spill
	s_branch .LBB43_4
.LBB43_3:                               ;   in Loop: Header=BB43_4 Depth=1
	s_or_b64 exec, exec, s[8:9]
	s_add_i32 s7, s48, s7
	s_cmp_le_i32 s7, s31
	v_add_u32_e32 v22, s49, v22
	s_cbranch_scc0 .LBB43_51
.LBB43_4:                               ; =>This Loop Header: Depth=1
                                        ;     Child Loop BB43_7 Depth 2
	v_lshl_add_u32 v51, s7, 5, v1
	v_mov_b32_e32 v34, 0
	v_mov_b32_e32 v32, 0
	;; [unrolled: 1-line block ×5, first 2 shown]
	s_andn2_b64 vcc, exec, s[36:37]
	v_mov_b32_e32 v33, 0
	v_mov_b32_e32 v31, 0
	;; [unrolled: 1-line block ×3, first 2 shown]
	v_ashrrev_i32_e32 v52, 31, v51
	s_cbranch_vccnz .LBB43_43
; %bb.5:                                ;   in Loop: Header=BB43_4 Depth=1
	buffer_load_dword v16, off, s[52:55], 0 ; 4-byte Folded Reload
	buffer_load_dword v17, off, s[52:55], 0 offset:4 ; 4-byte Folded Reload
	v_ashrrev_i32_e32 v23, 31, v22
	v_lshlrev_b64 v[26:27], 3, v[22:23]
	v_mov_b32_e32 v30, 0
	v_add_co_u32_e32 v21, vcc, 0x80, v26
	v_mul_lo_u32 v28, s25, v21
	v_mov_b32_e32 v32, 0
	v_mov_b32_e32 v34, 0
	s_mov_b64 s[26:27], 0
	v_mov_b32_e32 v31, 0
	v_mov_b32_e32 v33, 0
	v_mov_b32_e32 v35, 0
	s_mov_b64 s[28:29], 0
	s_waitcnt vmcnt(0)
	v_mad_u64_u32 v[24:25], s[8:9], s22, v22, v[16:17]
	v_mul_lo_u32 v17, s22, v23
	v_addc_co_u32_e32 v23, vcc, 0, v27, vcc
	v_mul_lo_u32 v16, s23, v22
	v_mul_lo_u32 v23, s24, v23
	v_mad_u64_u32 v[26:27], s[8:9], s24, v21, v[12:13]
	v_add3_u32 v25, v16, v25, v17
	v_mov_b32_e32 v16, s6
	v_add3_u32 v27, v28, v27, v23
	v_sub_co_u32_e32 v28, vcc, s30, v51
	v_subb_co_u32_e32 v29, vcc, v16, v52, vcc
	v_cmp_lt_i64_e32 vcc, 0, v[28:29]
	v_cmp_lt_i64_e64 s[8:9], 16, v[28:29]
	v_mov_b32_e32 v28, 0
	v_mov_b32_e32 v29, 0
	s_branch .LBB43_7
.LBB43_6:                               ;   in Loop: Header=BB43_7 Depth=2
	s_or_b64 exec, exec, s[10:11]
	s_waitcnt lgkmcnt(0)
	s_barrier
	ds_read_b128 v[36:39], v46
	ds_read2_b64 v[53:56], v44 offset1:16
	ds_read_b128 v[57:60], v46 offset:4096
	v_add_u32_e32 v21, 0x800, v44
	s_add_u32 s28, s28, 32
	s_addc_u32 s29, s29, 0
	s_waitcnt lgkmcnt(1)
	v_fma_f64 v[40:41], v[53:54], v[36:37], v[34:35]
	v_fma_f64 v[61:62], v[55:56], v[36:37], v[32:33]
	s_waitcnt lgkmcnt(0)
	v_fma_f64 v[16:17], v[53:54], v[57:58], v[30:31]
	v_fma_f64 v[28:29], v[55:56], v[57:58], v[28:29]
	ds_read2_b64 v[30:33], v44 offset0:32 offset1:48
	ds_read_b128 v[34:37], v46 offset:16
	ds_read2_b64 v[53:56], v44 offset0:64 offset1:80
	s_sub_i32 s10, s28, 32
	s_add_u32 s26, s26, 0x100
	s_addc_u32 s27, s27, 0
	s_waitcnt lgkmcnt(2)
	v_fma_f64 v[57:58], v[30:31], v[38:39], v[40:41]
	v_fma_f64 v[61:62], v[32:33], v[38:39], v[61:62]
	;; [unrolled: 1-line block ×4, first 2 shown]
	ds_read_b128 v[28:31], v46 offset:4112
	ds_read2_b64 v[38:41], v44 offset0:96 offset1:112
	s_cmp_ge_i32 s10, s47
	s_waitcnt lgkmcnt(2)
	v_fma_f64 v[57:58], v[53:54], v[34:35], v[57:58]
	v_fma_f64 v[59:60], v[55:56], v[34:35], v[61:62]
	s_waitcnt lgkmcnt(1)
	v_fma_f64 v[16:17], v[53:54], v[28:29], v[16:17]
	v_fma_f64 v[28:29], v[55:56], v[28:29], v[32:33]
	ds_read_b128 v[32:35], v46 offset:32
	ds_read2_b64 v[53:56], v44 offset0:128 offset1:144
	s_waitcnt lgkmcnt(2)
	v_fma_f64 v[57:58], v[38:39], v[36:37], v[57:58]
	v_fma_f64 v[59:60], v[40:41], v[36:37], v[59:60]
	;; [unrolled: 1-line block ×4, first 2 shown]
	ds_read_b128 v[28:31], v46 offset:4128
	ds_read2_b64 v[36:39], v44 offset0:160 offset1:176
	s_waitcnt lgkmcnt(2)
	v_fma_f64 v[61:62], v[53:54], v[32:33], v[57:58]
	v_fma_f64 v[32:33], v[55:56], v[32:33], v[59:60]
	s_waitcnt lgkmcnt(1)
	v_fma_f64 v[16:17], v[53:54], v[28:29], v[16:17]
	v_fma_f64 v[28:29], v[55:56], v[28:29], v[40:41]
	ds_read_b128 v[53:56], v46 offset:48
	ds_read2_b64 v[57:60], v44 offset0:192 offset1:208
	s_waitcnt lgkmcnt(2)
	v_fma_f64 v[40:41], v[36:37], v[34:35], v[61:62]
	v_fma_f64 v[61:62], v[38:39], v[34:35], v[32:33]
	;; [unrolled: 1-line block ×4, first 2 shown]
	ds_read_b128 v[28:31], v46 offset:4144
	ds_read2_b64 v[32:35], v44 offset0:224 offset1:240
	s_waitcnt lgkmcnt(2)
	v_fma_f64 v[40:41], v[57:58], v[53:54], v[40:41]
	v_fma_f64 v[53:54], v[59:60], v[53:54], v[61:62]
	s_waitcnt lgkmcnt(1)
	v_fma_f64 v[16:17], v[57:58], v[28:29], v[16:17]
	v_fma_f64 v[28:29], v[59:60], v[28:29], v[36:37]
	ds_read_b128 v[36:39], v46 offset:64
	ds_read2_b64 v[57:60], v21 offset1:16
	s_waitcnt lgkmcnt(2)
	v_fma_f64 v[40:41], v[32:33], v[55:56], v[40:41]
	v_fma_f64 v[53:54], v[34:35], v[55:56], v[53:54]
	v_fma_f64 v[16:17], v[32:33], v[30:31], v[16:17]
	v_fma_f64 v[55:56], v[34:35], v[30:31], v[28:29]
	ds_read_b128 v[28:31], v46 offset:4160
	ds_read2_b64 v[32:35], v21 offset0:32 offset1:48
	s_waitcnt lgkmcnt(2)
	v_fma_f64 v[40:41], v[57:58], v[36:37], v[40:41]
	v_fma_f64 v[36:37], v[59:60], v[36:37], v[53:54]
	s_waitcnt lgkmcnt(1)
	v_fma_f64 v[16:17], v[57:58], v[28:29], v[16:17]
	v_fma_f64 v[28:29], v[59:60], v[28:29], v[55:56]
	ds_read_b128 v[53:56], v46 offset:80
	ds_read2_b64 v[57:60], v21 offset0:64 offset1:80
	s_waitcnt lgkmcnt(2)
	v_fma_f64 v[40:41], v[32:33], v[38:39], v[40:41]
	v_fma_f64 v[36:37], v[34:35], v[38:39], v[36:37]
	v_fma_f64 v[16:17], v[32:33], v[30:31], v[16:17]
	v_fma_f64 v[38:39], v[34:35], v[30:31], v[28:29]
	ds_read_b128 v[28:31], v46 offset:4176
	ds_read2_b64 v[32:35], v21 offset0:96 offset1:112
	s_waitcnt lgkmcnt(2)
	v_fma_f64 v[40:41], v[57:58], v[53:54], v[40:41]
	v_fma_f64 v[53:54], v[59:60], v[53:54], v[36:37]
	s_waitcnt lgkmcnt(1)
	v_fma_f64 v[16:17], v[57:58], v[28:29], v[16:17]
	v_fma_f64 v[28:29], v[59:60], v[28:29], v[38:39]
	ds_read_b128 v[36:39], v46 offset:96
	ds_read2_b64 v[57:60], v21 offset0:128 offset1:144
	;; [unrolled: 15-line block ×3, first 2 shown]
	s_waitcnt lgkmcnt(2)
	v_fma_f64 v[40:41], v[32:33], v[38:39], v[40:41]
	v_fma_f64 v[36:37], v[34:35], v[38:39], v[36:37]
	;; [unrolled: 1-line block ×4, first 2 shown]
	ds_read_b128 v[28:31], v46 offset:4208
	ds_read2_b64 v[32:35], v21 offset0:224 offset1:240
	v_add_u32_e32 v21, 0x1000, v44
	s_waitcnt lgkmcnt(2)
	v_fma_f64 v[40:41], v[57:58], v[53:54], v[40:41]
	v_fma_f64 v[53:54], v[59:60], v[53:54], v[36:37]
	s_waitcnt lgkmcnt(1)
	v_fma_f64 v[16:17], v[57:58], v[28:29], v[16:17]
	v_fma_f64 v[28:29], v[59:60], v[28:29], v[38:39]
	ds_read_b128 v[36:39], v46 offset:128
	ds_read2_b64 v[57:60], v21 offset1:16
	s_waitcnt lgkmcnt(2)
	v_fma_f64 v[40:41], v[32:33], v[55:56], v[40:41]
	v_fma_f64 v[53:54], v[34:35], v[55:56], v[53:54]
	v_fma_f64 v[16:17], v[32:33], v[30:31], v[16:17]
	v_fma_f64 v[55:56], v[34:35], v[30:31], v[28:29]
	ds_read_b128 v[28:31], v46 offset:4224
	ds_read2_b64 v[32:35], v21 offset0:32 offset1:48
	s_waitcnt lgkmcnt(2)
	v_fma_f64 v[40:41], v[57:58], v[36:37], v[40:41]
	v_fma_f64 v[36:37], v[59:60], v[36:37], v[53:54]
	s_waitcnt lgkmcnt(1)
	v_fma_f64 v[16:17], v[57:58], v[28:29], v[16:17]
	v_fma_f64 v[28:29], v[59:60], v[28:29], v[55:56]
	ds_read_b128 v[53:56], v46 offset:144
	ds_read2_b64 v[57:60], v21 offset0:64 offset1:80
	s_waitcnt lgkmcnt(2)
	v_fma_f64 v[40:41], v[32:33], v[38:39], v[40:41]
	v_fma_f64 v[36:37], v[34:35], v[38:39], v[36:37]
	v_fma_f64 v[16:17], v[32:33], v[30:31], v[16:17]
	v_fma_f64 v[38:39], v[34:35], v[30:31], v[28:29]
	ds_read_b128 v[28:31], v46 offset:4240
	ds_read2_b64 v[32:35], v21 offset0:96 offset1:112
	s_waitcnt lgkmcnt(2)
	v_fma_f64 v[40:41], v[57:58], v[53:54], v[40:41]
	v_fma_f64 v[53:54], v[59:60], v[53:54], v[36:37]
	s_waitcnt lgkmcnt(1)
	v_fma_f64 v[16:17], v[57:58], v[28:29], v[16:17]
	v_fma_f64 v[28:29], v[59:60], v[28:29], v[38:39]
	ds_read_b128 v[36:39], v46 offset:160
	ds_read2_b64 v[57:60], v21 offset0:128 offset1:144
	;; [unrolled: 15-line block ×3, first 2 shown]
	s_waitcnt lgkmcnt(2)
	v_fma_f64 v[40:41], v[32:33], v[38:39], v[40:41]
	v_fma_f64 v[36:37], v[34:35], v[38:39], v[36:37]
	;; [unrolled: 1-line block ×4, first 2 shown]
	ds_read_b128 v[28:31], v46 offset:4272
	ds_read2_b64 v[32:35], v21 offset0:224 offset1:240
	v_add_u32_e32 v21, 0x1800, v44
	s_waitcnt lgkmcnt(2)
	v_fma_f64 v[40:41], v[57:58], v[53:54], v[40:41]
	v_fma_f64 v[53:54], v[59:60], v[53:54], v[36:37]
	s_waitcnt lgkmcnt(1)
	v_fma_f64 v[16:17], v[57:58], v[28:29], v[16:17]
	v_fma_f64 v[28:29], v[59:60], v[28:29], v[38:39]
	ds_read_b128 v[36:39], v46 offset:192
	ds_read2_b64 v[57:60], v21 offset1:16
	s_waitcnt lgkmcnt(2)
	v_fma_f64 v[40:41], v[32:33], v[55:56], v[40:41]
	v_fma_f64 v[53:54], v[34:35], v[55:56], v[53:54]
	v_fma_f64 v[16:17], v[32:33], v[30:31], v[16:17]
	v_fma_f64 v[55:56], v[34:35], v[30:31], v[28:29]
	ds_read_b128 v[28:31], v46 offset:4288
	ds_read2_b64 v[32:35], v21 offset0:32 offset1:48
	s_waitcnt lgkmcnt(2)
	v_fma_f64 v[40:41], v[57:58], v[36:37], v[40:41]
	v_fma_f64 v[36:37], v[59:60], v[36:37], v[53:54]
	s_waitcnt lgkmcnt(1)
	v_fma_f64 v[16:17], v[57:58], v[28:29], v[16:17]
	v_fma_f64 v[28:29], v[59:60], v[28:29], v[55:56]
	ds_read_b128 v[53:56], v46 offset:208
	ds_read2_b64 v[57:60], v21 offset0:64 offset1:80
	s_waitcnt lgkmcnt(2)
	v_fma_f64 v[40:41], v[32:33], v[38:39], v[40:41]
	v_fma_f64 v[36:37], v[34:35], v[38:39], v[36:37]
	v_fma_f64 v[16:17], v[32:33], v[30:31], v[16:17]
	v_fma_f64 v[38:39], v[34:35], v[30:31], v[28:29]
	ds_read_b128 v[28:31], v46 offset:4304
	ds_read2_b64 v[32:35], v21 offset0:96 offset1:112
	s_waitcnt lgkmcnt(2)
	v_fma_f64 v[40:41], v[57:58], v[53:54], v[40:41]
	v_fma_f64 v[53:54], v[59:60], v[53:54], v[36:37]
	s_waitcnt lgkmcnt(1)
	v_fma_f64 v[16:17], v[57:58], v[28:29], v[16:17]
	v_fma_f64 v[28:29], v[59:60], v[28:29], v[38:39]
	ds_read_b128 v[36:39], v46 offset:224
	ds_read2_b64 v[57:60], v21 offset0:128 offset1:144
	;; [unrolled: 15-line block ×3, first 2 shown]
	s_waitcnt lgkmcnt(2)
	v_fma_f64 v[40:41], v[32:33], v[38:39], v[40:41]
	v_fma_f64 v[38:39], v[34:35], v[38:39], v[36:37]
	;; [unrolled: 1-line block ×4, first 2 shown]
	ds_read_b128 v[34:37], v46 offset:4336
	s_waitcnt lgkmcnt(1)
	v_fma_f64 v[30:31], v[57:58], v[53:54], v[40:41]
	v_fma_f64 v[32:33], v[59:60], v[53:54], v[38:39]
	s_waitcnt lgkmcnt(0)
	v_fma_f64 v[16:17], v[57:58], v[34:35], v[16:17]
	v_fma_f64 v[28:29], v[59:60], v[34:35], v[28:29]
	ds_read2_b64 v[38:41], v21 offset0:224 offset1:240
	s_waitcnt lgkmcnt(0)
	s_barrier
	v_fma_f64 v[34:35], v[38:39], v[55:56], v[30:31]
	v_fma_f64 v[32:33], v[40:41], v[55:56], v[32:33]
	;; [unrolled: 1-line block ×4, first 2 shown]
	s_cbranch_scc1 .LBB43_43
.LBB43_7:                               ;   Parent Loop BB43_4 Depth=1
                                        ; =>  This Inner Loop Header: Depth=2
	v_mov_b32_e32 v16, s29
	v_add_co_u32_e64 v38, s[10:11], s28, v1
	v_addc_co_u32_e64 v39, s[10:11], 0, v16, s[10:11]
	v_mov_b32_e32 v16, s27
	v_add_co_u32_e64 v36, s[10:11], s26, v42
	v_addc_co_u32_e64 v37, s[10:11], v43, v16, s[10:11]
	v_cmp_le_i64_e64 s[14:15], s[42:43], v[38:39]
	v_cmp_eq_u64_e64 s[10:11], s[28:29], v[6:7]
	v_cmp_gt_i64_e64 s[12:13], v[38:39], v[2:3]
	s_and_b64 s[10:11], s[38:39], s[10:11]
	s_or_b64 s[16:17], s[14:15], s[12:13]
	s_or_b64 s[16:17], s[16:17], s[10:11]
	s_nor_b64 s[16:17], s[0:1], s[16:17]
                                        ; implicit-def: $vgpr40_vgpr41
	s_and_saveexec_b64 s[20:21], s[16:17]
	s_xor_b64 s[16:17], exec, s[20:21]
	s_cbranch_execz .LBB43_9
; %bb.8:                                ;   in Loop: Header=BB43_7 Depth=2
	global_load_dwordx2 v[40:41], v[36:37], off
.LBB43_9:                               ;   in Loop: Header=BB43_7 Depth=2
	s_andn2_saveexec_b64 s[16:17], s[16:17]
	s_cbranch_execz .LBB43_11
; %bb.10:                               ;   in Loop: Header=BB43_7 Depth=2
	v_cndmask_b32_e64 v21, 0, v50, s[10:11]
	s_waitcnt vmcnt(0)
	v_mov_b32_e32 v41, v21
	v_mov_b32_e32 v40, v20
.LBB43_11:                              ;   in Loop: Header=BB43_7 Depth=2
	s_or_b64 exec, exec, s[16:17]
	v_cmp_eq_u64_e64 s[16:17], s[28:29], v[8:9]
	v_cmp_lt_i64_e64 s[20:21], v[4:5], v[38:39]
	s_and_b64 s[16:17], s[38:39], s[16:17]
	s_or_b64 s[14:15], s[14:15], s[20:21]
	s_or_b64 s[14:15], s[14:15], s[16:17]
	s_nor_b64 s[14:15], s[2:3], s[14:15]
	s_waitcnt vmcnt(0)
	ds_write_b64 v45, v[40:41]
	s_and_saveexec_b64 s[20:21], s[14:15]
	s_xor_b64 s[20:21], exec, s[20:21]
	s_cbranch_execz .LBB43_13
; %bb.12:                               ;   in Loop: Header=BB43_7 Depth=2
	v_mov_b32_e32 v16, s27
	v_add_co_u32_e64 v40, s[14:15], s26, v48
	v_addc_co_u32_e64 v41, s[14:15], v49, v16, s[14:15]
	global_load_dwordx2 v[40:41], v[40:41], off
	s_waitcnt vmcnt(0)
	ds_write_b64 v45, v[40:41] offset:128
.LBB43_13:                              ;   in Loop: Header=BB43_7 Depth=2
	s_andn2_saveexec_b64 s[14:15], s[20:21]
	s_cbranch_execz .LBB43_19
; %bb.14:                               ;   in Loop: Header=BB43_7 Depth=2
	s_xor_b64 s[16:17], s[16:17], -1
	s_and_saveexec_b64 s[20:21], s[16:17]
	s_xor_b64 s[16:17], exec, s[20:21]
; %bb.15:                               ;   in Loop: Header=BB43_7 Depth=2
	v_mov_b32_e32 v21, v20
	ds_write_b64 v45, v[20:21] offset:128
; %bb.16:                               ;   in Loop: Header=BB43_7 Depth=2
	s_andn2_saveexec_b64 s[16:17], s[16:17]
; %bb.17:                               ;   in Loop: Header=BB43_7 Depth=2
	v_mov_b32_e32 v21, v50
	ds_write_b64 v45, v[20:21] offset:128
; %bb.18:                               ;   in Loop: Header=BB43_7 Depth=2
	s_or_b64 exec, exec, s[16:17]
.LBB43_19:                              ;   in Loop: Header=BB43_7 Depth=2
	s_or_b64 exec, exec, s[14:15]
	v_add_co_u32_e64 v38, s[14:15], 16, v38
	v_addc_co_u32_e64 v39, s[14:15], 0, v39, s[14:15]
	v_cmp_le_i64_e64 s[14:15], s[42:43], v[38:39]
	v_cmp_eq_u64_e64 s[16:17], s[28:29], v[14:15]
	v_cmp_gt_i64_e64 s[20:21], v[38:39], v[2:3]
	s_and_b64 s[16:17], s[38:39], s[16:17]
	s_or_b64 s[20:21], s[14:15], s[20:21]
	s_or_b64 s[20:21], s[20:21], s[16:17]
	s_nor_b64 s[20:21], s[0:1], s[20:21]
                                        ; implicit-def: $vgpr38_vgpr39
	s_and_saveexec_b64 s[50:51], s[20:21]
	s_xor_b64 s[20:21], exec, s[50:51]
	s_cbranch_execz .LBB43_21
; %bb.20:                               ;   in Loop: Header=BB43_7 Depth=2
	global_load_dwordx2 v[38:39], v[36:37], off offset:128
.LBB43_21:                              ;   in Loop: Header=BB43_7 Depth=2
	s_andn2_saveexec_b64 s[20:21], s[20:21]
	s_cbranch_execz .LBB43_23
; %bb.22:                               ;   in Loop: Header=BB43_7 Depth=2
	v_cndmask_b32_e64 v21, 0, v50, s[16:17]
	s_waitcnt vmcnt(0)
	v_mov_b32_e32 v39, v21
	v_mov_b32_e32 v38, v20
.LBB43_23:                              ;   in Loop: Header=BB43_7 Depth=2
	s_or_b64 exec, exec, s[20:21]
	s_or_b64 s[12:13], s[14:15], s[12:13]
	s_or_b64 s[12:13], s[12:13], s[10:11]
	s_nor_b64 s[12:13], s[2:3], s[12:13]
	s_waitcnt vmcnt(0)
	ds_write_b64 v45, v[38:39] offset:4096
	s_and_saveexec_b64 s[14:15], s[12:13]
	s_xor_b64 s[14:15], exec, s[14:15]
	s_cbranch_execz .LBB43_25
; %bb.24:                               ;   in Loop: Header=BB43_7 Depth=2
	v_mov_b32_e32 v16, s27
	v_add_co_u32_e64 v36, s[12:13], s26, v48
	v_addc_co_u32_e64 v37, s[12:13], v49, v16, s[12:13]
	global_load_dwordx2 v[36:37], v[36:37], off offset:128
	s_waitcnt vmcnt(0)
	ds_write_b64 v45, v[36:37] offset:4224
.LBB43_25:                              ;   in Loop: Header=BB43_7 Depth=2
	s_andn2_saveexec_b64 s[12:13], s[14:15]
	s_cbranch_execz .LBB43_31
; %bb.26:                               ;   in Loop: Header=BB43_7 Depth=2
	s_xor_b64 s[10:11], s[10:11], -1
	s_and_saveexec_b64 s[14:15], s[10:11]
	s_xor_b64 s[10:11], exec, s[14:15]
; %bb.27:                               ;   in Loop: Header=BB43_7 Depth=2
	v_mov_b32_e32 v21, v20
	ds_write_b64 v45, v[20:21] offset:4224
; %bb.28:                               ;   in Loop: Header=BB43_7 Depth=2
	s_andn2_saveexec_b64 s[10:11], s[10:11]
; %bb.29:                               ;   in Loop: Header=BB43_7 Depth=2
	v_mov_b32_e32 v21, v50
	ds_write_b64 v45, v[20:21] offset:4224
; %bb.30:                               ;   in Loop: Header=BB43_7 Depth=2
	s_or_b64 exec, exec, s[10:11]
.LBB43_31:                              ;   in Loop: Header=BB43_7 Depth=2
	s_or_b64 exec, exec, s[12:13]
	v_mov_b32_e32 v16, s29
	v_add_co_u32_e64 v38, s[10:11], s28, v0
	v_addc_co_u32_e64 v39, s[10:11], 0, v16, s[10:11]
	v_mov_b32_e32 v16, s27
	v_add_co_u32_e64 v36, s[10:11], s26, v24
	v_addc_co_u32_e64 v37, s[10:11], v25, v16, s[10:11]
	v_cmp_gt_i64_e64 s[10:11], s[42:43], v[38:39]
	v_mov_b32_e32 v40, 0
	v_mov_b32_e32 v41, 0
	s_and_b64 s[14:15], vcc, s[10:11]
	s_and_saveexec_b64 s[12:13], s[14:15]
	s_cbranch_execz .LBB43_33
; %bb.32:                               ;   in Loop: Header=BB43_7 Depth=2
	global_load_dwordx2 v[40:41], v[36:37], off offset:-128
.LBB43_33:                              ;   in Loop: Header=BB43_7 Depth=2
	s_or_b64 exec, exec, s[12:13]
	v_cmp_gt_i64_e64 s[12:13], s[44:45], v[38:39]
	s_waitcnt vmcnt(0)
	ds_write_b64 v47, v[40:41]
	s_and_b64 s[14:15], vcc, s[12:13]
	s_xor_b64 s[14:15], s[14:15], -1
	s_and_saveexec_b64 s[16:17], s[14:15]
	s_xor_b64 s[14:15], exec, s[16:17]
; %bb.34:                               ;   in Loop: Header=BB43_7 Depth=2
	v_mov_b32_e32 v21, v20
	ds_write_b64 v47, v[20:21] offset:128
                                        ; implicit-def: $vgpr36_vgpr37
; %bb.35:                               ;   in Loop: Header=BB43_7 Depth=2
	s_andn2_saveexec_b64 s[14:15], s[14:15]
	s_cbranch_execz .LBB43_37
; %bb.36:                               ;   in Loop: Header=BB43_7 Depth=2
	global_load_dwordx2 v[36:37], v[36:37], off
	s_waitcnt vmcnt(0)
	ds_write_b64 v47, v[36:37] offset:128
.LBB43_37:                              ;   in Loop: Header=BB43_7 Depth=2
	s_or_b64 exec, exec, s[14:15]
	v_mov_b32_e32 v16, s27
	v_add_co_u32_e64 v36, s[14:15], s26, v26
	v_addc_co_u32_e64 v37, s[14:15], v27, v16, s[14:15]
	v_mov_b32_e32 v38, 0
	v_mov_b32_e32 v39, 0
	s_and_b64 s[14:15], s[8:9], s[10:11]
	s_and_saveexec_b64 s[10:11], s[14:15]
	s_cbranch_execz .LBB43_39
; %bb.38:                               ;   in Loop: Header=BB43_7 Depth=2
	global_load_dwordx2 v[38:39], v[36:37], off
.LBB43_39:                              ;   in Loop: Header=BB43_7 Depth=2
	s_or_b64 exec, exec, s[10:11]
	s_and_b64 s[10:11], s[8:9], s[12:13]
	s_xor_b64 s[10:11], s[10:11], -1
	s_waitcnt vmcnt(0)
	ds_write_b64 v47, v[38:39] offset:4096
	s_and_saveexec_b64 s[12:13], s[10:11]
	s_xor_b64 s[10:11], exec, s[12:13]
; %bb.40:                               ;   in Loop: Header=BB43_7 Depth=2
	v_mov_b32_e32 v21, v20
	ds_write_b64 v47, v[20:21] offset:4224
                                        ; implicit-def: $vgpr36_vgpr37
; %bb.41:                               ;   in Loop: Header=BB43_7 Depth=2
	s_andn2_saveexec_b64 s[10:11], s[10:11]
	s_cbranch_execz .LBB43_6
; %bb.42:                               ;   in Loop: Header=BB43_7 Depth=2
	global_load_dwordx2 v[36:37], v[36:37], off offset:128
	s_waitcnt vmcnt(0)
	ds_write_b64 v47, v[36:37] offset:4224
	s_branch .LBB43_6
.LBB43_43:                              ;   in Loop: Header=BB43_4 Depth=1
	v_mul_lo_u32 v16, s41, v51
	v_mul_lo_u32 v17, s40, v52
	v_mad_u64_u32 v[23:24], s[8:9], s40, v51, 0
	v_cmp_gt_i32_e32 vcc, s30, v51
	v_add3_u32 v24, v24, v17, v16
	v_lshlrev_b64 v[23:24], 3, v[23:24]
	v_mov_b32_e32 v16, s46
	v_add_co_u32_e64 v21, s[8:9], s33, v23
	v_addc_co_u32_e64 v23, s[8:9], v16, v24, s[8:9]
	s_and_b64 s[8:9], s[4:5], vcc
	s_and_saveexec_b64 s[10:11], s[8:9]
	s_cbranch_execz .LBB43_45
; %bb.44:                               ;   in Loop: Header=BB43_4 Depth=1
	v_add_co_u32_e64 v16, s[8:9], v21, v10
	v_addc_co_u32_e64 v17, s[8:9], v23, v11, s[8:9]
	global_load_dwordx2 v[24:25], v[16:17], off
	s_waitcnt vmcnt(0)
	v_fma_f64 v[24:25], s[34:35], v[34:35], v[24:25]
	global_store_dwordx2 v[16:17], v[24:25], off
.LBB43_45:                              ;   in Loop: Header=BB43_4 Depth=1
	s_or_b64 exec, exec, s[10:11]
	s_and_b64 s[10:11], s[18:19], vcc
	s_and_saveexec_b64 s[8:9], s[10:11]
	s_cbranch_execz .LBB43_47
; %bb.46:                               ;   in Loop: Header=BB43_4 Depth=1
	v_add_co_u32_e32 v16, vcc, v21, v18
	v_addc_co_u32_e32 v17, vcc, v23, v19, vcc
	global_load_dwordx2 v[23:24], v[16:17], off
	s_waitcnt vmcnt(0)
	v_fma_f64 v[23:24], s[34:35], v[32:33], v[23:24]
	global_store_dwordx2 v[16:17], v[23:24], off
.LBB43_47:                              ;   in Loop: Header=BB43_4 Depth=1
	s_or_b64 exec, exec, s[8:9]
	v_add_u32_e32 v21, 16, v51
	v_ashrrev_i32_e32 v16, 31, v21
	v_mul_lo_u32 v23, s40, v16
	v_mul_lo_u32 v24, s41, v21
	v_mad_u64_u32 v[16:17], s[8:9], s40, v21, 0
	v_cmp_gt_i32_e32 vcc, s30, v21
	v_add3_u32 v17, v17, v23, v24
	v_lshlrev_b64 v[16:17], 3, v[16:17]
	v_mov_b32_e32 v23, s46
	v_add_co_u32_e64 v21, s[8:9], s33, v16
	v_addc_co_u32_e64 v23, s[8:9], v23, v17, s[8:9]
	s_and_b64 s[8:9], s[4:5], vcc
	s_and_saveexec_b64 s[10:11], s[8:9]
	s_cbranch_execz .LBB43_49
; %bb.48:                               ;   in Loop: Header=BB43_4 Depth=1
	v_add_co_u32_e64 v16, s[8:9], v21, v10
	v_addc_co_u32_e64 v17, s[8:9], v23, v11, s[8:9]
	global_load_dwordx2 v[24:25], v[16:17], off
	s_waitcnt vmcnt(0)
	v_fma_f64 v[24:25], s[34:35], v[30:31], v[24:25]
	global_store_dwordx2 v[16:17], v[24:25], off
.LBB43_49:                              ;   in Loop: Header=BB43_4 Depth=1
	s_or_b64 exec, exec, s[10:11]
	s_and_b64 s[10:11], s[18:19], vcc
	s_and_saveexec_b64 s[8:9], s[10:11]
	s_cbranch_execz .LBB43_3
; %bb.50:                               ;   in Loop: Header=BB43_4 Depth=1
	v_add_co_u32_e32 v16, vcc, v21, v18
	v_addc_co_u32_e32 v17, vcc, v23, v19, vcc
	global_load_dwordx2 v[23:24], v[16:17], off
	s_waitcnt vmcnt(0)
	v_fma_f64 v[23:24], s[34:35], v[28:29], v[23:24]
	global_store_dwordx2 v[16:17], v[23:24], off
	s_branch .LBB43_3
.LBB43_51:
	s_endpgm
	.section	.rodata,"a",@progbits
	.p2align	6, 0x0
	.amdhsa_kernel _ZL30rocblas_trmm_outofplace_kernelIdLi32ELi2ELb1ELb1ELb1ELb0EdKddEv17rocblas_diagonal_iiT6_lPT7_lllS4_lllPT8_llli
		.amdhsa_group_segment_fixed_size 16384
		.amdhsa_private_segment_fixed_size 12
		.amdhsa_kernarg_size 392
		.amdhsa_user_sgpr_count 6
		.amdhsa_user_sgpr_private_segment_buffer 1
		.amdhsa_user_sgpr_dispatch_ptr 0
		.amdhsa_user_sgpr_queue_ptr 0
		.amdhsa_user_sgpr_kernarg_segment_ptr 1
		.amdhsa_user_sgpr_dispatch_id 0
		.amdhsa_user_sgpr_flat_scratch_init 0
		.amdhsa_user_sgpr_private_segment_size 0
		.amdhsa_uses_dynamic_stack 0
		.amdhsa_system_sgpr_private_segment_wavefront_offset 1
		.amdhsa_system_sgpr_workgroup_id_x 1
		.amdhsa_system_sgpr_workgroup_id_y 1
		.amdhsa_system_sgpr_workgroup_id_z 1
		.amdhsa_system_sgpr_workgroup_info 0
		.amdhsa_system_vgpr_workitem_id 1
		.amdhsa_next_free_vgpr 63
		.amdhsa_next_free_sgpr 61
		.amdhsa_reserve_vcc 1
		.amdhsa_reserve_flat_scratch 0
		.amdhsa_float_round_mode_32 0
		.amdhsa_float_round_mode_16_64 0
		.amdhsa_float_denorm_mode_32 3
		.amdhsa_float_denorm_mode_16_64 3
		.amdhsa_dx10_clamp 1
		.amdhsa_ieee_mode 1
		.amdhsa_fp16_overflow 0
		.amdhsa_exception_fp_ieee_invalid_op 0
		.amdhsa_exception_fp_denorm_src 0
		.amdhsa_exception_fp_ieee_div_zero 0
		.amdhsa_exception_fp_ieee_overflow 0
		.amdhsa_exception_fp_ieee_underflow 0
		.amdhsa_exception_fp_ieee_inexact 0
		.amdhsa_exception_int_div_zero 0
	.end_amdhsa_kernel
	.section	.text._ZL30rocblas_trmm_outofplace_kernelIdLi32ELi2ELb1ELb1ELb1ELb0EdKddEv17rocblas_diagonal_iiT6_lPT7_lllS4_lllPT8_llli,"axG",@progbits,_ZL30rocblas_trmm_outofplace_kernelIdLi32ELi2ELb1ELb1ELb1ELb0EdKddEv17rocblas_diagonal_iiT6_lPT7_lllS4_lllPT8_llli,comdat
.Lfunc_end43:
	.size	_ZL30rocblas_trmm_outofplace_kernelIdLi32ELi2ELb1ELb1ELb1ELb0EdKddEv17rocblas_diagonal_iiT6_lPT7_lllS4_lllPT8_llli, .Lfunc_end43-_ZL30rocblas_trmm_outofplace_kernelIdLi32ELi2ELb1ELb1ELb1ELb0EdKddEv17rocblas_diagonal_iiT6_lPT7_lllS4_lllPT8_llli
                                        ; -- End function
	.set _ZL30rocblas_trmm_outofplace_kernelIdLi32ELi2ELb1ELb1ELb1ELb0EdKddEv17rocblas_diagonal_iiT6_lPT7_lllS4_lllPT8_llli.num_vgpr, 63
	.set _ZL30rocblas_trmm_outofplace_kernelIdLi32ELi2ELb1ELb1ELb1ELb0EdKddEv17rocblas_diagonal_iiT6_lPT7_lllS4_lllPT8_llli.num_agpr, 0
	.set _ZL30rocblas_trmm_outofplace_kernelIdLi32ELi2ELb1ELb1ELb1ELb0EdKddEv17rocblas_diagonal_iiT6_lPT7_lllS4_lllPT8_llli.numbered_sgpr, 56
	.set _ZL30rocblas_trmm_outofplace_kernelIdLi32ELi2ELb1ELb1ELb1ELb0EdKddEv17rocblas_diagonal_iiT6_lPT7_lllS4_lllPT8_llli.num_named_barrier, 0
	.set _ZL30rocblas_trmm_outofplace_kernelIdLi32ELi2ELb1ELb1ELb1ELb0EdKddEv17rocblas_diagonal_iiT6_lPT7_lllS4_lllPT8_llli.private_seg_size, 12
	.set _ZL30rocblas_trmm_outofplace_kernelIdLi32ELi2ELb1ELb1ELb1ELb0EdKddEv17rocblas_diagonal_iiT6_lPT7_lllS4_lllPT8_llli.uses_vcc, 1
	.set _ZL30rocblas_trmm_outofplace_kernelIdLi32ELi2ELb1ELb1ELb1ELb0EdKddEv17rocblas_diagonal_iiT6_lPT7_lllS4_lllPT8_llli.uses_flat_scratch, 0
	.set _ZL30rocblas_trmm_outofplace_kernelIdLi32ELi2ELb1ELb1ELb1ELb0EdKddEv17rocblas_diagonal_iiT6_lPT7_lllS4_lllPT8_llli.has_dyn_sized_stack, 0
	.set _ZL30rocblas_trmm_outofplace_kernelIdLi32ELi2ELb1ELb1ELb1ELb0EdKddEv17rocblas_diagonal_iiT6_lPT7_lllS4_lllPT8_llli.has_recursion, 0
	.set _ZL30rocblas_trmm_outofplace_kernelIdLi32ELi2ELb1ELb1ELb1ELb0EdKddEv17rocblas_diagonal_iiT6_lPT7_lllS4_lllPT8_llli.has_indirect_call, 0
	.section	.AMDGPU.csdata,"",@progbits
; Kernel info:
; codeLenInByte = 3828
; TotalNumSgprs: 60
; NumVgprs: 63
; ScratchSize: 12
; MemoryBound: 0
; FloatMode: 240
; IeeeMode: 1
; LDSByteSize: 16384 bytes/workgroup (compile time only)
; SGPRBlocks: 8
; VGPRBlocks: 15
; NumSGPRsForWavesPerEU: 65
; NumVGPRsForWavesPerEU: 63
; Occupancy: 4
; WaveLimiterHint : 0
; COMPUTE_PGM_RSRC2:SCRATCH_EN: 1
; COMPUTE_PGM_RSRC2:USER_SGPR: 6
; COMPUTE_PGM_RSRC2:TRAP_HANDLER: 0
; COMPUTE_PGM_RSRC2:TGID_X_EN: 1
; COMPUTE_PGM_RSRC2:TGID_Y_EN: 1
; COMPUTE_PGM_RSRC2:TGID_Z_EN: 1
; COMPUTE_PGM_RSRC2:TIDIG_COMP_CNT: 1
	.section	.text._ZL30rocblas_trmm_outofplace_kernelIdLi32ELi2ELb1ELb0ELb1ELb1EPKdS0_dEv17rocblas_diagonal_iiT6_lPT7_lllS5_lllPT8_llli,"axG",@progbits,_ZL30rocblas_trmm_outofplace_kernelIdLi32ELi2ELb1ELb0ELb1ELb1EPKdS0_dEv17rocblas_diagonal_iiT6_lPT7_lllS5_lllPT8_llli,comdat
	.globl	_ZL30rocblas_trmm_outofplace_kernelIdLi32ELi2ELb1ELb0ELb1ELb1EPKdS0_dEv17rocblas_diagonal_iiT6_lPT7_lllS5_lllPT8_llli ; -- Begin function _ZL30rocblas_trmm_outofplace_kernelIdLi32ELi2ELb1ELb0ELb1ELb1EPKdS0_dEv17rocblas_diagonal_iiT6_lPT7_lllS5_lllPT8_llli
	.p2align	8
	.type	_ZL30rocblas_trmm_outofplace_kernelIdLi32ELi2ELb1ELb0ELb1ELb1EPKdS0_dEv17rocblas_diagonal_iiT6_lPT7_lllS5_lllPT8_llli,@function
_ZL30rocblas_trmm_outofplace_kernelIdLi32ELi2ELb1ELb0ELb1ELb1EPKdS0_dEv17rocblas_diagonal_iiT6_lPT7_lllS5_lllPT8_llli: ; @_ZL30rocblas_trmm_outofplace_kernelIdLi32ELi2ELb1ELb0ELb1ELb1EPKdS0_dEv17rocblas_diagonal_iiT6_lPT7_lllS5_lllPT8_llli
; %bb.0:
	s_load_dwordx16 s[12:27], s[4:5], 0x10
	s_mov_b64 s[58:59], s[2:3]
	s_mov_b64 s[56:57], s[0:1]
	s_add_u32 s56, s56, s9
	s_addc_u32 s57, s57, 0
	s_waitcnt lgkmcnt(0)
	s_mul_i32 s0, s15, s8
	s_mul_hi_u32 s1, s14, s8
	s_add_i32 s1, s1, s0
	s_mul_i32 s0, s14, s8
	s_lshl_b64 s[0:1], s[0:1], 3
	s_add_u32 s0, s12, s0
	s_addc_u32 s1, s13, s1
	s_load_dwordx2 s[34:35], s[0:1], 0x0
	s_waitcnt lgkmcnt(0)
	v_cmp_eq_f64_e64 s[0:1], s[34:35], 0
	s_and_b64 vcc, exec, s[0:1]
	s_cbranch_vccnz .LBB44_52
; %bb.1:
	s_load_dwordx4 s[28:31], s[4:5], 0x0
	s_waitcnt lgkmcnt(0)
	s_add_i32 s0, s30, -1
	s_ashr_i32 s1, s0, 31
	s_lshr_b32 s1, s1, 27
	s_add_i32 s0, s0, s1
	s_ashr_i32 s31, s0, 5
	s_cmp_gt_i32 s7, s31
	s_cbranch_scc1 .LBB44_52
; %bb.2:
	s_mul_i32 s0, s23, s8
	s_mul_hi_u32 s1, s22, s8
	s_load_dwordx8 s[36:43], s[4:5], 0x50
	s_load_dwordx4 s[44:47], s[4:5], 0x70
	s_add_i32 s1, s1, s0
	s_mul_i32 s0, s22, s8
	s_lshl_b64 s[10:11], s[0:1], 3
	s_add_u32 s0, s16, s10
	s_addc_u32 s1, s17, s11
	s_lshl_b64 s[12:13], s[18:19], 3
	s_add_u32 s2, s0, s12
	s_addc_u32 s3, s1, s13
	s_waitcnt lgkmcnt(0)
	s_mul_i32 s0, s47, s8
	s_mul_hi_u32 s1, s46, s8
	s_add_i32 s1, s1, s0
	s_mul_i32 s0, s46, s8
	s_lshl_b64 s[0:1], s[0:1], 3
	s_load_dword s33, s[4:5], 0x8c
	s_add_u32 s4, s40, s0
	s_addc_u32 s5, s41, s1
	s_lshl_b64 s[0:1], s[42:43], 3
	s_add_u32 s48, s4, s0
	s_addc_u32 s49, s5, s1
	s_lshl_b32 s4, s6, 5
	v_add_u32_e32 v2, s4, v0
	v_ashrrev_i32_e32 v3, 31, v2
	v_mul_lo_u32 v8, s20, v3
	v_mul_lo_u32 v9, s21, v2
	v_mad_u64_u32 v[6:7], s[0:1], s20, v2, 0
	s_sub_i32 s6, s29, s4
	v_add_u32_e32 v4, s4, v1
	v_add3_u32 v7, v7, v8, v9
	v_lshlrev_b64 v[6:7], 3, v[6:7]
	s_cmp_gt_i32 s6, 0
	v_ashrrev_i32_e32 v5, 31, v4
	s_cselect_b64 s[22:23], -1, 0
	s_cmpk_eq_i32 s28, 0x84
	v_mov_b32_e32 v8, s3
	v_add_co_u32_e32 v6, vcc, s2, v6
	v_lshlrev_b64 v[20:21], 3, v[4:5]
	s_cselect_b64 s[40:41], -1, 0
	s_ashr_i32 s43, s29, 31
	s_ashr_i32 s50, s30, 31
	v_addc_co_u32_e32 v7, vcc, v8, v7, vcc
	s_add_u32 s46, s29, -16
	s_mul_i32 s9, s39, s8
	s_mul_hi_u32 s14, s38, s8
	v_add_co_u32_e32 v44, vcc, v6, v20
	s_addc_u32 s47, s43, -1
	s_add_i32 s9, s14, s9
	s_mul_i32 s8, s38, s8
	v_addc_co_u32_e32 v45, vcc, v7, v21, vcc
	v_lshlrev_b32_e32 v6, 8, v1
	v_lshlrev_b32_e32 v0, 3, v0
	s_lshl_b64 s[8:9], s[8:9], 3
	s_lshl_b64 s[14:15], s[26:27], 3
	v_add_u32_e32 v46, v0, v6
	v_add_u32_e32 v47, 0x2000, v6
	v_add_co_u32_e32 v6, vcc, 16, v2
	s_add_u32 s8, s8, s14
	v_addc_co_u32_e32 v7, vcc, 0, v3, vcc
	s_addc_u32 s9, s9, s15
	v_sub_co_u32_e32 v10, vcc, v2, v4
	v_lshlrev_b64 v[12:13], 3, v[2:3]
	s_add_u32 s8, s24, s8
	v_subb_co_u32_e32 v11, vcc, v3, v5, vcc
	s_addc_u32 s9, s25, s9
	s_lshl_b64 s[24:25], s[36:37], 3
	s_waitcnt lgkmcnt(0)
	s_lshl_b32 s38, s33, 5
	v_mov_b32_e32 v15, s9
	v_add_co_u32_e32 v14, vcc, s8, v12
	s_add_u32 s8, s12, s10
	v_addc_co_u32_e32 v15, vcc, v15, v13, vcc
	s_movk_i32 s14, 0x80
	s_addc_u32 s9, s13, s11
	v_add_co_u32_e32 v18, vcc, s14, v12
	v_mov_b32_e32 v17, s9
	v_addc_co_u32_e32 v19, vcc, 0, v13, vcc
	v_mov_b32_e32 v16, s8
	v_mad_u64_u32 v[22:23], s[8:9], s20, v18, v[16:17]
	v_mul_lo_u32 v19, s20, v19
	v_mul_lo_u32 v18, s21, v18
	v_add_co_u32_e32 v16, vcc, 16, v10
	v_addc_co_u32_e32 v17, vcc, 0, v11, vcc
	v_add3_u32 v23, v18, v23, v19
	v_add_co_u32_e32 v18, vcc, -16, v10
	v_addc_co_u32_e32 v19, vcc, -1, v11, vcc
	v_add_co_u32_e32 v20, vcc, v22, v20
	v_addc_co_u32_e32 v21, vcc, v23, v21, vcc
	v_mov_b32_e32 v22, s17
	v_add_co_u32_e32 v48, vcc, s16, v20
	s_mov_b32 s42, s29
	v_addc_co_u32_e32 v49, vcc, v22, v21, vcc
	v_cmp_le_i64_e64 s[2:3], s[42:43], v[6:7]
	v_add_u32_e32 v8, 16, v2
	v_add_co_u32_e32 v20, vcc, s14, v14
	v_cmp_le_i32_e64 s[0:1], s29, v2
	v_cmp_gt_i32_e64 s[4:5], s29, v2
	v_cmp_gt_i32_e64 s[18:19], s29, v8
	v_ashrrev_i32_e32 v9, 31, v8
	v_addc_co_u32_e32 v21, vcc, 0, v15, vcc
	v_add_u32_e32 v50, v47, v0
	v_mov_b32_e32 v51, 0x3ff00000
	v_lshl_add_u32 v22, s7, 5, v1
	v_mov_b32_e32 v24, 0
	buffer_store_dword v20, off, s[56:59], 0 ; 4-byte Folded Spill
	s_nop 0
	buffer_store_dword v21, off, s[56:59], 0 offset:4 ; 4-byte Folded Spill
	s_branch .LBB44_4
.LBB44_3:                               ;   in Loop: Header=BB44_4 Depth=1
	s_or_b64 exec, exec, s[8:9]
	s_add_i32 s7, s33, s7
	s_cmp_le_i32 s7, s31
	v_add_u32_e32 v22, s38, v22
	s_cbranch_scc0 .LBB44_52
.LBB44_4:                               ; =>This Loop Header: Depth=1
                                        ;     Child Loop BB44_7 Depth 2
	v_lshl_add_u32 v52, s7, 5, v1
	s_andn2_b64 vcc, exec, s[22:23]
	v_ashrrev_i32_e32 v53, 31, v52
	s_cbranch_vccnz .LBB44_43
; %bb.5:                                ;   in Loop: Header=BB44_4 Depth=1
	buffer_load_dword v20, off, s[56:59], 0 ; 4-byte Folded Reload
	buffer_load_dword v21, off, s[56:59], 0 offset:4 ; 4-byte Folded Reload
	v_ashrrev_i32_e32 v23, 31, v22
	v_lshlrev_b64 v[28:29], 3, v[22:23]
	v_mov_b32_e32 v32, 0
	v_mov_b32_e32 v34, 0
	;; [unrolled: 1-line block ×3, first 2 shown]
	s_mov_b64 s[26:27], 0
	v_mov_b32_e32 v33, 0
	v_mov_b32_e32 v35, 0
	;; [unrolled: 1-line block ×3, first 2 shown]
	s_mov_b64 s[28:29], 0
	s_waitcnt vmcnt(0)
	v_mad_u64_u32 v[26:27], s[8:9], s24, v22, v[20:21]
	v_mul_lo_u32 v21, s24, v23
	v_add_co_u32_e32 v23, vcc, 0x80, v28
	v_addc_co_u32_e32 v25, vcc, 0, v29, vcc
	v_mul_lo_u32 v20, s25, v22
	v_mul_lo_u32 v25, s36, v25
	;; [unrolled: 1-line block ×3, first 2 shown]
	v_mad_u64_u32 v[28:29], s[8:9], s36, v23, v[14:15]
	v_add3_u32 v27, v20, v27, v21
	v_mov_b32_e32 v20, s50
	v_add3_u32 v29, v30, v29, v25
	v_sub_co_u32_e32 v30, vcc, s30, v52
	v_subb_co_u32_e32 v31, vcc, v20, v53, vcc
	v_cmp_lt_i64_e32 vcc, 0, v[30:31]
	v_cmp_lt_i64_e64 s[8:9], 16, v[30:31]
	v_mov_b32_e32 v30, 0
	v_mov_b32_e32 v31, 0
	s_branch .LBB44_7
.LBB44_6:                               ;   in Loop: Header=BB44_7 Depth=2
	s_or_b64 exec, exec, s[10:11]
	s_waitcnt lgkmcnt(0)
	s_barrier
	ds_read_b128 v[38:41], v47
	ds_read2_b64 v[54:57], v0 offset1:16
	ds_read_b128 v[58:61], v47 offset:4096
	v_add_u32_e32 v23, 0x800, v0
	s_add_u32 s28, s28, 32
	s_addc_u32 s29, s29, 0
	s_waitcnt lgkmcnt(1)
	v_fma_f64 v[42:43], v[54:55], v[38:39], v[36:37]
	v_fma_f64 v[62:63], v[56:57], v[38:39], v[34:35]
	s_waitcnt lgkmcnt(0)
	v_fma_f64 v[20:21], v[54:55], v[58:59], v[32:33]
	v_fma_f64 v[30:31], v[56:57], v[58:59], v[30:31]
	ds_read2_b64 v[32:35], v0 offset0:32 offset1:48
	ds_read_b128 v[36:39], v47 offset:16
	ds_read2_b64 v[54:57], v0 offset0:64 offset1:80
	s_add_u32 s26, s26, 0x100
	s_addc_u32 s27, s27, 0
	s_cmp_ge_i32 s28, s6
	s_waitcnt lgkmcnt(2)
	v_fma_f64 v[58:59], v[32:33], v[40:41], v[42:43]
	v_fma_f64 v[62:63], v[34:35], v[40:41], v[62:63]
	;; [unrolled: 1-line block ×4, first 2 shown]
	ds_read_b128 v[30:33], v47 offset:4112
	ds_read2_b64 v[40:43], v0 offset0:96 offset1:112
	s_waitcnt lgkmcnt(2)
	v_fma_f64 v[58:59], v[54:55], v[36:37], v[58:59]
	v_fma_f64 v[60:61], v[56:57], v[36:37], v[62:63]
	s_waitcnt lgkmcnt(1)
	v_fma_f64 v[20:21], v[54:55], v[30:31], v[20:21]
	v_fma_f64 v[30:31], v[56:57], v[30:31], v[34:35]
	ds_read_b128 v[34:37], v47 offset:32
	ds_read2_b64 v[54:57], v0 offset0:128 offset1:144
	s_waitcnt lgkmcnt(2)
	v_fma_f64 v[58:59], v[40:41], v[38:39], v[58:59]
	v_fma_f64 v[60:61], v[42:43], v[38:39], v[60:61]
	;; [unrolled: 1-line block ×4, first 2 shown]
	ds_read_b128 v[30:33], v47 offset:4128
	ds_read2_b64 v[38:41], v0 offset0:160 offset1:176
	s_waitcnt lgkmcnt(2)
	v_fma_f64 v[62:63], v[54:55], v[34:35], v[58:59]
	v_fma_f64 v[34:35], v[56:57], v[34:35], v[60:61]
	s_waitcnt lgkmcnt(1)
	v_fma_f64 v[20:21], v[54:55], v[30:31], v[20:21]
	v_fma_f64 v[30:31], v[56:57], v[30:31], v[42:43]
	ds_read_b128 v[54:57], v47 offset:48
	ds_read2_b64 v[58:61], v0 offset0:192 offset1:208
	s_waitcnt lgkmcnt(2)
	v_fma_f64 v[42:43], v[38:39], v[36:37], v[62:63]
	v_fma_f64 v[62:63], v[40:41], v[36:37], v[34:35]
	;; [unrolled: 1-line block ×4, first 2 shown]
	ds_read_b128 v[30:33], v47 offset:4144
	ds_read2_b64 v[34:37], v0 offset0:224 offset1:240
	s_waitcnt lgkmcnt(2)
	v_fma_f64 v[42:43], v[58:59], v[54:55], v[42:43]
	v_fma_f64 v[54:55], v[60:61], v[54:55], v[62:63]
	s_waitcnt lgkmcnt(1)
	v_fma_f64 v[20:21], v[58:59], v[30:31], v[20:21]
	v_fma_f64 v[30:31], v[60:61], v[30:31], v[38:39]
	ds_read_b128 v[38:41], v47 offset:64
	ds_read2_b64 v[58:61], v23 offset1:16
	s_waitcnt lgkmcnt(2)
	v_fma_f64 v[42:43], v[34:35], v[56:57], v[42:43]
	v_fma_f64 v[54:55], v[36:37], v[56:57], v[54:55]
	v_fma_f64 v[20:21], v[34:35], v[32:33], v[20:21]
	v_fma_f64 v[56:57], v[36:37], v[32:33], v[30:31]
	ds_read_b128 v[30:33], v47 offset:4160
	ds_read2_b64 v[34:37], v23 offset0:32 offset1:48
	s_waitcnt lgkmcnt(2)
	v_fma_f64 v[42:43], v[58:59], v[38:39], v[42:43]
	v_fma_f64 v[38:39], v[60:61], v[38:39], v[54:55]
	s_waitcnt lgkmcnt(1)
	v_fma_f64 v[20:21], v[58:59], v[30:31], v[20:21]
	v_fma_f64 v[30:31], v[60:61], v[30:31], v[56:57]
	ds_read_b128 v[54:57], v47 offset:80
	ds_read2_b64 v[58:61], v23 offset0:64 offset1:80
	s_waitcnt lgkmcnt(2)
	v_fma_f64 v[42:43], v[34:35], v[40:41], v[42:43]
	v_fma_f64 v[38:39], v[36:37], v[40:41], v[38:39]
	v_fma_f64 v[20:21], v[34:35], v[32:33], v[20:21]
	v_fma_f64 v[40:41], v[36:37], v[32:33], v[30:31]
	ds_read_b128 v[30:33], v47 offset:4176
	ds_read2_b64 v[34:37], v23 offset0:96 offset1:112
	s_waitcnt lgkmcnt(2)
	v_fma_f64 v[42:43], v[58:59], v[54:55], v[42:43]
	v_fma_f64 v[54:55], v[60:61], v[54:55], v[38:39]
	s_waitcnt lgkmcnt(1)
	v_fma_f64 v[20:21], v[58:59], v[30:31], v[20:21]
	v_fma_f64 v[30:31], v[60:61], v[30:31], v[40:41]
	ds_read_b128 v[38:41], v47 offset:96
	ds_read2_b64 v[58:61], v23 offset0:128 offset1:144
	;; [unrolled: 15-line block ×3, first 2 shown]
	s_waitcnt lgkmcnt(2)
	v_fma_f64 v[42:43], v[34:35], v[40:41], v[42:43]
	v_fma_f64 v[38:39], v[36:37], v[40:41], v[38:39]
	v_fma_f64 v[20:21], v[34:35], v[32:33], v[20:21]
	v_fma_f64 v[40:41], v[36:37], v[32:33], v[30:31]
	ds_read_b128 v[30:33], v47 offset:4208
	ds_read2_b64 v[34:37], v23 offset0:224 offset1:240
	v_add_u32_e32 v23, 0x1000, v0
	s_waitcnt lgkmcnt(2)
	v_fma_f64 v[42:43], v[58:59], v[54:55], v[42:43]
	v_fma_f64 v[54:55], v[60:61], v[54:55], v[38:39]
	s_waitcnt lgkmcnt(1)
	v_fma_f64 v[20:21], v[58:59], v[30:31], v[20:21]
	v_fma_f64 v[30:31], v[60:61], v[30:31], v[40:41]
	ds_read_b128 v[38:41], v47 offset:128
	ds_read2_b64 v[58:61], v23 offset1:16
	s_waitcnt lgkmcnt(2)
	v_fma_f64 v[42:43], v[34:35], v[56:57], v[42:43]
	v_fma_f64 v[54:55], v[36:37], v[56:57], v[54:55]
	v_fma_f64 v[20:21], v[34:35], v[32:33], v[20:21]
	v_fma_f64 v[56:57], v[36:37], v[32:33], v[30:31]
	ds_read_b128 v[30:33], v47 offset:4224
	ds_read2_b64 v[34:37], v23 offset0:32 offset1:48
	s_waitcnt lgkmcnt(2)
	v_fma_f64 v[42:43], v[58:59], v[38:39], v[42:43]
	v_fma_f64 v[38:39], v[60:61], v[38:39], v[54:55]
	s_waitcnt lgkmcnt(1)
	v_fma_f64 v[20:21], v[58:59], v[30:31], v[20:21]
	v_fma_f64 v[30:31], v[60:61], v[30:31], v[56:57]
	ds_read_b128 v[54:57], v47 offset:144
	ds_read2_b64 v[58:61], v23 offset0:64 offset1:80
	s_waitcnt lgkmcnt(2)
	v_fma_f64 v[42:43], v[34:35], v[40:41], v[42:43]
	v_fma_f64 v[38:39], v[36:37], v[40:41], v[38:39]
	v_fma_f64 v[20:21], v[34:35], v[32:33], v[20:21]
	v_fma_f64 v[40:41], v[36:37], v[32:33], v[30:31]
	ds_read_b128 v[30:33], v47 offset:4240
	ds_read2_b64 v[34:37], v23 offset0:96 offset1:112
	s_waitcnt lgkmcnt(2)
	v_fma_f64 v[42:43], v[58:59], v[54:55], v[42:43]
	v_fma_f64 v[54:55], v[60:61], v[54:55], v[38:39]
	s_waitcnt lgkmcnt(1)
	v_fma_f64 v[20:21], v[58:59], v[30:31], v[20:21]
	v_fma_f64 v[30:31], v[60:61], v[30:31], v[40:41]
	ds_read_b128 v[38:41], v47 offset:160
	ds_read2_b64 v[58:61], v23 offset0:128 offset1:144
	;; [unrolled: 15-line block ×3, first 2 shown]
	s_waitcnt lgkmcnt(2)
	v_fma_f64 v[42:43], v[34:35], v[40:41], v[42:43]
	v_fma_f64 v[38:39], v[36:37], v[40:41], v[38:39]
	;; [unrolled: 1-line block ×4, first 2 shown]
	ds_read_b128 v[30:33], v47 offset:4272
	ds_read2_b64 v[34:37], v23 offset0:224 offset1:240
	v_add_u32_e32 v23, 0x1800, v0
	s_waitcnt lgkmcnt(2)
	v_fma_f64 v[42:43], v[58:59], v[54:55], v[42:43]
	v_fma_f64 v[54:55], v[60:61], v[54:55], v[38:39]
	s_waitcnt lgkmcnt(1)
	v_fma_f64 v[20:21], v[58:59], v[30:31], v[20:21]
	v_fma_f64 v[30:31], v[60:61], v[30:31], v[40:41]
	ds_read_b128 v[38:41], v47 offset:192
	ds_read2_b64 v[58:61], v23 offset1:16
	s_waitcnt lgkmcnt(2)
	v_fma_f64 v[42:43], v[34:35], v[56:57], v[42:43]
	v_fma_f64 v[54:55], v[36:37], v[56:57], v[54:55]
	v_fma_f64 v[20:21], v[34:35], v[32:33], v[20:21]
	v_fma_f64 v[56:57], v[36:37], v[32:33], v[30:31]
	ds_read_b128 v[30:33], v47 offset:4288
	ds_read2_b64 v[34:37], v23 offset0:32 offset1:48
	s_waitcnt lgkmcnt(2)
	v_fma_f64 v[42:43], v[58:59], v[38:39], v[42:43]
	v_fma_f64 v[38:39], v[60:61], v[38:39], v[54:55]
	s_waitcnt lgkmcnt(1)
	v_fma_f64 v[20:21], v[58:59], v[30:31], v[20:21]
	v_fma_f64 v[30:31], v[60:61], v[30:31], v[56:57]
	ds_read_b128 v[54:57], v47 offset:208
	ds_read2_b64 v[58:61], v23 offset0:64 offset1:80
	s_waitcnt lgkmcnt(2)
	v_fma_f64 v[42:43], v[34:35], v[40:41], v[42:43]
	v_fma_f64 v[38:39], v[36:37], v[40:41], v[38:39]
	v_fma_f64 v[20:21], v[34:35], v[32:33], v[20:21]
	v_fma_f64 v[40:41], v[36:37], v[32:33], v[30:31]
	ds_read_b128 v[30:33], v47 offset:4304
	ds_read2_b64 v[34:37], v23 offset0:96 offset1:112
	s_waitcnt lgkmcnt(2)
	v_fma_f64 v[42:43], v[58:59], v[54:55], v[42:43]
	v_fma_f64 v[54:55], v[60:61], v[54:55], v[38:39]
	s_waitcnt lgkmcnt(1)
	v_fma_f64 v[20:21], v[58:59], v[30:31], v[20:21]
	v_fma_f64 v[30:31], v[60:61], v[30:31], v[40:41]
	ds_read_b128 v[38:41], v47 offset:224
	ds_read2_b64 v[58:61], v23 offset0:128 offset1:144
	;; [unrolled: 15-line block ×3, first 2 shown]
	s_waitcnt lgkmcnt(2)
	v_fma_f64 v[42:43], v[34:35], v[40:41], v[42:43]
	v_fma_f64 v[40:41], v[36:37], v[40:41], v[38:39]
	;; [unrolled: 1-line block ×4, first 2 shown]
	ds_read_b128 v[36:39], v47 offset:4336
	s_waitcnt lgkmcnt(1)
	v_fma_f64 v[32:33], v[58:59], v[54:55], v[42:43]
	v_fma_f64 v[34:35], v[60:61], v[54:55], v[40:41]
	s_waitcnt lgkmcnt(0)
	v_fma_f64 v[20:21], v[58:59], v[36:37], v[20:21]
	v_fma_f64 v[30:31], v[60:61], v[36:37], v[30:31]
	ds_read2_b64 v[40:43], v23 offset0:224 offset1:240
	s_waitcnt lgkmcnt(0)
	s_barrier
	v_fma_f64 v[36:37], v[40:41], v[56:57], v[32:33]
	v_fma_f64 v[34:35], v[42:43], v[56:57], v[34:35]
	;; [unrolled: 1-line block ×4, first 2 shown]
	s_cbranch_scc1 .LBB44_44
.LBB44_7:                               ;   Parent Loop BB44_4 Depth=1
                                        ; =>  This Inner Loop Header: Depth=2
	v_mov_b32_e32 v20, s29
	v_add_co_u32_e64 v40, s[10:11], s28, v4
	v_addc_co_u32_e64 v41, s[10:11], v5, v20, s[10:11]
	v_mov_b32_e32 v20, s27
	v_add_co_u32_e64 v38, s[10:11], s26, v44
	v_addc_co_u32_e64 v39, s[10:11], v45, v20, s[10:11]
	v_cmp_le_i64_e64 s[14:15], s[42:43], v[40:41]
	v_cmp_eq_u64_e64 s[10:11], s[28:29], v[10:11]
	v_cmp_lt_i64_e64 s[12:13], v[40:41], v[2:3]
	s_and_b64 s[10:11], s[40:41], s[10:11]
	s_or_b64 s[16:17], s[14:15], s[12:13]
	s_or_b64 s[16:17], s[16:17], s[10:11]
	s_nor_b64 s[16:17], s[0:1], s[16:17]
                                        ; implicit-def: $vgpr42_vgpr43
	s_and_saveexec_b64 s[20:21], s[16:17]
	s_xor_b64 s[16:17], exec, s[20:21]
	s_cbranch_execz .LBB44_9
; %bb.8:                                ;   in Loop: Header=BB44_7 Depth=2
	global_load_dwordx2 v[42:43], v[38:39], off
.LBB44_9:                               ;   in Loop: Header=BB44_7 Depth=2
	s_andn2_saveexec_b64 s[16:17], s[16:17]
	s_cbranch_execz .LBB44_11
; %bb.10:                               ;   in Loop: Header=BB44_7 Depth=2
	v_cndmask_b32_e64 v25, 0, v51, s[10:11]
	s_waitcnt vmcnt(0)
	v_mov_b32_e32 v43, v25
	v_mov_b32_e32 v42, v24
.LBB44_11:                              ;   in Loop: Header=BB44_7 Depth=2
	s_or_b64 exec, exec, s[16:17]
	v_cmp_eq_u64_e64 s[16:17], s[28:29], v[16:17]
	v_cmp_gt_i64_e64 s[20:21], v[6:7], v[40:41]
	s_and_b64 s[16:17], s[40:41], s[16:17]
	s_or_b64 s[14:15], s[14:15], s[20:21]
	s_or_b64 s[14:15], s[14:15], s[16:17]
	s_nor_b64 s[14:15], s[2:3], s[14:15]
	s_waitcnt vmcnt(0)
	ds_write_b64 v46, v[42:43]
	s_and_saveexec_b64 s[20:21], s[14:15]
	s_xor_b64 s[20:21], exec, s[20:21]
	s_cbranch_execz .LBB44_13
; %bb.12:                               ;   in Loop: Header=BB44_7 Depth=2
	v_mov_b32_e32 v20, s27
	v_add_co_u32_e64 v42, s[14:15], s26, v48
	v_addc_co_u32_e64 v43, s[14:15], v49, v20, s[14:15]
	global_load_dwordx2 v[42:43], v[42:43], off
	s_waitcnt vmcnt(0)
	ds_write_b64 v46, v[42:43] offset:128
.LBB44_13:                              ;   in Loop: Header=BB44_7 Depth=2
	s_andn2_saveexec_b64 s[14:15], s[20:21]
	s_cbranch_execz .LBB44_19
; %bb.14:                               ;   in Loop: Header=BB44_7 Depth=2
	s_xor_b64 s[16:17], s[16:17], -1
	s_and_saveexec_b64 s[20:21], s[16:17]
	s_xor_b64 s[16:17], exec, s[20:21]
; %bb.15:                               ;   in Loop: Header=BB44_7 Depth=2
	v_mov_b32_e32 v25, v24
	ds_write_b64 v46, v[24:25] offset:128
; %bb.16:                               ;   in Loop: Header=BB44_7 Depth=2
	s_andn2_saveexec_b64 s[16:17], s[16:17]
; %bb.17:                               ;   in Loop: Header=BB44_7 Depth=2
	v_mov_b32_e32 v25, v51
	ds_write_b64 v46, v[24:25] offset:128
; %bb.18:                               ;   in Loop: Header=BB44_7 Depth=2
	s_or_b64 exec, exec, s[16:17]
.LBB44_19:                              ;   in Loop: Header=BB44_7 Depth=2
	s_or_b64 exec, exec, s[14:15]
	v_add_co_u32_e64 v40, s[14:15], 16, v40
	v_addc_co_u32_e64 v41, s[14:15], 0, v41, s[14:15]
	v_cmp_le_i64_e64 s[14:15], s[42:43], v[40:41]
	v_cmp_eq_u64_e64 s[16:17], s[28:29], v[18:19]
	v_cmp_lt_i64_e64 s[20:21], v[40:41], v[2:3]
	s_and_b64 s[16:17], s[40:41], s[16:17]
	s_or_b64 s[20:21], s[14:15], s[20:21]
	s_or_b64 s[20:21], s[20:21], s[16:17]
	s_nor_b64 s[20:21], s[0:1], s[20:21]
                                        ; implicit-def: $vgpr40_vgpr41
	s_and_saveexec_b64 s[52:53], s[20:21]
	s_xor_b64 s[20:21], exec, s[52:53]
	s_cbranch_execz .LBB44_21
; %bb.20:                               ;   in Loop: Header=BB44_7 Depth=2
	global_load_dwordx2 v[40:41], v[38:39], off offset:128
.LBB44_21:                              ;   in Loop: Header=BB44_7 Depth=2
	s_andn2_saveexec_b64 s[20:21], s[20:21]
	s_cbranch_execz .LBB44_23
; %bb.22:                               ;   in Loop: Header=BB44_7 Depth=2
	v_cndmask_b32_e64 v25, 0, v51, s[16:17]
	s_waitcnt vmcnt(0)
	v_mov_b32_e32 v41, v25
	v_mov_b32_e32 v40, v24
.LBB44_23:                              ;   in Loop: Header=BB44_7 Depth=2
	s_or_b64 exec, exec, s[20:21]
	s_or_b64 s[12:13], s[14:15], s[12:13]
	s_or_b64 s[12:13], s[12:13], s[10:11]
	s_nor_b64 s[12:13], s[2:3], s[12:13]
	s_waitcnt vmcnt(0)
	ds_write_b64 v46, v[40:41] offset:4096
	s_and_saveexec_b64 s[14:15], s[12:13]
	s_xor_b64 s[14:15], exec, s[14:15]
	s_cbranch_execz .LBB44_25
; %bb.24:                               ;   in Loop: Header=BB44_7 Depth=2
	v_mov_b32_e32 v20, s27
	v_add_co_u32_e64 v38, s[12:13], s26, v48
	v_addc_co_u32_e64 v39, s[12:13], v49, v20, s[12:13]
	global_load_dwordx2 v[38:39], v[38:39], off offset:128
	s_waitcnt vmcnt(0)
	ds_write_b64 v46, v[38:39] offset:4224
.LBB44_25:                              ;   in Loop: Header=BB44_7 Depth=2
	s_andn2_saveexec_b64 s[12:13], s[14:15]
	s_cbranch_execz .LBB44_31
; %bb.26:                               ;   in Loop: Header=BB44_7 Depth=2
	s_xor_b64 s[10:11], s[10:11], -1
	s_and_saveexec_b64 s[14:15], s[10:11]
	s_xor_b64 s[10:11], exec, s[14:15]
; %bb.27:                               ;   in Loop: Header=BB44_7 Depth=2
	v_mov_b32_e32 v25, v24
	ds_write_b64 v46, v[24:25] offset:4224
; %bb.28:                               ;   in Loop: Header=BB44_7 Depth=2
	s_andn2_saveexec_b64 s[10:11], s[10:11]
; %bb.29:                               ;   in Loop: Header=BB44_7 Depth=2
	v_mov_b32_e32 v25, v51
	ds_write_b64 v46, v[24:25] offset:4224
; %bb.30:                               ;   in Loop: Header=BB44_7 Depth=2
	s_or_b64 exec, exec, s[10:11]
.LBB44_31:                              ;   in Loop: Header=BB44_7 Depth=2
	s_or_b64 exec, exec, s[12:13]
	v_mov_b32_e32 v20, s29
	v_add_co_u32_e64 v40, s[10:11], s28, v2
	v_addc_co_u32_e64 v41, s[10:11], v3, v20, s[10:11]
	v_mov_b32_e32 v20, s27
	v_add_co_u32_e64 v38, s[10:11], s26, v26
	v_addc_co_u32_e64 v39, s[10:11], v27, v20, s[10:11]
	v_cmp_gt_i64_e64 s[10:11], s[42:43], v[40:41]
	v_mov_b32_e32 v42, 0
	v_mov_b32_e32 v43, 0
	s_and_b64 s[14:15], vcc, s[10:11]
	s_and_saveexec_b64 s[12:13], s[14:15]
	s_cbranch_execz .LBB44_33
; %bb.32:                               ;   in Loop: Header=BB44_7 Depth=2
	global_load_dwordx2 v[42:43], v[38:39], off offset:-128
.LBB44_33:                              ;   in Loop: Header=BB44_7 Depth=2
	s_or_b64 exec, exec, s[12:13]
	v_cmp_gt_i64_e64 s[12:13], s[46:47], v[40:41]
	s_waitcnt vmcnt(0)
	ds_write_b64 v50, v[42:43]
	s_and_b64 s[14:15], vcc, s[12:13]
	s_xor_b64 s[14:15], s[14:15], -1
	s_and_saveexec_b64 s[16:17], s[14:15]
	s_xor_b64 s[14:15], exec, s[16:17]
; %bb.34:                               ;   in Loop: Header=BB44_7 Depth=2
	v_mov_b32_e32 v25, v24
	ds_write_b64 v50, v[24:25] offset:128
                                        ; implicit-def: $vgpr38_vgpr39
; %bb.35:                               ;   in Loop: Header=BB44_7 Depth=2
	s_andn2_saveexec_b64 s[14:15], s[14:15]
	s_cbranch_execz .LBB44_37
; %bb.36:                               ;   in Loop: Header=BB44_7 Depth=2
	global_load_dwordx2 v[38:39], v[38:39], off
	s_waitcnt vmcnt(0)
	ds_write_b64 v50, v[38:39] offset:128
.LBB44_37:                              ;   in Loop: Header=BB44_7 Depth=2
	s_or_b64 exec, exec, s[14:15]
	v_mov_b32_e32 v20, s27
	v_add_co_u32_e64 v38, s[14:15], s26, v28
	v_addc_co_u32_e64 v39, s[14:15], v29, v20, s[14:15]
	v_mov_b32_e32 v40, 0
	v_mov_b32_e32 v41, 0
	s_and_b64 s[14:15], s[8:9], s[10:11]
	s_and_saveexec_b64 s[10:11], s[14:15]
	s_cbranch_execz .LBB44_39
; %bb.38:                               ;   in Loop: Header=BB44_7 Depth=2
	global_load_dwordx2 v[40:41], v[38:39], off
.LBB44_39:                              ;   in Loop: Header=BB44_7 Depth=2
	s_or_b64 exec, exec, s[10:11]
	s_and_b64 s[10:11], s[8:9], s[12:13]
	s_xor_b64 s[10:11], s[10:11], -1
	s_waitcnt vmcnt(0)
	ds_write_b64 v50, v[40:41] offset:4096
	s_and_saveexec_b64 s[12:13], s[10:11]
	s_xor_b64 s[10:11], exec, s[12:13]
; %bb.40:                               ;   in Loop: Header=BB44_7 Depth=2
	v_mov_b32_e32 v25, v24
	ds_write_b64 v50, v[24:25] offset:4224
                                        ; implicit-def: $vgpr38_vgpr39
; %bb.41:                               ;   in Loop: Header=BB44_7 Depth=2
	s_andn2_saveexec_b64 s[10:11], s[10:11]
	s_cbranch_execz .LBB44_6
; %bb.42:                               ;   in Loop: Header=BB44_7 Depth=2
	global_load_dwordx2 v[38:39], v[38:39], off offset:128
	s_waitcnt vmcnt(0)
	ds_write_b64 v50, v[38:39] offset:4224
	s_branch .LBB44_6
.LBB44_43:                              ;   in Loop: Header=BB44_4 Depth=1
	v_mov_b32_e32 v36, 0
	v_mov_b32_e32 v34, 0
	;; [unrolled: 1-line block ×8, first 2 shown]
.LBB44_44:                              ;   in Loop: Header=BB44_4 Depth=1
	v_mul_lo_u32 v20, s45, v52
	v_mul_lo_u32 v21, s44, v53
	v_mad_u64_u32 v[25:26], s[8:9], s44, v52, 0
	v_cmp_gt_i32_e32 vcc, s30, v52
	v_add3_u32 v26, v26, v21, v20
	v_lshlrev_b64 v[25:26], 3, v[25:26]
	v_mov_b32_e32 v20, s49
	v_add_co_u32_e64 v23, s[8:9], s48, v25
	v_addc_co_u32_e64 v25, s[8:9], v20, v26, s[8:9]
	s_and_b64 s[8:9], s[4:5], vcc
	s_and_saveexec_b64 s[10:11], s[8:9]
	s_cbranch_execz .LBB44_46
; %bb.45:                               ;   in Loop: Header=BB44_4 Depth=1
	v_add_co_u32_e64 v20, s[8:9], v23, v12
	v_addc_co_u32_e64 v21, s[8:9], v25, v13, s[8:9]
	global_load_dwordx2 v[26:27], v[20:21], off
	s_waitcnt vmcnt(0)
	v_fma_f64 v[26:27], s[34:35], v[36:37], v[26:27]
	global_store_dwordx2 v[20:21], v[26:27], off
.LBB44_46:                              ;   in Loop: Header=BB44_4 Depth=1
	s_or_b64 exec, exec, s[10:11]
	s_and_b64 s[10:11], s[18:19], vcc
	s_and_saveexec_b64 s[8:9], s[10:11]
	s_cbranch_execz .LBB44_48
; %bb.47:                               ;   in Loop: Header=BB44_4 Depth=1
	v_lshlrev_b64 v[20:21], 3, v[8:9]
	v_add_co_u32_e32 v20, vcc, v23, v20
	v_addc_co_u32_e32 v21, vcc, v25, v21, vcc
	global_load_dwordx2 v[25:26], v[20:21], off
	s_waitcnt vmcnt(0)
	v_fma_f64 v[25:26], s[34:35], v[34:35], v[25:26]
	global_store_dwordx2 v[20:21], v[25:26], off
.LBB44_48:                              ;   in Loop: Header=BB44_4 Depth=1
	s_or_b64 exec, exec, s[8:9]
	v_add_u32_e32 v23, 16, v52
	v_ashrrev_i32_e32 v20, 31, v23
	v_mul_lo_u32 v25, s44, v20
	v_mul_lo_u32 v26, s45, v23
	v_mad_u64_u32 v[20:21], s[8:9], s44, v23, 0
	v_cmp_gt_i32_e32 vcc, s30, v23
	v_add3_u32 v21, v21, v25, v26
	v_lshlrev_b64 v[20:21], 3, v[20:21]
	v_mov_b32_e32 v25, s49
	v_add_co_u32_e64 v23, s[8:9], s48, v20
	v_addc_co_u32_e64 v25, s[8:9], v25, v21, s[8:9]
	s_and_b64 s[8:9], s[4:5], vcc
	s_and_saveexec_b64 s[10:11], s[8:9]
	s_cbranch_execz .LBB44_50
; %bb.49:                               ;   in Loop: Header=BB44_4 Depth=1
	v_add_co_u32_e64 v20, s[8:9], v23, v12
	v_addc_co_u32_e64 v21, s[8:9], v25, v13, s[8:9]
	global_load_dwordx2 v[26:27], v[20:21], off
	s_waitcnt vmcnt(0)
	v_fma_f64 v[26:27], s[34:35], v[32:33], v[26:27]
	global_store_dwordx2 v[20:21], v[26:27], off
.LBB44_50:                              ;   in Loop: Header=BB44_4 Depth=1
	s_or_b64 exec, exec, s[10:11]
	s_and_b64 s[10:11], s[18:19], vcc
	s_and_saveexec_b64 s[8:9], s[10:11]
	s_cbranch_execz .LBB44_3
; %bb.51:                               ;   in Loop: Header=BB44_4 Depth=1
	v_lshlrev_b64 v[20:21], 3, v[8:9]
	v_add_co_u32_e32 v20, vcc, v23, v20
	v_addc_co_u32_e32 v21, vcc, v25, v21, vcc
	global_load_dwordx2 v[25:26], v[20:21], off
	s_waitcnt vmcnt(0)
	v_fma_f64 v[25:26], s[34:35], v[30:31], v[25:26]
	global_store_dwordx2 v[20:21], v[25:26], off
	s_branch .LBB44_3
.LBB44_52:
	s_endpgm
	.section	.rodata,"a",@progbits
	.p2align	6, 0x0
	.amdhsa_kernel _ZL30rocblas_trmm_outofplace_kernelIdLi32ELi2ELb1ELb0ELb1ELb1EPKdS0_dEv17rocblas_diagonal_iiT6_lPT7_lllS5_lllPT8_llli
		.amdhsa_group_segment_fixed_size 16384
		.amdhsa_private_segment_fixed_size 12
		.amdhsa_kernarg_size 392
		.amdhsa_user_sgpr_count 6
		.amdhsa_user_sgpr_private_segment_buffer 1
		.amdhsa_user_sgpr_dispatch_ptr 0
		.amdhsa_user_sgpr_queue_ptr 0
		.amdhsa_user_sgpr_kernarg_segment_ptr 1
		.amdhsa_user_sgpr_dispatch_id 0
		.amdhsa_user_sgpr_flat_scratch_init 0
		.amdhsa_user_sgpr_private_segment_size 0
		.amdhsa_uses_dynamic_stack 0
		.amdhsa_system_sgpr_private_segment_wavefront_offset 1
		.amdhsa_system_sgpr_workgroup_id_x 1
		.amdhsa_system_sgpr_workgroup_id_y 1
		.amdhsa_system_sgpr_workgroup_id_z 1
		.amdhsa_system_sgpr_workgroup_info 0
		.amdhsa_system_vgpr_workitem_id 1
		.amdhsa_next_free_vgpr 64
		.amdhsa_next_free_sgpr 61
		.amdhsa_reserve_vcc 1
		.amdhsa_reserve_flat_scratch 0
		.amdhsa_float_round_mode_32 0
		.amdhsa_float_round_mode_16_64 0
		.amdhsa_float_denorm_mode_32 3
		.amdhsa_float_denorm_mode_16_64 3
		.amdhsa_dx10_clamp 1
		.amdhsa_ieee_mode 1
		.amdhsa_fp16_overflow 0
		.amdhsa_exception_fp_ieee_invalid_op 0
		.amdhsa_exception_fp_denorm_src 0
		.amdhsa_exception_fp_ieee_div_zero 0
		.amdhsa_exception_fp_ieee_overflow 0
		.amdhsa_exception_fp_ieee_underflow 0
		.amdhsa_exception_fp_ieee_inexact 0
		.amdhsa_exception_int_div_zero 0
	.end_amdhsa_kernel
	.section	.text._ZL30rocblas_trmm_outofplace_kernelIdLi32ELi2ELb1ELb0ELb1ELb1EPKdS0_dEv17rocblas_diagonal_iiT6_lPT7_lllS5_lllPT8_llli,"axG",@progbits,_ZL30rocblas_trmm_outofplace_kernelIdLi32ELi2ELb1ELb0ELb1ELb1EPKdS0_dEv17rocblas_diagonal_iiT6_lPT7_lllS5_lllPT8_llli,comdat
.Lfunc_end44:
	.size	_ZL30rocblas_trmm_outofplace_kernelIdLi32ELi2ELb1ELb0ELb1ELb1EPKdS0_dEv17rocblas_diagonal_iiT6_lPT7_lllS5_lllPT8_llli, .Lfunc_end44-_ZL30rocblas_trmm_outofplace_kernelIdLi32ELi2ELb1ELb0ELb1ELb1EPKdS0_dEv17rocblas_diagonal_iiT6_lPT7_lllS5_lllPT8_llli
                                        ; -- End function
	.set _ZL30rocblas_trmm_outofplace_kernelIdLi32ELi2ELb1ELb0ELb1ELb1EPKdS0_dEv17rocblas_diagonal_iiT6_lPT7_lllS5_lllPT8_llli.num_vgpr, 64
	.set _ZL30rocblas_trmm_outofplace_kernelIdLi32ELi2ELb1ELb0ELb1ELb1EPKdS0_dEv17rocblas_diagonal_iiT6_lPT7_lllS5_lllPT8_llli.num_agpr, 0
	.set _ZL30rocblas_trmm_outofplace_kernelIdLi32ELi2ELb1ELb0ELb1ELb1EPKdS0_dEv17rocblas_diagonal_iiT6_lPT7_lllS5_lllPT8_llli.numbered_sgpr, 60
	.set _ZL30rocblas_trmm_outofplace_kernelIdLi32ELi2ELb1ELb0ELb1ELb1EPKdS0_dEv17rocblas_diagonal_iiT6_lPT7_lllS5_lllPT8_llli.num_named_barrier, 0
	.set _ZL30rocblas_trmm_outofplace_kernelIdLi32ELi2ELb1ELb0ELb1ELb1EPKdS0_dEv17rocblas_diagonal_iiT6_lPT7_lllS5_lllPT8_llli.private_seg_size, 12
	.set _ZL30rocblas_trmm_outofplace_kernelIdLi32ELi2ELb1ELb0ELb1ELb1EPKdS0_dEv17rocblas_diagonal_iiT6_lPT7_lllS5_lllPT8_llli.uses_vcc, 1
	.set _ZL30rocblas_trmm_outofplace_kernelIdLi32ELi2ELb1ELb0ELb1ELb1EPKdS0_dEv17rocblas_diagonal_iiT6_lPT7_lllS5_lllPT8_llli.uses_flat_scratch, 0
	.set _ZL30rocblas_trmm_outofplace_kernelIdLi32ELi2ELb1ELb0ELb1ELb1EPKdS0_dEv17rocblas_diagonal_iiT6_lPT7_lllS5_lllPT8_llli.has_dyn_sized_stack, 0
	.set _ZL30rocblas_trmm_outofplace_kernelIdLi32ELi2ELb1ELb0ELb1ELb1EPKdS0_dEv17rocblas_diagonal_iiT6_lPT7_lllS5_lllPT8_llli.has_recursion, 0
	.set _ZL30rocblas_trmm_outofplace_kernelIdLi32ELi2ELb1ELb0ELb1ELb1EPKdS0_dEv17rocblas_diagonal_iiT6_lPT7_lllS5_lllPT8_llli.has_indirect_call, 0
	.section	.AMDGPU.csdata,"",@progbits
; Kernel info:
; codeLenInByte = 3892
; TotalNumSgprs: 64
; NumVgprs: 64
; ScratchSize: 12
; MemoryBound: 0
; FloatMode: 240
; IeeeMode: 1
; LDSByteSize: 16384 bytes/workgroup (compile time only)
; SGPRBlocks: 8
; VGPRBlocks: 15
; NumSGPRsForWavesPerEU: 65
; NumVGPRsForWavesPerEU: 64
; Occupancy: 4
; WaveLimiterHint : 0
; COMPUTE_PGM_RSRC2:SCRATCH_EN: 1
; COMPUTE_PGM_RSRC2:USER_SGPR: 6
; COMPUTE_PGM_RSRC2:TRAP_HANDLER: 0
; COMPUTE_PGM_RSRC2:TGID_X_EN: 1
; COMPUTE_PGM_RSRC2:TGID_Y_EN: 1
; COMPUTE_PGM_RSRC2:TGID_Z_EN: 1
; COMPUTE_PGM_RSRC2:TIDIG_COMP_CNT: 1
	.section	.text._ZL30rocblas_trmm_outofplace_kernelIdLi32ELi2ELb1ELb0ELb1ELb1EdKddEv17rocblas_diagonal_iiT6_lPT7_lllS4_lllPT8_llli,"axG",@progbits,_ZL30rocblas_trmm_outofplace_kernelIdLi32ELi2ELb1ELb0ELb1ELb1EdKddEv17rocblas_diagonal_iiT6_lPT7_lllS4_lllPT8_llli,comdat
	.globl	_ZL30rocblas_trmm_outofplace_kernelIdLi32ELi2ELb1ELb0ELb1ELb1EdKddEv17rocblas_diagonal_iiT6_lPT7_lllS4_lllPT8_llli ; -- Begin function _ZL30rocblas_trmm_outofplace_kernelIdLi32ELi2ELb1ELb0ELb1ELb1EdKddEv17rocblas_diagonal_iiT6_lPT7_lllS4_lllPT8_llli
	.p2align	8
	.type	_ZL30rocblas_trmm_outofplace_kernelIdLi32ELi2ELb1ELb0ELb1ELb1EdKddEv17rocblas_diagonal_iiT6_lPT7_lllS4_lllPT8_llli,@function
_ZL30rocblas_trmm_outofplace_kernelIdLi32ELi2ELb1ELb0ELb1ELb1EdKddEv17rocblas_diagonal_iiT6_lPT7_lllS4_lllPT8_llli: ; @_ZL30rocblas_trmm_outofplace_kernelIdLi32ELi2ELb1ELb0ELb1ELb1EdKddEv17rocblas_diagonal_iiT6_lPT7_lllS4_lllPT8_llli
; %bb.0:
	s_load_dwordx2 s[34:35], s[4:5], 0x10
	s_mov_b64 s[54:55], s[2:3]
	s_mov_b64 s[52:53], s[0:1]
	s_add_u32 s52, s52, s9
	s_addc_u32 s53, s53, 0
	s_waitcnt lgkmcnt(0)
	v_cmp_eq_f64_e64 s[0:1], s[34:35], 0
	s_and_b64 vcc, exec, s[0:1]
	s_cbranch_vccnz .LBB45_52
; %bb.1:
	s_load_dwordx4 s[28:31], s[4:5], 0x0
	s_waitcnt lgkmcnt(0)
	s_add_i32 s0, s30, -1
	s_ashr_i32 s1, s0, 31
	s_lshr_b32 s1, s1, 27
	s_add_i32 s0, s0, s1
	s_ashr_i32 s31, s0, 5
	s_cmp_gt_i32 s7, s31
	s_cbranch_scc1 .LBB45_52
; %bb.2:
	s_load_dwordx16 s[12:27], s[4:5], 0x20
	s_load_dwordx8 s[36:43], s[4:5], 0x60
	s_load_dword s48, s[4:5], 0x8c
	v_mov_b32_e32 v51, 0x3ff00000
	v_mov_b32_e32 v24, 0
	s_waitcnt lgkmcnt(0)
	s_mul_i32 s1, s19, s8
	s_mul_hi_u32 s2, s18, s8
	s_mul_i32 s0, s18, s8
	s_add_i32 s1, s2, s1
	s_lshl_b64 s[10:11], s[0:1], 3
	s_add_u32 s0, s12, s10
	s_addc_u32 s1, s13, s11
	s_lshl_b64 s[14:15], s[14:15], 3
	s_add_u32 s2, s0, s14
	s_addc_u32 s3, s1, s15
	s_mul_i32 s0, s43, s8
	s_mul_hi_u32 s1, s42, s8
	s_add_i32 s1, s1, s0
	s_mul_i32 s0, s42, s8
	s_lshl_b64 s[0:1], s[0:1], 3
	s_add_u32 s9, s36, s0
	s_addc_u32 s18, s37, s1
	s_lshl_b64 s[0:1], s[38:39], 3
	s_add_u32 s33, s9, s0
	s_addc_u32 s46, s18, s1
	s_lshl_b32 s6, s6, 5
	v_add_u32_e32 v2, s6, v0
	v_ashrrev_i32_e32 v3, 31, v2
	v_mul_lo_u32 v8, s16, v3
	v_mul_lo_u32 v9, s17, v2
	v_mad_u64_u32 v[6:7], s[0:1], s16, v2, 0
	v_add_u32_e32 v4, s6, v1
	s_sub_i32 s6, s29, s6
	v_add3_u32 v7, v7, v8, v9
	v_lshlrev_b64 v[6:7], 3, v[6:7]
	s_cmp_gt_i32 s6, 0
	v_ashrrev_i32_e32 v5, 31, v4
	s_cselect_b64 s[36:37], -1, 0
	s_cmpk_eq_i32 s28, 0x84
	v_mov_b32_e32 v8, s3
	v_add_co_u32_e32 v6, vcc, s2, v6
	v_lshlrev_b64 v[20:21], 3, v[4:5]
	s_cselect_b64 s[38:39], -1, 0
	s_ashr_i32 s43, s29, 31
	s_ashr_i32 s47, s30, 31
	v_addc_co_u32_e32 v7, vcc, v8, v7, vcc
	s_add_u32 s44, s29, -16
	s_mul_i32 s9, s27, s8
	s_mul_hi_u32 s27, s26, s8
	v_add_co_u32_e32 v44, vcc, v6, v20
	s_addc_u32 s45, s43, -1
	s_add_i32 s9, s27, s9
	s_mul_i32 s8, s26, s8
	v_addc_co_u32_e32 v45, vcc, v7, v21, vcc
	v_lshlrev_b32_e32 v6, 8, v1
	v_lshlrev_b32_e32 v0, 3, v0
	s_lshl_b64 s[8:9], s[8:9], 3
	s_lshl_b64 s[22:23], s[22:23], 3
	v_add_u32_e32 v46, v0, v6
	v_add_u32_e32 v47, 0x2000, v6
	v_add_co_u32_e32 v6, vcc, 16, v2
	s_add_u32 s8, s8, s22
	v_addc_co_u32_e32 v7, vcc, 0, v3, vcc
	s_addc_u32 s9, s9, s23
	v_sub_co_u32_e32 v10, vcc, v2, v4
	v_lshlrev_b64 v[12:13], 3, v[2:3]
	s_add_u32 s8, s20, s8
	v_subb_co_u32_e32 v11, vcc, v3, v5, vcc
	s_addc_u32 s9, s21, s9
	s_lshl_b64 s[22:23], s[24:25], 3
	s_lshl_b32 s49, s48, 5
	v_mov_b32_e32 v15, s9
	v_add_co_u32_e32 v14, vcc, s8, v12
	s_add_u32 s8, s14, s10
	v_addc_co_u32_e32 v15, vcc, v15, v13, vcc
	s_movk_i32 s20, 0x80
	s_addc_u32 s9, s15, s11
	v_add_co_u32_e32 v18, vcc, s20, v12
	v_mov_b32_e32 v17, s9
	v_addc_co_u32_e32 v19, vcc, 0, v13, vcc
	v_mov_b32_e32 v16, s8
	v_mad_u64_u32 v[22:23], s[8:9], s16, v18, v[16:17]
	v_mul_lo_u32 v19, s16, v19
	v_mul_lo_u32 v18, s17, v18
	v_add_co_u32_e32 v16, vcc, 16, v10
	v_addc_co_u32_e32 v17, vcc, 0, v11, vcc
	v_add3_u32 v23, v18, v23, v19
	v_add_co_u32_e32 v18, vcc, -16, v10
	v_addc_co_u32_e32 v19, vcc, -1, v11, vcc
	v_add_co_u32_e32 v20, vcc, v22, v20
	v_addc_co_u32_e32 v21, vcc, v23, v21, vcc
	v_mov_b32_e32 v22, s13
	v_add_co_u32_e32 v48, vcc, s12, v20
	s_mov_b32 s42, s29
	v_addc_co_u32_e32 v49, vcc, v22, v21, vcc
	v_cmp_le_i64_e64 s[2:3], s[42:43], v[6:7]
	v_add_u32_e32 v8, 16, v2
	v_add_co_u32_e32 v20, vcc, s20, v14
	v_cmp_le_i32_e64 s[0:1], s29, v2
	v_cmp_gt_i32_e64 s[4:5], s29, v2
	v_cmp_gt_i32_e64 s[18:19], s29, v8
	v_ashrrev_i32_e32 v9, 31, v8
	v_addc_co_u32_e32 v21, vcc, 0, v15, vcc
	v_add_u32_e32 v50, v47, v0
	v_lshl_add_u32 v22, s7, 5, v1
	buffer_store_dword v20, off, s[52:55], 0 ; 4-byte Folded Spill
	s_nop 0
	buffer_store_dword v21, off, s[52:55], 0 offset:4 ; 4-byte Folded Spill
	s_branch .LBB45_4
.LBB45_3:                               ;   in Loop: Header=BB45_4 Depth=1
	s_or_b64 exec, exec, s[8:9]
	s_add_i32 s7, s48, s7
	s_cmp_le_i32 s7, s31
	v_add_u32_e32 v22, s49, v22
	s_cbranch_scc0 .LBB45_52
.LBB45_4:                               ; =>This Loop Header: Depth=1
                                        ;     Child Loop BB45_7 Depth 2
	v_lshl_add_u32 v52, s7, 5, v1
	s_andn2_b64 vcc, exec, s[36:37]
	v_ashrrev_i32_e32 v53, 31, v52
	s_cbranch_vccnz .LBB45_43
; %bb.5:                                ;   in Loop: Header=BB45_4 Depth=1
	buffer_load_dword v20, off, s[52:55], 0 ; 4-byte Folded Reload
	buffer_load_dword v21, off, s[52:55], 0 offset:4 ; 4-byte Folded Reload
	v_ashrrev_i32_e32 v23, 31, v22
	v_lshlrev_b64 v[28:29], 3, v[22:23]
	v_mov_b32_e32 v32, 0
	v_mov_b32_e32 v34, 0
	;; [unrolled: 1-line block ×3, first 2 shown]
	s_mov_b64 s[26:27], 0
	v_mov_b32_e32 v33, 0
	v_mov_b32_e32 v35, 0
	;; [unrolled: 1-line block ×3, first 2 shown]
	s_mov_b64 s[28:29], 0
	s_waitcnt vmcnt(0)
	v_mad_u64_u32 v[26:27], s[8:9], s22, v22, v[20:21]
	v_mul_lo_u32 v21, s22, v23
	v_add_co_u32_e32 v23, vcc, 0x80, v28
	v_addc_co_u32_e32 v25, vcc, 0, v29, vcc
	v_mul_lo_u32 v20, s23, v22
	v_mul_lo_u32 v25, s24, v25
	;; [unrolled: 1-line block ×3, first 2 shown]
	v_mad_u64_u32 v[28:29], s[8:9], s24, v23, v[14:15]
	v_add3_u32 v27, v20, v27, v21
	v_mov_b32_e32 v20, s47
	v_add3_u32 v29, v30, v29, v25
	v_sub_co_u32_e32 v30, vcc, s30, v52
	v_subb_co_u32_e32 v31, vcc, v20, v53, vcc
	v_cmp_lt_i64_e32 vcc, 0, v[30:31]
	v_cmp_lt_i64_e64 s[8:9], 16, v[30:31]
	v_mov_b32_e32 v30, 0
	v_mov_b32_e32 v31, 0
	s_branch .LBB45_7
.LBB45_6:                               ;   in Loop: Header=BB45_7 Depth=2
	s_or_b64 exec, exec, s[10:11]
	s_waitcnt lgkmcnt(0)
	s_barrier
	ds_read_b128 v[38:41], v47
	ds_read2_b64 v[54:57], v0 offset1:16
	ds_read_b128 v[58:61], v47 offset:4096
	v_add_u32_e32 v23, 0x800, v0
	s_add_u32 s28, s28, 32
	s_addc_u32 s29, s29, 0
	s_waitcnt lgkmcnt(1)
	v_fma_f64 v[42:43], v[54:55], v[38:39], v[36:37]
	v_fma_f64 v[62:63], v[56:57], v[38:39], v[34:35]
	s_waitcnt lgkmcnt(0)
	v_fma_f64 v[20:21], v[54:55], v[58:59], v[32:33]
	v_fma_f64 v[30:31], v[56:57], v[58:59], v[30:31]
	ds_read2_b64 v[32:35], v0 offset0:32 offset1:48
	ds_read_b128 v[36:39], v47 offset:16
	ds_read2_b64 v[54:57], v0 offset0:64 offset1:80
	s_add_u32 s26, s26, 0x100
	s_addc_u32 s27, s27, 0
	s_cmp_ge_i32 s28, s6
	s_waitcnt lgkmcnt(2)
	v_fma_f64 v[58:59], v[32:33], v[40:41], v[42:43]
	v_fma_f64 v[62:63], v[34:35], v[40:41], v[62:63]
	;; [unrolled: 1-line block ×4, first 2 shown]
	ds_read_b128 v[30:33], v47 offset:4112
	ds_read2_b64 v[40:43], v0 offset0:96 offset1:112
	s_waitcnt lgkmcnt(2)
	v_fma_f64 v[58:59], v[54:55], v[36:37], v[58:59]
	v_fma_f64 v[60:61], v[56:57], v[36:37], v[62:63]
	s_waitcnt lgkmcnt(1)
	v_fma_f64 v[20:21], v[54:55], v[30:31], v[20:21]
	v_fma_f64 v[30:31], v[56:57], v[30:31], v[34:35]
	ds_read_b128 v[34:37], v47 offset:32
	ds_read2_b64 v[54:57], v0 offset0:128 offset1:144
	s_waitcnt lgkmcnt(2)
	v_fma_f64 v[58:59], v[40:41], v[38:39], v[58:59]
	v_fma_f64 v[60:61], v[42:43], v[38:39], v[60:61]
	v_fma_f64 v[20:21], v[40:41], v[32:33], v[20:21]
	v_fma_f64 v[42:43], v[42:43], v[32:33], v[30:31]
	ds_read_b128 v[30:33], v47 offset:4128
	ds_read2_b64 v[38:41], v0 offset0:160 offset1:176
	s_waitcnt lgkmcnt(2)
	v_fma_f64 v[62:63], v[54:55], v[34:35], v[58:59]
	v_fma_f64 v[34:35], v[56:57], v[34:35], v[60:61]
	s_waitcnt lgkmcnt(1)
	v_fma_f64 v[20:21], v[54:55], v[30:31], v[20:21]
	v_fma_f64 v[30:31], v[56:57], v[30:31], v[42:43]
	ds_read_b128 v[54:57], v47 offset:48
	ds_read2_b64 v[58:61], v0 offset0:192 offset1:208
	s_waitcnt lgkmcnt(2)
	v_fma_f64 v[42:43], v[38:39], v[36:37], v[62:63]
	v_fma_f64 v[62:63], v[40:41], v[36:37], v[34:35]
	;; [unrolled: 1-line block ×4, first 2 shown]
	ds_read_b128 v[30:33], v47 offset:4144
	ds_read2_b64 v[34:37], v0 offset0:224 offset1:240
	s_waitcnt lgkmcnt(2)
	v_fma_f64 v[42:43], v[58:59], v[54:55], v[42:43]
	v_fma_f64 v[54:55], v[60:61], v[54:55], v[62:63]
	s_waitcnt lgkmcnt(1)
	v_fma_f64 v[20:21], v[58:59], v[30:31], v[20:21]
	v_fma_f64 v[30:31], v[60:61], v[30:31], v[38:39]
	ds_read_b128 v[38:41], v47 offset:64
	ds_read2_b64 v[58:61], v23 offset1:16
	s_waitcnt lgkmcnt(2)
	v_fma_f64 v[42:43], v[34:35], v[56:57], v[42:43]
	v_fma_f64 v[54:55], v[36:37], v[56:57], v[54:55]
	v_fma_f64 v[20:21], v[34:35], v[32:33], v[20:21]
	v_fma_f64 v[56:57], v[36:37], v[32:33], v[30:31]
	ds_read_b128 v[30:33], v47 offset:4160
	ds_read2_b64 v[34:37], v23 offset0:32 offset1:48
	s_waitcnt lgkmcnt(2)
	v_fma_f64 v[42:43], v[58:59], v[38:39], v[42:43]
	v_fma_f64 v[38:39], v[60:61], v[38:39], v[54:55]
	s_waitcnt lgkmcnt(1)
	v_fma_f64 v[20:21], v[58:59], v[30:31], v[20:21]
	v_fma_f64 v[30:31], v[60:61], v[30:31], v[56:57]
	ds_read_b128 v[54:57], v47 offset:80
	ds_read2_b64 v[58:61], v23 offset0:64 offset1:80
	s_waitcnt lgkmcnt(2)
	v_fma_f64 v[42:43], v[34:35], v[40:41], v[42:43]
	v_fma_f64 v[38:39], v[36:37], v[40:41], v[38:39]
	v_fma_f64 v[20:21], v[34:35], v[32:33], v[20:21]
	v_fma_f64 v[40:41], v[36:37], v[32:33], v[30:31]
	ds_read_b128 v[30:33], v47 offset:4176
	ds_read2_b64 v[34:37], v23 offset0:96 offset1:112
	s_waitcnt lgkmcnt(2)
	v_fma_f64 v[42:43], v[58:59], v[54:55], v[42:43]
	v_fma_f64 v[54:55], v[60:61], v[54:55], v[38:39]
	s_waitcnt lgkmcnt(1)
	v_fma_f64 v[20:21], v[58:59], v[30:31], v[20:21]
	v_fma_f64 v[30:31], v[60:61], v[30:31], v[40:41]
	ds_read_b128 v[38:41], v47 offset:96
	ds_read2_b64 v[58:61], v23 offset0:128 offset1:144
	;; [unrolled: 15-line block ×3, first 2 shown]
	s_waitcnt lgkmcnt(2)
	v_fma_f64 v[42:43], v[34:35], v[40:41], v[42:43]
	v_fma_f64 v[38:39], v[36:37], v[40:41], v[38:39]
	;; [unrolled: 1-line block ×4, first 2 shown]
	ds_read_b128 v[30:33], v47 offset:4208
	ds_read2_b64 v[34:37], v23 offset0:224 offset1:240
	v_add_u32_e32 v23, 0x1000, v0
	s_waitcnt lgkmcnt(2)
	v_fma_f64 v[42:43], v[58:59], v[54:55], v[42:43]
	v_fma_f64 v[54:55], v[60:61], v[54:55], v[38:39]
	s_waitcnt lgkmcnt(1)
	v_fma_f64 v[20:21], v[58:59], v[30:31], v[20:21]
	v_fma_f64 v[30:31], v[60:61], v[30:31], v[40:41]
	ds_read_b128 v[38:41], v47 offset:128
	ds_read2_b64 v[58:61], v23 offset1:16
	s_waitcnt lgkmcnt(2)
	v_fma_f64 v[42:43], v[34:35], v[56:57], v[42:43]
	v_fma_f64 v[54:55], v[36:37], v[56:57], v[54:55]
	v_fma_f64 v[20:21], v[34:35], v[32:33], v[20:21]
	v_fma_f64 v[56:57], v[36:37], v[32:33], v[30:31]
	ds_read_b128 v[30:33], v47 offset:4224
	ds_read2_b64 v[34:37], v23 offset0:32 offset1:48
	s_waitcnt lgkmcnt(2)
	v_fma_f64 v[42:43], v[58:59], v[38:39], v[42:43]
	v_fma_f64 v[38:39], v[60:61], v[38:39], v[54:55]
	s_waitcnt lgkmcnt(1)
	v_fma_f64 v[20:21], v[58:59], v[30:31], v[20:21]
	v_fma_f64 v[30:31], v[60:61], v[30:31], v[56:57]
	ds_read_b128 v[54:57], v47 offset:144
	ds_read2_b64 v[58:61], v23 offset0:64 offset1:80
	s_waitcnt lgkmcnt(2)
	v_fma_f64 v[42:43], v[34:35], v[40:41], v[42:43]
	v_fma_f64 v[38:39], v[36:37], v[40:41], v[38:39]
	v_fma_f64 v[20:21], v[34:35], v[32:33], v[20:21]
	v_fma_f64 v[40:41], v[36:37], v[32:33], v[30:31]
	ds_read_b128 v[30:33], v47 offset:4240
	ds_read2_b64 v[34:37], v23 offset0:96 offset1:112
	s_waitcnt lgkmcnt(2)
	v_fma_f64 v[42:43], v[58:59], v[54:55], v[42:43]
	v_fma_f64 v[54:55], v[60:61], v[54:55], v[38:39]
	s_waitcnt lgkmcnt(1)
	v_fma_f64 v[20:21], v[58:59], v[30:31], v[20:21]
	v_fma_f64 v[30:31], v[60:61], v[30:31], v[40:41]
	ds_read_b128 v[38:41], v47 offset:160
	ds_read2_b64 v[58:61], v23 offset0:128 offset1:144
	;; [unrolled: 15-line block ×3, first 2 shown]
	s_waitcnt lgkmcnt(2)
	v_fma_f64 v[42:43], v[34:35], v[40:41], v[42:43]
	v_fma_f64 v[38:39], v[36:37], v[40:41], v[38:39]
	;; [unrolled: 1-line block ×4, first 2 shown]
	ds_read_b128 v[30:33], v47 offset:4272
	ds_read2_b64 v[34:37], v23 offset0:224 offset1:240
	v_add_u32_e32 v23, 0x1800, v0
	s_waitcnt lgkmcnt(2)
	v_fma_f64 v[42:43], v[58:59], v[54:55], v[42:43]
	v_fma_f64 v[54:55], v[60:61], v[54:55], v[38:39]
	s_waitcnt lgkmcnt(1)
	v_fma_f64 v[20:21], v[58:59], v[30:31], v[20:21]
	v_fma_f64 v[30:31], v[60:61], v[30:31], v[40:41]
	ds_read_b128 v[38:41], v47 offset:192
	ds_read2_b64 v[58:61], v23 offset1:16
	s_waitcnt lgkmcnt(2)
	v_fma_f64 v[42:43], v[34:35], v[56:57], v[42:43]
	v_fma_f64 v[54:55], v[36:37], v[56:57], v[54:55]
	v_fma_f64 v[20:21], v[34:35], v[32:33], v[20:21]
	v_fma_f64 v[56:57], v[36:37], v[32:33], v[30:31]
	ds_read_b128 v[30:33], v47 offset:4288
	ds_read2_b64 v[34:37], v23 offset0:32 offset1:48
	s_waitcnt lgkmcnt(2)
	v_fma_f64 v[42:43], v[58:59], v[38:39], v[42:43]
	v_fma_f64 v[38:39], v[60:61], v[38:39], v[54:55]
	s_waitcnt lgkmcnt(1)
	v_fma_f64 v[20:21], v[58:59], v[30:31], v[20:21]
	v_fma_f64 v[30:31], v[60:61], v[30:31], v[56:57]
	ds_read_b128 v[54:57], v47 offset:208
	ds_read2_b64 v[58:61], v23 offset0:64 offset1:80
	s_waitcnt lgkmcnt(2)
	v_fma_f64 v[42:43], v[34:35], v[40:41], v[42:43]
	v_fma_f64 v[38:39], v[36:37], v[40:41], v[38:39]
	v_fma_f64 v[20:21], v[34:35], v[32:33], v[20:21]
	v_fma_f64 v[40:41], v[36:37], v[32:33], v[30:31]
	ds_read_b128 v[30:33], v47 offset:4304
	ds_read2_b64 v[34:37], v23 offset0:96 offset1:112
	s_waitcnt lgkmcnt(2)
	v_fma_f64 v[42:43], v[58:59], v[54:55], v[42:43]
	v_fma_f64 v[54:55], v[60:61], v[54:55], v[38:39]
	s_waitcnt lgkmcnt(1)
	v_fma_f64 v[20:21], v[58:59], v[30:31], v[20:21]
	v_fma_f64 v[30:31], v[60:61], v[30:31], v[40:41]
	ds_read_b128 v[38:41], v47 offset:224
	ds_read2_b64 v[58:61], v23 offset0:128 offset1:144
	s_waitcnt lgkmcnt(2)
	v_fma_f64 v[42:43], v[34:35], v[56:57], v[42:43]
	v_fma_f64 v[54:55], v[36:37], v[56:57], v[54:55]
	v_fma_f64 v[20:21], v[34:35], v[32:33], v[20:21]
	v_fma_f64 v[56:57], v[36:37], v[32:33], v[30:31]
	ds_read_b128 v[30:33], v47 offset:4320
	ds_read2_b64 v[34:37], v23 offset0:160 offset1:176
	s_waitcnt lgkmcnt(2)
	v_fma_f64 v[42:43], v[58:59], v[38:39], v[42:43]
	v_fma_f64 v[38:39], v[60:61], v[38:39], v[54:55]
	s_waitcnt lgkmcnt(1)
	v_fma_f64 v[20:21], v[58:59], v[30:31], v[20:21]
	v_fma_f64 v[30:31], v[60:61], v[30:31], v[56:57]
	ds_read_b128 v[54:57], v47 offset:240
	ds_read2_b64 v[58:61], v23 offset0:192 offset1:208
	s_waitcnt lgkmcnt(2)
	v_fma_f64 v[42:43], v[34:35], v[40:41], v[42:43]
	v_fma_f64 v[40:41], v[36:37], v[40:41], v[38:39]
	;; [unrolled: 1-line block ×4, first 2 shown]
	ds_read_b128 v[36:39], v47 offset:4336
	s_waitcnt lgkmcnt(1)
	v_fma_f64 v[32:33], v[58:59], v[54:55], v[42:43]
	v_fma_f64 v[34:35], v[60:61], v[54:55], v[40:41]
	s_waitcnt lgkmcnt(0)
	v_fma_f64 v[20:21], v[58:59], v[36:37], v[20:21]
	v_fma_f64 v[30:31], v[60:61], v[36:37], v[30:31]
	ds_read2_b64 v[40:43], v23 offset0:224 offset1:240
	s_waitcnt lgkmcnt(0)
	s_barrier
	v_fma_f64 v[36:37], v[40:41], v[56:57], v[32:33]
	v_fma_f64 v[34:35], v[42:43], v[56:57], v[34:35]
	;; [unrolled: 1-line block ×4, first 2 shown]
	s_cbranch_scc1 .LBB45_44
.LBB45_7:                               ;   Parent Loop BB45_4 Depth=1
                                        ; =>  This Inner Loop Header: Depth=2
	v_mov_b32_e32 v20, s29
	v_add_co_u32_e64 v40, s[10:11], s28, v4
	v_addc_co_u32_e64 v41, s[10:11], v5, v20, s[10:11]
	v_mov_b32_e32 v20, s27
	v_add_co_u32_e64 v38, s[10:11], s26, v44
	v_addc_co_u32_e64 v39, s[10:11], v45, v20, s[10:11]
	v_cmp_le_i64_e64 s[14:15], s[42:43], v[40:41]
	v_cmp_eq_u64_e64 s[10:11], s[28:29], v[10:11]
	v_cmp_lt_i64_e64 s[12:13], v[40:41], v[2:3]
	s_and_b64 s[10:11], s[38:39], s[10:11]
	s_or_b64 s[16:17], s[14:15], s[12:13]
	s_or_b64 s[16:17], s[16:17], s[10:11]
	s_nor_b64 s[16:17], s[0:1], s[16:17]
                                        ; implicit-def: $vgpr42_vgpr43
	s_and_saveexec_b64 s[20:21], s[16:17]
	s_xor_b64 s[16:17], exec, s[20:21]
	s_cbranch_execz .LBB45_9
; %bb.8:                                ;   in Loop: Header=BB45_7 Depth=2
	global_load_dwordx2 v[42:43], v[38:39], off
.LBB45_9:                               ;   in Loop: Header=BB45_7 Depth=2
	s_andn2_saveexec_b64 s[16:17], s[16:17]
	s_cbranch_execz .LBB45_11
; %bb.10:                               ;   in Loop: Header=BB45_7 Depth=2
	v_cndmask_b32_e64 v25, 0, v51, s[10:11]
	s_waitcnt vmcnt(0)
	v_mov_b32_e32 v43, v25
	v_mov_b32_e32 v42, v24
.LBB45_11:                              ;   in Loop: Header=BB45_7 Depth=2
	s_or_b64 exec, exec, s[16:17]
	v_cmp_eq_u64_e64 s[16:17], s[28:29], v[16:17]
	v_cmp_gt_i64_e64 s[20:21], v[6:7], v[40:41]
	s_and_b64 s[16:17], s[38:39], s[16:17]
	s_or_b64 s[14:15], s[14:15], s[20:21]
	s_or_b64 s[14:15], s[14:15], s[16:17]
	s_nor_b64 s[14:15], s[2:3], s[14:15]
	s_waitcnt vmcnt(0)
	ds_write_b64 v46, v[42:43]
	s_and_saveexec_b64 s[20:21], s[14:15]
	s_xor_b64 s[20:21], exec, s[20:21]
	s_cbranch_execz .LBB45_13
; %bb.12:                               ;   in Loop: Header=BB45_7 Depth=2
	v_mov_b32_e32 v20, s27
	v_add_co_u32_e64 v42, s[14:15], s26, v48
	v_addc_co_u32_e64 v43, s[14:15], v49, v20, s[14:15]
	global_load_dwordx2 v[42:43], v[42:43], off
	s_waitcnt vmcnt(0)
	ds_write_b64 v46, v[42:43] offset:128
.LBB45_13:                              ;   in Loop: Header=BB45_7 Depth=2
	s_andn2_saveexec_b64 s[14:15], s[20:21]
	s_cbranch_execz .LBB45_19
; %bb.14:                               ;   in Loop: Header=BB45_7 Depth=2
	s_xor_b64 s[16:17], s[16:17], -1
	s_and_saveexec_b64 s[20:21], s[16:17]
	s_xor_b64 s[16:17], exec, s[20:21]
; %bb.15:                               ;   in Loop: Header=BB45_7 Depth=2
	v_mov_b32_e32 v25, v24
	ds_write_b64 v46, v[24:25] offset:128
; %bb.16:                               ;   in Loop: Header=BB45_7 Depth=2
	s_andn2_saveexec_b64 s[16:17], s[16:17]
; %bb.17:                               ;   in Loop: Header=BB45_7 Depth=2
	v_mov_b32_e32 v25, v51
	ds_write_b64 v46, v[24:25] offset:128
; %bb.18:                               ;   in Loop: Header=BB45_7 Depth=2
	s_or_b64 exec, exec, s[16:17]
.LBB45_19:                              ;   in Loop: Header=BB45_7 Depth=2
	s_or_b64 exec, exec, s[14:15]
	v_add_co_u32_e64 v40, s[14:15], 16, v40
	v_addc_co_u32_e64 v41, s[14:15], 0, v41, s[14:15]
	v_cmp_le_i64_e64 s[14:15], s[42:43], v[40:41]
	v_cmp_eq_u64_e64 s[16:17], s[28:29], v[18:19]
	v_cmp_lt_i64_e64 s[20:21], v[40:41], v[2:3]
	s_and_b64 s[16:17], s[38:39], s[16:17]
	s_or_b64 s[20:21], s[14:15], s[20:21]
	s_or_b64 s[20:21], s[20:21], s[16:17]
	s_nor_b64 s[20:21], s[0:1], s[20:21]
                                        ; implicit-def: $vgpr40_vgpr41
	s_and_saveexec_b64 s[50:51], s[20:21]
	s_xor_b64 s[20:21], exec, s[50:51]
	s_cbranch_execz .LBB45_21
; %bb.20:                               ;   in Loop: Header=BB45_7 Depth=2
	global_load_dwordx2 v[40:41], v[38:39], off offset:128
.LBB45_21:                              ;   in Loop: Header=BB45_7 Depth=2
	s_andn2_saveexec_b64 s[20:21], s[20:21]
	s_cbranch_execz .LBB45_23
; %bb.22:                               ;   in Loop: Header=BB45_7 Depth=2
	v_cndmask_b32_e64 v25, 0, v51, s[16:17]
	s_waitcnt vmcnt(0)
	v_mov_b32_e32 v41, v25
	v_mov_b32_e32 v40, v24
.LBB45_23:                              ;   in Loop: Header=BB45_7 Depth=2
	s_or_b64 exec, exec, s[20:21]
	s_or_b64 s[12:13], s[14:15], s[12:13]
	s_or_b64 s[12:13], s[12:13], s[10:11]
	s_nor_b64 s[12:13], s[2:3], s[12:13]
	s_waitcnt vmcnt(0)
	ds_write_b64 v46, v[40:41] offset:4096
	s_and_saveexec_b64 s[14:15], s[12:13]
	s_xor_b64 s[14:15], exec, s[14:15]
	s_cbranch_execz .LBB45_25
; %bb.24:                               ;   in Loop: Header=BB45_7 Depth=2
	v_mov_b32_e32 v20, s27
	v_add_co_u32_e64 v38, s[12:13], s26, v48
	v_addc_co_u32_e64 v39, s[12:13], v49, v20, s[12:13]
	global_load_dwordx2 v[38:39], v[38:39], off offset:128
	s_waitcnt vmcnt(0)
	ds_write_b64 v46, v[38:39] offset:4224
.LBB45_25:                              ;   in Loop: Header=BB45_7 Depth=2
	s_andn2_saveexec_b64 s[12:13], s[14:15]
	s_cbranch_execz .LBB45_31
; %bb.26:                               ;   in Loop: Header=BB45_7 Depth=2
	s_xor_b64 s[10:11], s[10:11], -1
	s_and_saveexec_b64 s[14:15], s[10:11]
	s_xor_b64 s[10:11], exec, s[14:15]
; %bb.27:                               ;   in Loop: Header=BB45_7 Depth=2
	v_mov_b32_e32 v25, v24
	ds_write_b64 v46, v[24:25] offset:4224
; %bb.28:                               ;   in Loop: Header=BB45_7 Depth=2
	s_andn2_saveexec_b64 s[10:11], s[10:11]
; %bb.29:                               ;   in Loop: Header=BB45_7 Depth=2
	v_mov_b32_e32 v25, v51
	ds_write_b64 v46, v[24:25] offset:4224
; %bb.30:                               ;   in Loop: Header=BB45_7 Depth=2
	s_or_b64 exec, exec, s[10:11]
.LBB45_31:                              ;   in Loop: Header=BB45_7 Depth=2
	s_or_b64 exec, exec, s[12:13]
	v_mov_b32_e32 v20, s29
	v_add_co_u32_e64 v40, s[10:11], s28, v2
	v_addc_co_u32_e64 v41, s[10:11], v3, v20, s[10:11]
	v_mov_b32_e32 v20, s27
	v_add_co_u32_e64 v38, s[10:11], s26, v26
	v_addc_co_u32_e64 v39, s[10:11], v27, v20, s[10:11]
	v_cmp_gt_i64_e64 s[10:11], s[42:43], v[40:41]
	v_mov_b32_e32 v42, 0
	v_mov_b32_e32 v43, 0
	s_and_b64 s[14:15], vcc, s[10:11]
	s_and_saveexec_b64 s[12:13], s[14:15]
	s_cbranch_execz .LBB45_33
; %bb.32:                               ;   in Loop: Header=BB45_7 Depth=2
	global_load_dwordx2 v[42:43], v[38:39], off offset:-128
.LBB45_33:                              ;   in Loop: Header=BB45_7 Depth=2
	s_or_b64 exec, exec, s[12:13]
	v_cmp_gt_i64_e64 s[12:13], s[44:45], v[40:41]
	s_waitcnt vmcnt(0)
	ds_write_b64 v50, v[42:43]
	s_and_b64 s[14:15], vcc, s[12:13]
	s_xor_b64 s[14:15], s[14:15], -1
	s_and_saveexec_b64 s[16:17], s[14:15]
	s_xor_b64 s[14:15], exec, s[16:17]
; %bb.34:                               ;   in Loop: Header=BB45_7 Depth=2
	v_mov_b32_e32 v25, v24
	ds_write_b64 v50, v[24:25] offset:128
                                        ; implicit-def: $vgpr38_vgpr39
; %bb.35:                               ;   in Loop: Header=BB45_7 Depth=2
	s_andn2_saveexec_b64 s[14:15], s[14:15]
	s_cbranch_execz .LBB45_37
; %bb.36:                               ;   in Loop: Header=BB45_7 Depth=2
	global_load_dwordx2 v[38:39], v[38:39], off
	s_waitcnt vmcnt(0)
	ds_write_b64 v50, v[38:39] offset:128
.LBB45_37:                              ;   in Loop: Header=BB45_7 Depth=2
	s_or_b64 exec, exec, s[14:15]
	v_mov_b32_e32 v20, s27
	v_add_co_u32_e64 v38, s[14:15], s26, v28
	v_addc_co_u32_e64 v39, s[14:15], v29, v20, s[14:15]
	v_mov_b32_e32 v40, 0
	v_mov_b32_e32 v41, 0
	s_and_b64 s[14:15], s[8:9], s[10:11]
	s_and_saveexec_b64 s[10:11], s[14:15]
	s_cbranch_execz .LBB45_39
; %bb.38:                               ;   in Loop: Header=BB45_7 Depth=2
	global_load_dwordx2 v[40:41], v[38:39], off
.LBB45_39:                              ;   in Loop: Header=BB45_7 Depth=2
	s_or_b64 exec, exec, s[10:11]
	s_and_b64 s[10:11], s[8:9], s[12:13]
	s_xor_b64 s[10:11], s[10:11], -1
	s_waitcnt vmcnt(0)
	ds_write_b64 v50, v[40:41] offset:4096
	s_and_saveexec_b64 s[12:13], s[10:11]
	s_xor_b64 s[10:11], exec, s[12:13]
; %bb.40:                               ;   in Loop: Header=BB45_7 Depth=2
	v_mov_b32_e32 v25, v24
	ds_write_b64 v50, v[24:25] offset:4224
                                        ; implicit-def: $vgpr38_vgpr39
; %bb.41:                               ;   in Loop: Header=BB45_7 Depth=2
	s_andn2_saveexec_b64 s[10:11], s[10:11]
	s_cbranch_execz .LBB45_6
; %bb.42:                               ;   in Loop: Header=BB45_7 Depth=2
	global_load_dwordx2 v[38:39], v[38:39], off offset:128
	s_waitcnt vmcnt(0)
	ds_write_b64 v50, v[38:39] offset:4224
	s_branch .LBB45_6
.LBB45_43:                              ;   in Loop: Header=BB45_4 Depth=1
	v_mov_b32_e32 v36, 0
	v_mov_b32_e32 v34, 0
	;; [unrolled: 1-line block ×8, first 2 shown]
.LBB45_44:                              ;   in Loop: Header=BB45_4 Depth=1
	v_mul_lo_u32 v20, s41, v52
	v_mul_lo_u32 v21, s40, v53
	v_mad_u64_u32 v[25:26], s[8:9], s40, v52, 0
	v_cmp_gt_i32_e32 vcc, s30, v52
	v_add3_u32 v26, v26, v21, v20
	v_lshlrev_b64 v[25:26], 3, v[25:26]
	v_mov_b32_e32 v20, s46
	v_add_co_u32_e64 v23, s[8:9], s33, v25
	v_addc_co_u32_e64 v25, s[8:9], v20, v26, s[8:9]
	s_and_b64 s[8:9], s[4:5], vcc
	s_and_saveexec_b64 s[10:11], s[8:9]
	s_cbranch_execz .LBB45_46
; %bb.45:                               ;   in Loop: Header=BB45_4 Depth=1
	v_add_co_u32_e64 v20, s[8:9], v23, v12
	v_addc_co_u32_e64 v21, s[8:9], v25, v13, s[8:9]
	global_load_dwordx2 v[26:27], v[20:21], off
	s_waitcnt vmcnt(0)
	v_fma_f64 v[26:27], s[34:35], v[36:37], v[26:27]
	global_store_dwordx2 v[20:21], v[26:27], off
.LBB45_46:                              ;   in Loop: Header=BB45_4 Depth=1
	s_or_b64 exec, exec, s[10:11]
	s_and_b64 s[10:11], s[18:19], vcc
	s_and_saveexec_b64 s[8:9], s[10:11]
	s_cbranch_execz .LBB45_48
; %bb.47:                               ;   in Loop: Header=BB45_4 Depth=1
	v_lshlrev_b64 v[20:21], 3, v[8:9]
	v_add_co_u32_e32 v20, vcc, v23, v20
	v_addc_co_u32_e32 v21, vcc, v25, v21, vcc
	global_load_dwordx2 v[25:26], v[20:21], off
	s_waitcnt vmcnt(0)
	v_fma_f64 v[25:26], s[34:35], v[34:35], v[25:26]
	global_store_dwordx2 v[20:21], v[25:26], off
.LBB45_48:                              ;   in Loop: Header=BB45_4 Depth=1
	s_or_b64 exec, exec, s[8:9]
	v_add_u32_e32 v23, 16, v52
	v_ashrrev_i32_e32 v20, 31, v23
	v_mul_lo_u32 v25, s40, v20
	v_mul_lo_u32 v26, s41, v23
	v_mad_u64_u32 v[20:21], s[8:9], s40, v23, 0
	v_cmp_gt_i32_e32 vcc, s30, v23
	v_add3_u32 v21, v21, v25, v26
	v_lshlrev_b64 v[20:21], 3, v[20:21]
	v_mov_b32_e32 v25, s46
	v_add_co_u32_e64 v23, s[8:9], s33, v20
	v_addc_co_u32_e64 v25, s[8:9], v25, v21, s[8:9]
	s_and_b64 s[8:9], s[4:5], vcc
	s_and_saveexec_b64 s[10:11], s[8:9]
	s_cbranch_execz .LBB45_50
; %bb.49:                               ;   in Loop: Header=BB45_4 Depth=1
	v_add_co_u32_e64 v20, s[8:9], v23, v12
	v_addc_co_u32_e64 v21, s[8:9], v25, v13, s[8:9]
	global_load_dwordx2 v[26:27], v[20:21], off
	s_waitcnt vmcnt(0)
	v_fma_f64 v[26:27], s[34:35], v[32:33], v[26:27]
	global_store_dwordx2 v[20:21], v[26:27], off
.LBB45_50:                              ;   in Loop: Header=BB45_4 Depth=1
	s_or_b64 exec, exec, s[10:11]
	s_and_b64 s[10:11], s[18:19], vcc
	s_and_saveexec_b64 s[8:9], s[10:11]
	s_cbranch_execz .LBB45_3
; %bb.51:                               ;   in Loop: Header=BB45_4 Depth=1
	v_lshlrev_b64 v[20:21], 3, v[8:9]
	v_add_co_u32_e32 v20, vcc, v23, v20
	v_addc_co_u32_e32 v21, vcc, v25, v21, vcc
	global_load_dwordx2 v[25:26], v[20:21], off
	s_waitcnt vmcnt(0)
	v_fma_f64 v[25:26], s[34:35], v[30:31], v[25:26]
	global_store_dwordx2 v[20:21], v[25:26], off
	s_branch .LBB45_3
.LBB45_52:
	s_endpgm
	.section	.rodata,"a",@progbits
	.p2align	6, 0x0
	.amdhsa_kernel _ZL30rocblas_trmm_outofplace_kernelIdLi32ELi2ELb1ELb0ELb1ELb1EdKddEv17rocblas_diagonal_iiT6_lPT7_lllS4_lllPT8_llli
		.amdhsa_group_segment_fixed_size 16384
		.amdhsa_private_segment_fixed_size 12
		.amdhsa_kernarg_size 392
		.amdhsa_user_sgpr_count 6
		.amdhsa_user_sgpr_private_segment_buffer 1
		.amdhsa_user_sgpr_dispatch_ptr 0
		.amdhsa_user_sgpr_queue_ptr 0
		.amdhsa_user_sgpr_kernarg_segment_ptr 1
		.amdhsa_user_sgpr_dispatch_id 0
		.amdhsa_user_sgpr_flat_scratch_init 0
		.amdhsa_user_sgpr_private_segment_size 0
		.amdhsa_uses_dynamic_stack 0
		.amdhsa_system_sgpr_private_segment_wavefront_offset 1
		.amdhsa_system_sgpr_workgroup_id_x 1
		.amdhsa_system_sgpr_workgroup_id_y 1
		.amdhsa_system_sgpr_workgroup_id_z 1
		.amdhsa_system_sgpr_workgroup_info 0
		.amdhsa_system_vgpr_workitem_id 1
		.amdhsa_next_free_vgpr 64
		.amdhsa_next_free_sgpr 61
		.amdhsa_reserve_vcc 1
		.amdhsa_reserve_flat_scratch 0
		.amdhsa_float_round_mode_32 0
		.amdhsa_float_round_mode_16_64 0
		.amdhsa_float_denorm_mode_32 3
		.amdhsa_float_denorm_mode_16_64 3
		.amdhsa_dx10_clamp 1
		.amdhsa_ieee_mode 1
		.amdhsa_fp16_overflow 0
		.amdhsa_exception_fp_ieee_invalid_op 0
		.amdhsa_exception_fp_denorm_src 0
		.amdhsa_exception_fp_ieee_div_zero 0
		.amdhsa_exception_fp_ieee_overflow 0
		.amdhsa_exception_fp_ieee_underflow 0
		.amdhsa_exception_fp_ieee_inexact 0
		.amdhsa_exception_int_div_zero 0
	.end_amdhsa_kernel
	.section	.text._ZL30rocblas_trmm_outofplace_kernelIdLi32ELi2ELb1ELb0ELb1ELb1EdKddEv17rocblas_diagonal_iiT6_lPT7_lllS4_lllPT8_llli,"axG",@progbits,_ZL30rocblas_trmm_outofplace_kernelIdLi32ELi2ELb1ELb0ELb1ELb1EdKddEv17rocblas_diagonal_iiT6_lPT7_lllS4_lllPT8_llli,comdat
.Lfunc_end45:
	.size	_ZL30rocblas_trmm_outofplace_kernelIdLi32ELi2ELb1ELb0ELb1ELb1EdKddEv17rocblas_diagonal_iiT6_lPT7_lllS4_lllPT8_llli, .Lfunc_end45-_ZL30rocblas_trmm_outofplace_kernelIdLi32ELi2ELb1ELb0ELb1ELb1EdKddEv17rocblas_diagonal_iiT6_lPT7_lllS4_lllPT8_llli
                                        ; -- End function
	.set _ZL30rocblas_trmm_outofplace_kernelIdLi32ELi2ELb1ELb0ELb1ELb1EdKddEv17rocblas_diagonal_iiT6_lPT7_lllS4_lllPT8_llli.num_vgpr, 64
	.set _ZL30rocblas_trmm_outofplace_kernelIdLi32ELi2ELb1ELb0ELb1ELb1EdKddEv17rocblas_diagonal_iiT6_lPT7_lllS4_lllPT8_llli.num_agpr, 0
	.set _ZL30rocblas_trmm_outofplace_kernelIdLi32ELi2ELb1ELb0ELb1ELb1EdKddEv17rocblas_diagonal_iiT6_lPT7_lllS4_lllPT8_llli.numbered_sgpr, 56
	.set _ZL30rocblas_trmm_outofplace_kernelIdLi32ELi2ELb1ELb0ELb1ELb1EdKddEv17rocblas_diagonal_iiT6_lPT7_lllS4_lllPT8_llli.num_named_barrier, 0
	.set _ZL30rocblas_trmm_outofplace_kernelIdLi32ELi2ELb1ELb0ELb1ELb1EdKddEv17rocblas_diagonal_iiT6_lPT7_lllS4_lllPT8_llli.private_seg_size, 12
	.set _ZL30rocblas_trmm_outofplace_kernelIdLi32ELi2ELb1ELb0ELb1ELb1EdKddEv17rocblas_diagonal_iiT6_lPT7_lllS4_lllPT8_llli.uses_vcc, 1
	.set _ZL30rocblas_trmm_outofplace_kernelIdLi32ELi2ELb1ELb0ELb1ELb1EdKddEv17rocblas_diagonal_iiT6_lPT7_lllS4_lllPT8_llli.uses_flat_scratch, 0
	.set _ZL30rocblas_trmm_outofplace_kernelIdLi32ELi2ELb1ELb0ELb1ELb1EdKddEv17rocblas_diagonal_iiT6_lPT7_lllS4_lllPT8_llli.has_dyn_sized_stack, 0
	.set _ZL30rocblas_trmm_outofplace_kernelIdLi32ELi2ELb1ELb0ELb1ELb1EdKddEv17rocblas_diagonal_iiT6_lPT7_lllS4_lllPT8_llli.has_recursion, 0
	.set _ZL30rocblas_trmm_outofplace_kernelIdLi32ELi2ELb1ELb0ELb1ELb1EdKddEv17rocblas_diagonal_iiT6_lPT7_lllS4_lllPT8_llli.has_indirect_call, 0
	.section	.AMDGPU.csdata,"",@progbits
; Kernel info:
; codeLenInByte = 3848
; TotalNumSgprs: 60
; NumVgprs: 64
; ScratchSize: 12
; MemoryBound: 0
; FloatMode: 240
; IeeeMode: 1
; LDSByteSize: 16384 bytes/workgroup (compile time only)
; SGPRBlocks: 8
; VGPRBlocks: 15
; NumSGPRsForWavesPerEU: 65
; NumVGPRsForWavesPerEU: 64
; Occupancy: 4
; WaveLimiterHint : 0
; COMPUTE_PGM_RSRC2:SCRATCH_EN: 1
; COMPUTE_PGM_RSRC2:USER_SGPR: 6
; COMPUTE_PGM_RSRC2:TRAP_HANDLER: 0
; COMPUTE_PGM_RSRC2:TGID_X_EN: 1
; COMPUTE_PGM_RSRC2:TGID_Y_EN: 1
; COMPUTE_PGM_RSRC2:TGID_Z_EN: 1
; COMPUTE_PGM_RSRC2:TIDIG_COMP_CNT: 1
	.section	.text._ZL30rocblas_trmm_outofplace_kernelIdLi32ELi2ELb1ELb1ELb1ELb1EPKdS0_dEv17rocblas_diagonal_iiT6_lPT7_lllS5_lllPT8_llli,"axG",@progbits,_ZL30rocblas_trmm_outofplace_kernelIdLi32ELi2ELb1ELb1ELb1ELb1EPKdS0_dEv17rocblas_diagonal_iiT6_lPT7_lllS5_lllPT8_llli,comdat
	.globl	_ZL30rocblas_trmm_outofplace_kernelIdLi32ELi2ELb1ELb1ELb1ELb1EPKdS0_dEv17rocblas_diagonal_iiT6_lPT7_lllS5_lllPT8_llli ; -- Begin function _ZL30rocblas_trmm_outofplace_kernelIdLi32ELi2ELb1ELb1ELb1ELb1EPKdS0_dEv17rocblas_diagonal_iiT6_lPT7_lllS5_lllPT8_llli
	.p2align	8
	.type	_ZL30rocblas_trmm_outofplace_kernelIdLi32ELi2ELb1ELb1ELb1ELb1EPKdS0_dEv17rocblas_diagonal_iiT6_lPT7_lllS5_lllPT8_llli,@function
_ZL30rocblas_trmm_outofplace_kernelIdLi32ELi2ELb1ELb1ELb1ELb1EPKdS0_dEv17rocblas_diagonal_iiT6_lPT7_lllS5_lllPT8_llli: ; @_ZL30rocblas_trmm_outofplace_kernelIdLi32ELi2ELb1ELb1ELb1ELb1EPKdS0_dEv17rocblas_diagonal_iiT6_lPT7_lllS5_lllPT8_llli
; %bb.0:
	s_load_dwordx16 s[12:27], s[4:5], 0x10
	s_mov_b64 s[58:59], s[2:3]
	s_mov_b64 s[56:57], s[0:1]
	s_add_u32 s56, s56, s9
	s_addc_u32 s57, s57, 0
	s_waitcnt lgkmcnt(0)
	s_mul_i32 s0, s15, s8
	s_mul_hi_u32 s1, s14, s8
	s_add_i32 s1, s1, s0
	s_mul_i32 s0, s14, s8
	s_lshl_b64 s[0:1], s[0:1], 3
	s_add_u32 s0, s12, s0
	s_addc_u32 s1, s13, s1
	s_load_dwordx2 s[34:35], s[0:1], 0x0
	s_waitcnt lgkmcnt(0)
	v_cmp_eq_f64_e64 s[0:1], s[34:35], 0
	s_and_b64 vcc, exec, s[0:1]
	s_cbranch_vccnz .LBB46_51
; %bb.1:
	s_load_dwordx4 s[28:31], s[4:5], 0x0
	s_waitcnt lgkmcnt(0)
	s_add_i32 s0, s30, -1
	s_ashr_i32 s1, s0, 31
	s_lshr_b32 s1, s1, 27
	s_add_i32 s0, s0, s1
	s_ashr_i32 s31, s0, 5
	s_cmp_gt_i32 s7, s31
	s_cbranch_scc1 .LBB46_51
; %bb.2:
	s_mul_i32 s0, s23, s8
	s_mul_hi_u32 s1, s22, s8
	s_load_dwordx8 s[36:43], s[4:5], 0x50
	s_load_dwordx4 s[44:47], s[4:5], 0x70
	s_add_i32 s1, s1, s0
	s_mul_i32 s0, s22, s8
	s_lshl_b64 s[10:11], s[0:1], 3
	s_add_u32 s0, s16, s10
	s_addc_u32 s1, s17, s11
	s_lshl_b64 s[12:13], s[18:19], 3
	s_add_u32 s2, s0, s12
	s_addc_u32 s3, s1, s13
	s_waitcnt lgkmcnt(0)
	s_mul_i32 s0, s47, s8
	s_mul_hi_u32 s1, s46, s8
	s_add_i32 s1, s1, s0
	s_mul_i32 s0, s46, s8
	s_lshl_b64 s[0:1], s[0:1], 3
	s_load_dword s33, s[4:5], 0x8c
	s_add_u32 s4, s40, s0
	s_addc_u32 s5, s41, s1
	s_lshl_b64 s[0:1], s[42:43], 3
	s_add_u32 s48, s4, s0
	s_addc_u32 s49, s5, s1
	s_lshl_b32 s50, s6, 5
	v_add_u32_e32 v2, s50, v0
	v_ashrrev_i32_e32 v3, 31, v2
	v_mul_lo_u32 v6, s20, v3
	v_mul_lo_u32 v7, s21, v2
	v_mad_u64_u32 v[4:5], s[0:1], s20, v2, 0
	s_cmp_gt_i32 s6, -1
	s_cselect_b64 s[22:23], -1, 0
	v_add3_u32 v5, v5, v6, v7
	v_lshlrev_b64 v[4:5], 3, v[4:5]
	s_cmpk_eq_i32 s28, 0x84
	v_mov_b32_e32 v6, s3
	v_add_co_u32_e32 v4, vcc, s2, v4
	s_cselect_b64 s[40:41], -1, 0
	s_ashr_i32 s43, s29, 31
	s_ashr_i32 s6, s30, 31
	v_addc_co_u32_e32 v5, vcc, v6, v5, vcc
	v_lshlrev_b32_e32 v20, 3, v1
	s_add_u32 s46, s29, -16
	s_mul_i32 s9, s39, s8
	s_mul_hi_u32 s14, s38, s8
	v_add_co_u32_e32 v42, vcc, v4, v20
	s_addc_u32 s47, s43, -1
	s_add_i32 s9, s14, s9
	s_mul_i32 s8, s38, s8
	v_addc_co_u32_e32 v43, vcc, 0, v5, vcc
	v_lshlrev_b32_e32 v4, 8, v1
	v_lshlrev_b32_e32 v44, 3, v0
	s_lshl_b64 s[8:9], s[8:9], 3
	s_lshl_b64 s[14:15], s[26:27], 3
	v_add_u32_e32 v45, v44, v4
	v_add_u32_e32 v46, 0x2000, v4
	v_add_co_u32_e32 v4, vcc, 16, v2
	s_add_u32 s8, s8, s14
	v_addc_co_u32_e32 v5, vcc, 0, v3, vcc
	s_addc_u32 s9, s9, s15
	v_sub_co_u32_e32 v6, vcc, v2, v1
	s_add_u32 s14, s24, s8
	v_subbrev_co_u32_e32 v7, vcc, 0, v3, vcc
	s_addc_u32 s8, s25, s9
	s_lshl_b64 s[24:25], s[36:37], 3
	s_waitcnt lgkmcnt(0)
	s_lshl_b32 s38, s33, 5
	v_add_co_u32_e32 v8, vcc, 16, v6
	v_mov_b32_e32 v14, s8
	v_lshlrev_b64 v[10:11], 3, v[2:3]
	s_add_u32 s8, s12, s10
	v_addc_co_u32_e32 v9, vcc, 0, v7, vcc
	s_movk_i32 s15, 0x80
	s_addc_u32 s9, s13, s11
	v_add_co_u32_e32 v15, vcc, s15, v10
	v_mov_b32_e32 v13, s9
	v_addc_co_u32_e32 v21, vcc, 0, v11, vcc
	v_mov_b32_e32 v12, s8
	v_mad_u64_u32 v[16:17], s[8:9], s20, v15, v[12:13]
	v_mul_lo_u32 v21, s20, v21
	v_mul_lo_u32 v15, s21, v15
	v_add_co_u32_e32 v12, vcc, s14, v44
	v_addc_co_u32_e32 v13, vcc, 0, v14, vcc
	v_add_co_u32_e32 v14, vcc, -16, v6
	v_add3_u32 v17, v15, v17, v21
	v_addc_co_u32_e32 v15, vcc, -1, v7, vcc
	v_add_co_u32_e32 v16, vcc, v16, v20
	v_addc_co_u32_e32 v17, vcc, 0, v17, vcc
	v_add_u32_e32 v18, 16, v2
	v_mov_b32_e32 v20, s17
	v_add_co_u32_e32 v48, vcc, s16, v16
	s_mov_b32 s42, s29
	v_ashrrev_i32_e32 v19, 31, v18
	v_addc_co_u32_e32 v49, vcc, v20, v17, vcc
	v_cmp_le_i64_e64 s[2:3], s[42:43], v[4:5]
	v_cmp_gt_i32_e64 s[18:19], s29, v18
	v_add_co_u32_e32 v16, vcc, s15, v12
	v_lshlrev_b64 v[18:19], 3, v[18:19]
	v_add_u32_e32 v47, v46, v44
	v_cmp_le_i32_e64 s[0:1], s29, v2
	v_cmp_gt_i32_e64 s[4:5], s29, v2
	v_addc_co_u32_e32 v17, vcc, 0, v13, vcc
	v_mov_b32_e32 v50, 0x3ff00000
	v_mov_b32_e32 v20, 0
	v_lshl_add_u32 v22, s7, 5, v1
	buffer_store_dword v16, off, s[56:59], 0 ; 4-byte Folded Spill
	s_nop 0
	buffer_store_dword v17, off, s[56:59], 0 offset:4 ; 4-byte Folded Spill
	s_branch .LBB46_4
.LBB46_3:                               ;   in Loop: Header=BB46_4 Depth=1
	s_or_b64 exec, exec, s[8:9]
	s_add_i32 s7, s33, s7
	s_cmp_le_i32 s7, s31
	v_add_u32_e32 v22, s38, v22
	s_cbranch_scc0 .LBB46_51
.LBB46_4:                               ; =>This Loop Header: Depth=1
                                        ;     Child Loop BB46_7 Depth 2
	v_lshl_add_u32 v51, s7, 5, v1
	v_mov_b32_e32 v34, 0
	v_mov_b32_e32 v32, 0
	;; [unrolled: 1-line block ×5, first 2 shown]
	s_andn2_b64 vcc, exec, s[22:23]
	v_mov_b32_e32 v33, 0
	v_mov_b32_e32 v31, 0
	;; [unrolled: 1-line block ×3, first 2 shown]
	v_ashrrev_i32_e32 v52, 31, v51
	s_cbranch_vccnz .LBB46_43
; %bb.5:                                ;   in Loop: Header=BB46_4 Depth=1
	buffer_load_dword v16, off, s[56:59], 0 ; 4-byte Folded Reload
	buffer_load_dword v17, off, s[56:59], 0 offset:4 ; 4-byte Folded Reload
	v_ashrrev_i32_e32 v23, 31, v22
	v_lshlrev_b64 v[26:27], 3, v[22:23]
	v_mov_b32_e32 v30, 0
	v_add_co_u32_e32 v21, vcc, 0x80, v26
	v_mul_lo_u32 v28, s37, v21
	v_mov_b32_e32 v32, 0
	v_mov_b32_e32 v34, 0
	s_mov_b64 s[26:27], 0
	v_mov_b32_e32 v31, 0
	v_mov_b32_e32 v33, 0
	;; [unrolled: 1-line block ×3, first 2 shown]
	s_mov_b64 s[28:29], 0
	s_waitcnt vmcnt(0)
	v_mad_u64_u32 v[24:25], s[8:9], s24, v22, v[16:17]
	v_mul_lo_u32 v17, s24, v23
	v_addc_co_u32_e32 v23, vcc, 0, v27, vcc
	v_mul_lo_u32 v16, s25, v22
	v_mul_lo_u32 v23, s36, v23
	v_mad_u64_u32 v[26:27], s[8:9], s36, v21, v[12:13]
	v_add3_u32 v25, v16, v25, v17
	v_mov_b32_e32 v16, s6
	v_add3_u32 v27, v28, v27, v23
	v_sub_co_u32_e32 v28, vcc, s30, v51
	v_subb_co_u32_e32 v29, vcc, v16, v52, vcc
	v_cmp_lt_i64_e32 vcc, 0, v[28:29]
	v_cmp_lt_i64_e64 s[8:9], 16, v[28:29]
	v_mov_b32_e32 v28, 0
	v_mov_b32_e32 v29, 0
	s_branch .LBB46_7
.LBB46_6:                               ;   in Loop: Header=BB46_7 Depth=2
	s_or_b64 exec, exec, s[10:11]
	s_waitcnt lgkmcnt(0)
	s_barrier
	ds_read_b128 v[36:39], v46
	ds_read2_b64 v[53:56], v44 offset1:16
	ds_read_b128 v[57:60], v46 offset:4096
	v_add_u32_e32 v21, 0x800, v44
	s_add_u32 s28, s28, 32
	s_addc_u32 s29, s29, 0
	s_waitcnt lgkmcnt(1)
	v_fma_f64 v[40:41], v[53:54], v[36:37], v[34:35]
	v_fma_f64 v[61:62], v[55:56], v[36:37], v[32:33]
	s_waitcnt lgkmcnt(0)
	v_fma_f64 v[16:17], v[53:54], v[57:58], v[30:31]
	v_fma_f64 v[28:29], v[55:56], v[57:58], v[28:29]
	ds_read2_b64 v[30:33], v44 offset0:32 offset1:48
	ds_read_b128 v[34:37], v46 offset:16
	ds_read2_b64 v[53:56], v44 offset0:64 offset1:80
	s_sub_i32 s10, s28, 32
	s_add_u32 s26, s26, 0x100
	s_addc_u32 s27, s27, 0
	s_waitcnt lgkmcnt(2)
	v_fma_f64 v[57:58], v[30:31], v[38:39], v[40:41]
	v_fma_f64 v[61:62], v[32:33], v[38:39], v[61:62]
	;; [unrolled: 1-line block ×4, first 2 shown]
	ds_read_b128 v[28:31], v46 offset:4112
	ds_read2_b64 v[38:41], v44 offset0:96 offset1:112
	s_cmp_ge_i32 s10, s50
	s_waitcnt lgkmcnt(2)
	v_fma_f64 v[57:58], v[53:54], v[34:35], v[57:58]
	v_fma_f64 v[59:60], v[55:56], v[34:35], v[61:62]
	s_waitcnt lgkmcnt(1)
	v_fma_f64 v[16:17], v[53:54], v[28:29], v[16:17]
	v_fma_f64 v[28:29], v[55:56], v[28:29], v[32:33]
	ds_read_b128 v[32:35], v46 offset:32
	ds_read2_b64 v[53:56], v44 offset0:128 offset1:144
	s_waitcnt lgkmcnt(2)
	v_fma_f64 v[57:58], v[38:39], v[36:37], v[57:58]
	v_fma_f64 v[59:60], v[40:41], v[36:37], v[59:60]
	;; [unrolled: 1-line block ×4, first 2 shown]
	ds_read_b128 v[28:31], v46 offset:4128
	ds_read2_b64 v[36:39], v44 offset0:160 offset1:176
	s_waitcnt lgkmcnt(2)
	v_fma_f64 v[61:62], v[53:54], v[32:33], v[57:58]
	v_fma_f64 v[32:33], v[55:56], v[32:33], v[59:60]
	s_waitcnt lgkmcnt(1)
	v_fma_f64 v[16:17], v[53:54], v[28:29], v[16:17]
	v_fma_f64 v[28:29], v[55:56], v[28:29], v[40:41]
	ds_read_b128 v[53:56], v46 offset:48
	ds_read2_b64 v[57:60], v44 offset0:192 offset1:208
	s_waitcnt lgkmcnt(2)
	v_fma_f64 v[40:41], v[36:37], v[34:35], v[61:62]
	v_fma_f64 v[61:62], v[38:39], v[34:35], v[32:33]
	;; [unrolled: 1-line block ×4, first 2 shown]
	ds_read_b128 v[28:31], v46 offset:4144
	ds_read2_b64 v[32:35], v44 offset0:224 offset1:240
	s_waitcnt lgkmcnt(2)
	v_fma_f64 v[40:41], v[57:58], v[53:54], v[40:41]
	v_fma_f64 v[53:54], v[59:60], v[53:54], v[61:62]
	s_waitcnt lgkmcnt(1)
	v_fma_f64 v[16:17], v[57:58], v[28:29], v[16:17]
	v_fma_f64 v[28:29], v[59:60], v[28:29], v[36:37]
	ds_read_b128 v[36:39], v46 offset:64
	ds_read2_b64 v[57:60], v21 offset1:16
	s_waitcnt lgkmcnt(2)
	v_fma_f64 v[40:41], v[32:33], v[55:56], v[40:41]
	v_fma_f64 v[53:54], v[34:35], v[55:56], v[53:54]
	v_fma_f64 v[16:17], v[32:33], v[30:31], v[16:17]
	v_fma_f64 v[55:56], v[34:35], v[30:31], v[28:29]
	ds_read_b128 v[28:31], v46 offset:4160
	ds_read2_b64 v[32:35], v21 offset0:32 offset1:48
	s_waitcnt lgkmcnt(2)
	v_fma_f64 v[40:41], v[57:58], v[36:37], v[40:41]
	v_fma_f64 v[36:37], v[59:60], v[36:37], v[53:54]
	s_waitcnt lgkmcnt(1)
	v_fma_f64 v[16:17], v[57:58], v[28:29], v[16:17]
	v_fma_f64 v[28:29], v[59:60], v[28:29], v[55:56]
	ds_read_b128 v[53:56], v46 offset:80
	ds_read2_b64 v[57:60], v21 offset0:64 offset1:80
	s_waitcnt lgkmcnt(2)
	v_fma_f64 v[40:41], v[32:33], v[38:39], v[40:41]
	v_fma_f64 v[36:37], v[34:35], v[38:39], v[36:37]
	v_fma_f64 v[16:17], v[32:33], v[30:31], v[16:17]
	v_fma_f64 v[38:39], v[34:35], v[30:31], v[28:29]
	ds_read_b128 v[28:31], v46 offset:4176
	ds_read2_b64 v[32:35], v21 offset0:96 offset1:112
	s_waitcnt lgkmcnt(2)
	v_fma_f64 v[40:41], v[57:58], v[53:54], v[40:41]
	v_fma_f64 v[53:54], v[59:60], v[53:54], v[36:37]
	s_waitcnt lgkmcnt(1)
	v_fma_f64 v[16:17], v[57:58], v[28:29], v[16:17]
	v_fma_f64 v[28:29], v[59:60], v[28:29], v[38:39]
	ds_read_b128 v[36:39], v46 offset:96
	ds_read2_b64 v[57:60], v21 offset0:128 offset1:144
	;; [unrolled: 15-line block ×3, first 2 shown]
	s_waitcnt lgkmcnt(2)
	v_fma_f64 v[40:41], v[32:33], v[38:39], v[40:41]
	v_fma_f64 v[36:37], v[34:35], v[38:39], v[36:37]
	;; [unrolled: 1-line block ×4, first 2 shown]
	ds_read_b128 v[28:31], v46 offset:4208
	ds_read2_b64 v[32:35], v21 offset0:224 offset1:240
	v_add_u32_e32 v21, 0x1000, v44
	s_waitcnt lgkmcnt(2)
	v_fma_f64 v[40:41], v[57:58], v[53:54], v[40:41]
	v_fma_f64 v[53:54], v[59:60], v[53:54], v[36:37]
	s_waitcnt lgkmcnt(1)
	v_fma_f64 v[16:17], v[57:58], v[28:29], v[16:17]
	v_fma_f64 v[28:29], v[59:60], v[28:29], v[38:39]
	ds_read_b128 v[36:39], v46 offset:128
	ds_read2_b64 v[57:60], v21 offset1:16
	s_waitcnt lgkmcnt(2)
	v_fma_f64 v[40:41], v[32:33], v[55:56], v[40:41]
	v_fma_f64 v[53:54], v[34:35], v[55:56], v[53:54]
	v_fma_f64 v[16:17], v[32:33], v[30:31], v[16:17]
	v_fma_f64 v[55:56], v[34:35], v[30:31], v[28:29]
	ds_read_b128 v[28:31], v46 offset:4224
	ds_read2_b64 v[32:35], v21 offset0:32 offset1:48
	s_waitcnt lgkmcnt(2)
	v_fma_f64 v[40:41], v[57:58], v[36:37], v[40:41]
	v_fma_f64 v[36:37], v[59:60], v[36:37], v[53:54]
	s_waitcnt lgkmcnt(1)
	v_fma_f64 v[16:17], v[57:58], v[28:29], v[16:17]
	v_fma_f64 v[28:29], v[59:60], v[28:29], v[55:56]
	ds_read_b128 v[53:56], v46 offset:144
	ds_read2_b64 v[57:60], v21 offset0:64 offset1:80
	s_waitcnt lgkmcnt(2)
	v_fma_f64 v[40:41], v[32:33], v[38:39], v[40:41]
	v_fma_f64 v[36:37], v[34:35], v[38:39], v[36:37]
	v_fma_f64 v[16:17], v[32:33], v[30:31], v[16:17]
	v_fma_f64 v[38:39], v[34:35], v[30:31], v[28:29]
	ds_read_b128 v[28:31], v46 offset:4240
	ds_read2_b64 v[32:35], v21 offset0:96 offset1:112
	s_waitcnt lgkmcnt(2)
	v_fma_f64 v[40:41], v[57:58], v[53:54], v[40:41]
	v_fma_f64 v[53:54], v[59:60], v[53:54], v[36:37]
	s_waitcnt lgkmcnt(1)
	v_fma_f64 v[16:17], v[57:58], v[28:29], v[16:17]
	v_fma_f64 v[28:29], v[59:60], v[28:29], v[38:39]
	ds_read_b128 v[36:39], v46 offset:160
	ds_read2_b64 v[57:60], v21 offset0:128 offset1:144
	s_waitcnt lgkmcnt(2)
	v_fma_f64 v[40:41], v[32:33], v[55:56], v[40:41]
	v_fma_f64 v[53:54], v[34:35], v[55:56], v[53:54]
	v_fma_f64 v[16:17], v[32:33], v[30:31], v[16:17]
	v_fma_f64 v[55:56], v[34:35], v[30:31], v[28:29]
	ds_read_b128 v[28:31], v46 offset:4256
	ds_read2_b64 v[32:35], v21 offset0:160 offset1:176
	s_waitcnt lgkmcnt(2)
	v_fma_f64 v[40:41], v[57:58], v[36:37], v[40:41]
	v_fma_f64 v[36:37], v[59:60], v[36:37], v[53:54]
	s_waitcnt lgkmcnt(1)
	v_fma_f64 v[16:17], v[57:58], v[28:29], v[16:17]
	v_fma_f64 v[28:29], v[59:60], v[28:29], v[55:56]
	ds_read_b128 v[53:56], v46 offset:176
	ds_read2_b64 v[57:60], v21 offset0:192 offset1:208
	s_waitcnt lgkmcnt(2)
	v_fma_f64 v[40:41], v[32:33], v[38:39], v[40:41]
	v_fma_f64 v[36:37], v[34:35], v[38:39], v[36:37]
	;; [unrolled: 1-line block ×4, first 2 shown]
	ds_read_b128 v[28:31], v46 offset:4272
	ds_read2_b64 v[32:35], v21 offset0:224 offset1:240
	v_add_u32_e32 v21, 0x1800, v44
	s_waitcnt lgkmcnt(2)
	v_fma_f64 v[40:41], v[57:58], v[53:54], v[40:41]
	v_fma_f64 v[53:54], v[59:60], v[53:54], v[36:37]
	s_waitcnt lgkmcnt(1)
	v_fma_f64 v[16:17], v[57:58], v[28:29], v[16:17]
	v_fma_f64 v[28:29], v[59:60], v[28:29], v[38:39]
	ds_read_b128 v[36:39], v46 offset:192
	ds_read2_b64 v[57:60], v21 offset1:16
	s_waitcnt lgkmcnt(2)
	v_fma_f64 v[40:41], v[32:33], v[55:56], v[40:41]
	v_fma_f64 v[53:54], v[34:35], v[55:56], v[53:54]
	v_fma_f64 v[16:17], v[32:33], v[30:31], v[16:17]
	v_fma_f64 v[55:56], v[34:35], v[30:31], v[28:29]
	ds_read_b128 v[28:31], v46 offset:4288
	ds_read2_b64 v[32:35], v21 offset0:32 offset1:48
	s_waitcnt lgkmcnt(2)
	v_fma_f64 v[40:41], v[57:58], v[36:37], v[40:41]
	v_fma_f64 v[36:37], v[59:60], v[36:37], v[53:54]
	s_waitcnt lgkmcnt(1)
	v_fma_f64 v[16:17], v[57:58], v[28:29], v[16:17]
	v_fma_f64 v[28:29], v[59:60], v[28:29], v[55:56]
	ds_read_b128 v[53:56], v46 offset:208
	ds_read2_b64 v[57:60], v21 offset0:64 offset1:80
	s_waitcnt lgkmcnt(2)
	v_fma_f64 v[40:41], v[32:33], v[38:39], v[40:41]
	v_fma_f64 v[36:37], v[34:35], v[38:39], v[36:37]
	v_fma_f64 v[16:17], v[32:33], v[30:31], v[16:17]
	v_fma_f64 v[38:39], v[34:35], v[30:31], v[28:29]
	ds_read_b128 v[28:31], v46 offset:4304
	ds_read2_b64 v[32:35], v21 offset0:96 offset1:112
	s_waitcnt lgkmcnt(2)
	v_fma_f64 v[40:41], v[57:58], v[53:54], v[40:41]
	v_fma_f64 v[53:54], v[59:60], v[53:54], v[36:37]
	s_waitcnt lgkmcnt(1)
	v_fma_f64 v[16:17], v[57:58], v[28:29], v[16:17]
	v_fma_f64 v[28:29], v[59:60], v[28:29], v[38:39]
	ds_read_b128 v[36:39], v46 offset:224
	ds_read2_b64 v[57:60], v21 offset0:128 offset1:144
	;; [unrolled: 15-line block ×3, first 2 shown]
	s_waitcnt lgkmcnt(2)
	v_fma_f64 v[40:41], v[32:33], v[38:39], v[40:41]
	v_fma_f64 v[38:39], v[34:35], v[38:39], v[36:37]
	;; [unrolled: 1-line block ×4, first 2 shown]
	ds_read_b128 v[34:37], v46 offset:4336
	s_waitcnt lgkmcnt(1)
	v_fma_f64 v[30:31], v[57:58], v[53:54], v[40:41]
	v_fma_f64 v[32:33], v[59:60], v[53:54], v[38:39]
	s_waitcnt lgkmcnt(0)
	v_fma_f64 v[16:17], v[57:58], v[34:35], v[16:17]
	v_fma_f64 v[28:29], v[59:60], v[34:35], v[28:29]
	ds_read2_b64 v[38:41], v21 offset0:224 offset1:240
	s_waitcnt lgkmcnt(0)
	s_barrier
	v_fma_f64 v[34:35], v[38:39], v[55:56], v[30:31]
	v_fma_f64 v[32:33], v[40:41], v[55:56], v[32:33]
	;; [unrolled: 1-line block ×4, first 2 shown]
	s_cbranch_scc1 .LBB46_43
.LBB46_7:                               ;   Parent Loop BB46_4 Depth=1
                                        ; =>  This Inner Loop Header: Depth=2
	v_mov_b32_e32 v16, s29
	v_add_co_u32_e64 v38, s[10:11], s28, v1
	v_addc_co_u32_e64 v39, s[10:11], 0, v16, s[10:11]
	v_mov_b32_e32 v16, s27
	v_add_co_u32_e64 v36, s[10:11], s26, v42
	v_addc_co_u32_e64 v37, s[10:11], v43, v16, s[10:11]
	v_cmp_le_i64_e64 s[14:15], s[42:43], v[38:39]
	v_cmp_eq_u64_e64 s[10:11], s[28:29], v[6:7]
	v_cmp_gt_i64_e64 s[12:13], v[38:39], v[2:3]
	s_and_b64 s[10:11], s[40:41], s[10:11]
	s_or_b64 s[16:17], s[14:15], s[12:13]
	s_or_b64 s[16:17], s[16:17], s[10:11]
	s_nor_b64 s[16:17], s[0:1], s[16:17]
                                        ; implicit-def: $vgpr40_vgpr41
	s_and_saveexec_b64 s[20:21], s[16:17]
	s_xor_b64 s[16:17], exec, s[20:21]
	s_cbranch_execz .LBB46_9
; %bb.8:                                ;   in Loop: Header=BB46_7 Depth=2
	global_load_dwordx2 v[40:41], v[36:37], off
.LBB46_9:                               ;   in Loop: Header=BB46_7 Depth=2
	s_andn2_saveexec_b64 s[16:17], s[16:17]
	s_cbranch_execz .LBB46_11
; %bb.10:                               ;   in Loop: Header=BB46_7 Depth=2
	v_cndmask_b32_e64 v21, 0, v50, s[10:11]
	s_waitcnt vmcnt(0)
	v_mov_b32_e32 v41, v21
	v_mov_b32_e32 v40, v20
.LBB46_11:                              ;   in Loop: Header=BB46_7 Depth=2
	s_or_b64 exec, exec, s[16:17]
	v_cmp_eq_u64_e64 s[16:17], s[28:29], v[8:9]
	v_cmp_lt_i64_e64 s[20:21], v[4:5], v[38:39]
	s_and_b64 s[16:17], s[40:41], s[16:17]
	s_or_b64 s[14:15], s[14:15], s[20:21]
	s_or_b64 s[14:15], s[14:15], s[16:17]
	s_nor_b64 s[14:15], s[2:3], s[14:15]
	s_waitcnt vmcnt(0)
	ds_write_b64 v45, v[40:41]
	s_and_saveexec_b64 s[20:21], s[14:15]
	s_xor_b64 s[20:21], exec, s[20:21]
	s_cbranch_execz .LBB46_13
; %bb.12:                               ;   in Loop: Header=BB46_7 Depth=2
	v_mov_b32_e32 v16, s27
	v_add_co_u32_e64 v40, s[14:15], s26, v48
	v_addc_co_u32_e64 v41, s[14:15], v49, v16, s[14:15]
	global_load_dwordx2 v[40:41], v[40:41], off
	s_waitcnt vmcnt(0)
	ds_write_b64 v45, v[40:41] offset:128
.LBB46_13:                              ;   in Loop: Header=BB46_7 Depth=2
	s_andn2_saveexec_b64 s[14:15], s[20:21]
	s_cbranch_execz .LBB46_19
; %bb.14:                               ;   in Loop: Header=BB46_7 Depth=2
	s_xor_b64 s[16:17], s[16:17], -1
	s_and_saveexec_b64 s[20:21], s[16:17]
	s_xor_b64 s[16:17], exec, s[20:21]
; %bb.15:                               ;   in Loop: Header=BB46_7 Depth=2
	v_mov_b32_e32 v21, v20
	ds_write_b64 v45, v[20:21] offset:128
; %bb.16:                               ;   in Loop: Header=BB46_7 Depth=2
	s_andn2_saveexec_b64 s[16:17], s[16:17]
; %bb.17:                               ;   in Loop: Header=BB46_7 Depth=2
	v_mov_b32_e32 v21, v50
	ds_write_b64 v45, v[20:21] offset:128
; %bb.18:                               ;   in Loop: Header=BB46_7 Depth=2
	s_or_b64 exec, exec, s[16:17]
.LBB46_19:                              ;   in Loop: Header=BB46_7 Depth=2
	s_or_b64 exec, exec, s[14:15]
	v_add_co_u32_e64 v38, s[14:15], 16, v38
	v_addc_co_u32_e64 v39, s[14:15], 0, v39, s[14:15]
	v_cmp_le_i64_e64 s[14:15], s[42:43], v[38:39]
	v_cmp_eq_u64_e64 s[16:17], s[28:29], v[14:15]
	v_cmp_gt_i64_e64 s[20:21], v[38:39], v[2:3]
	s_and_b64 s[16:17], s[40:41], s[16:17]
	s_or_b64 s[20:21], s[14:15], s[20:21]
	s_or_b64 s[20:21], s[20:21], s[16:17]
	s_nor_b64 s[20:21], s[0:1], s[20:21]
                                        ; implicit-def: $vgpr38_vgpr39
	s_and_saveexec_b64 s[52:53], s[20:21]
	s_xor_b64 s[20:21], exec, s[52:53]
	s_cbranch_execz .LBB46_21
; %bb.20:                               ;   in Loop: Header=BB46_7 Depth=2
	global_load_dwordx2 v[38:39], v[36:37], off offset:128
.LBB46_21:                              ;   in Loop: Header=BB46_7 Depth=2
	s_andn2_saveexec_b64 s[20:21], s[20:21]
	s_cbranch_execz .LBB46_23
; %bb.22:                               ;   in Loop: Header=BB46_7 Depth=2
	v_cndmask_b32_e64 v21, 0, v50, s[16:17]
	s_waitcnt vmcnt(0)
	v_mov_b32_e32 v39, v21
	v_mov_b32_e32 v38, v20
.LBB46_23:                              ;   in Loop: Header=BB46_7 Depth=2
	s_or_b64 exec, exec, s[20:21]
	s_or_b64 s[12:13], s[14:15], s[12:13]
	s_or_b64 s[12:13], s[12:13], s[10:11]
	s_nor_b64 s[12:13], s[2:3], s[12:13]
	s_waitcnt vmcnt(0)
	ds_write_b64 v45, v[38:39] offset:4096
	s_and_saveexec_b64 s[14:15], s[12:13]
	s_xor_b64 s[14:15], exec, s[14:15]
	s_cbranch_execz .LBB46_25
; %bb.24:                               ;   in Loop: Header=BB46_7 Depth=2
	v_mov_b32_e32 v16, s27
	v_add_co_u32_e64 v36, s[12:13], s26, v48
	v_addc_co_u32_e64 v37, s[12:13], v49, v16, s[12:13]
	global_load_dwordx2 v[36:37], v[36:37], off offset:128
	s_waitcnt vmcnt(0)
	ds_write_b64 v45, v[36:37] offset:4224
.LBB46_25:                              ;   in Loop: Header=BB46_7 Depth=2
	s_andn2_saveexec_b64 s[12:13], s[14:15]
	s_cbranch_execz .LBB46_31
; %bb.26:                               ;   in Loop: Header=BB46_7 Depth=2
	s_xor_b64 s[10:11], s[10:11], -1
	s_and_saveexec_b64 s[14:15], s[10:11]
	s_xor_b64 s[10:11], exec, s[14:15]
; %bb.27:                               ;   in Loop: Header=BB46_7 Depth=2
	v_mov_b32_e32 v21, v20
	ds_write_b64 v45, v[20:21] offset:4224
; %bb.28:                               ;   in Loop: Header=BB46_7 Depth=2
	s_andn2_saveexec_b64 s[10:11], s[10:11]
; %bb.29:                               ;   in Loop: Header=BB46_7 Depth=2
	v_mov_b32_e32 v21, v50
	ds_write_b64 v45, v[20:21] offset:4224
; %bb.30:                               ;   in Loop: Header=BB46_7 Depth=2
	s_or_b64 exec, exec, s[10:11]
.LBB46_31:                              ;   in Loop: Header=BB46_7 Depth=2
	s_or_b64 exec, exec, s[12:13]
	v_mov_b32_e32 v16, s29
	v_add_co_u32_e64 v38, s[10:11], s28, v0
	v_addc_co_u32_e64 v39, s[10:11], 0, v16, s[10:11]
	v_mov_b32_e32 v16, s27
	v_add_co_u32_e64 v36, s[10:11], s26, v24
	v_addc_co_u32_e64 v37, s[10:11], v25, v16, s[10:11]
	v_cmp_gt_i64_e64 s[10:11], s[42:43], v[38:39]
	v_mov_b32_e32 v40, 0
	v_mov_b32_e32 v41, 0
	s_and_b64 s[14:15], vcc, s[10:11]
	s_and_saveexec_b64 s[12:13], s[14:15]
	s_cbranch_execz .LBB46_33
; %bb.32:                               ;   in Loop: Header=BB46_7 Depth=2
	global_load_dwordx2 v[40:41], v[36:37], off offset:-128
.LBB46_33:                              ;   in Loop: Header=BB46_7 Depth=2
	s_or_b64 exec, exec, s[12:13]
	v_cmp_gt_i64_e64 s[12:13], s[46:47], v[38:39]
	s_waitcnt vmcnt(0)
	ds_write_b64 v47, v[40:41]
	s_and_b64 s[14:15], vcc, s[12:13]
	s_xor_b64 s[14:15], s[14:15], -1
	s_and_saveexec_b64 s[16:17], s[14:15]
	s_xor_b64 s[14:15], exec, s[16:17]
; %bb.34:                               ;   in Loop: Header=BB46_7 Depth=2
	v_mov_b32_e32 v21, v20
	ds_write_b64 v47, v[20:21] offset:128
                                        ; implicit-def: $vgpr36_vgpr37
; %bb.35:                               ;   in Loop: Header=BB46_7 Depth=2
	s_andn2_saveexec_b64 s[14:15], s[14:15]
	s_cbranch_execz .LBB46_37
; %bb.36:                               ;   in Loop: Header=BB46_7 Depth=2
	global_load_dwordx2 v[36:37], v[36:37], off
	s_waitcnt vmcnt(0)
	ds_write_b64 v47, v[36:37] offset:128
.LBB46_37:                              ;   in Loop: Header=BB46_7 Depth=2
	s_or_b64 exec, exec, s[14:15]
	v_mov_b32_e32 v16, s27
	v_add_co_u32_e64 v36, s[14:15], s26, v26
	v_addc_co_u32_e64 v37, s[14:15], v27, v16, s[14:15]
	v_mov_b32_e32 v38, 0
	v_mov_b32_e32 v39, 0
	s_and_b64 s[14:15], s[8:9], s[10:11]
	s_and_saveexec_b64 s[10:11], s[14:15]
	s_cbranch_execz .LBB46_39
; %bb.38:                               ;   in Loop: Header=BB46_7 Depth=2
	global_load_dwordx2 v[38:39], v[36:37], off
.LBB46_39:                              ;   in Loop: Header=BB46_7 Depth=2
	s_or_b64 exec, exec, s[10:11]
	s_and_b64 s[10:11], s[8:9], s[12:13]
	s_xor_b64 s[10:11], s[10:11], -1
	s_waitcnt vmcnt(0)
	ds_write_b64 v47, v[38:39] offset:4096
	s_and_saveexec_b64 s[12:13], s[10:11]
	s_xor_b64 s[10:11], exec, s[12:13]
; %bb.40:                               ;   in Loop: Header=BB46_7 Depth=2
	v_mov_b32_e32 v21, v20
	ds_write_b64 v47, v[20:21] offset:4224
                                        ; implicit-def: $vgpr36_vgpr37
; %bb.41:                               ;   in Loop: Header=BB46_7 Depth=2
	s_andn2_saveexec_b64 s[10:11], s[10:11]
	s_cbranch_execz .LBB46_6
; %bb.42:                               ;   in Loop: Header=BB46_7 Depth=2
	global_load_dwordx2 v[36:37], v[36:37], off offset:128
	s_waitcnt vmcnt(0)
	ds_write_b64 v47, v[36:37] offset:4224
	s_branch .LBB46_6
.LBB46_43:                              ;   in Loop: Header=BB46_4 Depth=1
	v_mul_lo_u32 v16, s45, v51
	v_mul_lo_u32 v17, s44, v52
	v_mad_u64_u32 v[23:24], s[8:9], s44, v51, 0
	v_cmp_gt_i32_e32 vcc, s30, v51
	v_add3_u32 v24, v24, v17, v16
	v_lshlrev_b64 v[23:24], 3, v[23:24]
	v_mov_b32_e32 v16, s49
	v_add_co_u32_e64 v21, s[8:9], s48, v23
	v_addc_co_u32_e64 v23, s[8:9], v16, v24, s[8:9]
	s_and_b64 s[8:9], s[4:5], vcc
	s_and_saveexec_b64 s[10:11], s[8:9]
	s_cbranch_execz .LBB46_45
; %bb.44:                               ;   in Loop: Header=BB46_4 Depth=1
	v_add_co_u32_e64 v16, s[8:9], v21, v10
	v_addc_co_u32_e64 v17, s[8:9], v23, v11, s[8:9]
	global_load_dwordx2 v[24:25], v[16:17], off
	s_waitcnt vmcnt(0)
	v_fma_f64 v[24:25], s[34:35], v[34:35], v[24:25]
	global_store_dwordx2 v[16:17], v[24:25], off
.LBB46_45:                              ;   in Loop: Header=BB46_4 Depth=1
	s_or_b64 exec, exec, s[10:11]
	s_and_b64 s[10:11], s[18:19], vcc
	s_and_saveexec_b64 s[8:9], s[10:11]
	s_cbranch_execz .LBB46_47
; %bb.46:                               ;   in Loop: Header=BB46_4 Depth=1
	v_add_co_u32_e32 v16, vcc, v21, v18
	v_addc_co_u32_e32 v17, vcc, v23, v19, vcc
	global_load_dwordx2 v[23:24], v[16:17], off
	s_waitcnt vmcnt(0)
	v_fma_f64 v[23:24], s[34:35], v[32:33], v[23:24]
	global_store_dwordx2 v[16:17], v[23:24], off
.LBB46_47:                              ;   in Loop: Header=BB46_4 Depth=1
	s_or_b64 exec, exec, s[8:9]
	v_add_u32_e32 v21, 16, v51
	v_ashrrev_i32_e32 v16, 31, v21
	v_mul_lo_u32 v23, s44, v16
	v_mul_lo_u32 v24, s45, v21
	v_mad_u64_u32 v[16:17], s[8:9], s44, v21, 0
	v_cmp_gt_i32_e32 vcc, s30, v21
	v_add3_u32 v17, v17, v23, v24
	v_lshlrev_b64 v[16:17], 3, v[16:17]
	v_mov_b32_e32 v23, s49
	v_add_co_u32_e64 v21, s[8:9], s48, v16
	v_addc_co_u32_e64 v23, s[8:9], v23, v17, s[8:9]
	s_and_b64 s[8:9], s[4:5], vcc
	s_and_saveexec_b64 s[10:11], s[8:9]
	s_cbranch_execz .LBB46_49
; %bb.48:                               ;   in Loop: Header=BB46_4 Depth=1
	v_add_co_u32_e64 v16, s[8:9], v21, v10
	v_addc_co_u32_e64 v17, s[8:9], v23, v11, s[8:9]
	global_load_dwordx2 v[24:25], v[16:17], off
	s_waitcnt vmcnt(0)
	v_fma_f64 v[24:25], s[34:35], v[30:31], v[24:25]
	global_store_dwordx2 v[16:17], v[24:25], off
.LBB46_49:                              ;   in Loop: Header=BB46_4 Depth=1
	s_or_b64 exec, exec, s[10:11]
	s_and_b64 s[10:11], s[18:19], vcc
	s_and_saveexec_b64 s[8:9], s[10:11]
	s_cbranch_execz .LBB46_3
; %bb.50:                               ;   in Loop: Header=BB46_4 Depth=1
	v_add_co_u32_e32 v16, vcc, v21, v18
	v_addc_co_u32_e32 v17, vcc, v23, v19, vcc
	global_load_dwordx2 v[23:24], v[16:17], off
	s_waitcnt vmcnt(0)
	v_fma_f64 v[23:24], s[34:35], v[28:29], v[23:24]
	global_store_dwordx2 v[16:17], v[23:24], off
	s_branch .LBB46_3
.LBB46_51:
	s_endpgm
	.section	.rodata,"a",@progbits
	.p2align	6, 0x0
	.amdhsa_kernel _ZL30rocblas_trmm_outofplace_kernelIdLi32ELi2ELb1ELb1ELb1ELb1EPKdS0_dEv17rocblas_diagonal_iiT6_lPT7_lllS5_lllPT8_llli
		.amdhsa_group_segment_fixed_size 16384
		.amdhsa_private_segment_fixed_size 12
		.amdhsa_kernarg_size 392
		.amdhsa_user_sgpr_count 6
		.amdhsa_user_sgpr_private_segment_buffer 1
		.amdhsa_user_sgpr_dispatch_ptr 0
		.amdhsa_user_sgpr_queue_ptr 0
		.amdhsa_user_sgpr_kernarg_segment_ptr 1
		.amdhsa_user_sgpr_dispatch_id 0
		.amdhsa_user_sgpr_flat_scratch_init 0
		.amdhsa_user_sgpr_private_segment_size 0
		.amdhsa_uses_dynamic_stack 0
		.amdhsa_system_sgpr_private_segment_wavefront_offset 1
		.amdhsa_system_sgpr_workgroup_id_x 1
		.amdhsa_system_sgpr_workgroup_id_y 1
		.amdhsa_system_sgpr_workgroup_id_z 1
		.amdhsa_system_sgpr_workgroup_info 0
		.amdhsa_system_vgpr_workitem_id 1
		.amdhsa_next_free_vgpr 63
		.amdhsa_next_free_sgpr 61
		.amdhsa_reserve_vcc 1
		.amdhsa_reserve_flat_scratch 0
		.amdhsa_float_round_mode_32 0
		.amdhsa_float_round_mode_16_64 0
		.amdhsa_float_denorm_mode_32 3
		.amdhsa_float_denorm_mode_16_64 3
		.amdhsa_dx10_clamp 1
		.amdhsa_ieee_mode 1
		.amdhsa_fp16_overflow 0
		.amdhsa_exception_fp_ieee_invalid_op 0
		.amdhsa_exception_fp_denorm_src 0
		.amdhsa_exception_fp_ieee_div_zero 0
		.amdhsa_exception_fp_ieee_overflow 0
		.amdhsa_exception_fp_ieee_underflow 0
		.amdhsa_exception_fp_ieee_inexact 0
		.amdhsa_exception_int_div_zero 0
	.end_amdhsa_kernel
	.section	.text._ZL30rocblas_trmm_outofplace_kernelIdLi32ELi2ELb1ELb1ELb1ELb1EPKdS0_dEv17rocblas_diagonal_iiT6_lPT7_lllS5_lllPT8_llli,"axG",@progbits,_ZL30rocblas_trmm_outofplace_kernelIdLi32ELi2ELb1ELb1ELb1ELb1EPKdS0_dEv17rocblas_diagonal_iiT6_lPT7_lllS5_lllPT8_llli,comdat
.Lfunc_end46:
	.size	_ZL30rocblas_trmm_outofplace_kernelIdLi32ELi2ELb1ELb1ELb1ELb1EPKdS0_dEv17rocblas_diagonal_iiT6_lPT7_lllS5_lllPT8_llli, .Lfunc_end46-_ZL30rocblas_trmm_outofplace_kernelIdLi32ELi2ELb1ELb1ELb1ELb1EPKdS0_dEv17rocblas_diagonal_iiT6_lPT7_lllS5_lllPT8_llli
                                        ; -- End function
	.set _ZL30rocblas_trmm_outofplace_kernelIdLi32ELi2ELb1ELb1ELb1ELb1EPKdS0_dEv17rocblas_diagonal_iiT6_lPT7_lllS5_lllPT8_llli.num_vgpr, 63
	.set _ZL30rocblas_trmm_outofplace_kernelIdLi32ELi2ELb1ELb1ELb1ELb1EPKdS0_dEv17rocblas_diagonal_iiT6_lPT7_lllS5_lllPT8_llli.num_agpr, 0
	.set _ZL30rocblas_trmm_outofplace_kernelIdLi32ELi2ELb1ELb1ELb1ELb1EPKdS0_dEv17rocblas_diagonal_iiT6_lPT7_lllS5_lllPT8_llli.numbered_sgpr, 60
	.set _ZL30rocblas_trmm_outofplace_kernelIdLi32ELi2ELb1ELb1ELb1ELb1EPKdS0_dEv17rocblas_diagonal_iiT6_lPT7_lllS5_lllPT8_llli.num_named_barrier, 0
	.set _ZL30rocblas_trmm_outofplace_kernelIdLi32ELi2ELb1ELb1ELb1ELb1EPKdS0_dEv17rocblas_diagonal_iiT6_lPT7_lllS5_lllPT8_llli.private_seg_size, 12
	.set _ZL30rocblas_trmm_outofplace_kernelIdLi32ELi2ELb1ELb1ELb1ELb1EPKdS0_dEv17rocblas_diagonal_iiT6_lPT7_lllS5_lllPT8_llli.uses_vcc, 1
	.set _ZL30rocblas_trmm_outofplace_kernelIdLi32ELi2ELb1ELb1ELb1ELb1EPKdS0_dEv17rocblas_diagonal_iiT6_lPT7_lllS5_lllPT8_llli.uses_flat_scratch, 0
	.set _ZL30rocblas_trmm_outofplace_kernelIdLi32ELi2ELb1ELb1ELb1ELb1EPKdS0_dEv17rocblas_diagonal_iiT6_lPT7_lllS5_lllPT8_llli.has_dyn_sized_stack, 0
	.set _ZL30rocblas_trmm_outofplace_kernelIdLi32ELi2ELb1ELb1ELb1ELb1EPKdS0_dEv17rocblas_diagonal_iiT6_lPT7_lllS5_lllPT8_llli.has_recursion, 0
	.set _ZL30rocblas_trmm_outofplace_kernelIdLi32ELi2ELb1ELb1ELb1ELb1EPKdS0_dEv17rocblas_diagonal_iiT6_lPT7_lllS5_lllPT8_llli.has_indirect_call, 0
	.section	.AMDGPU.csdata,"",@progbits
; Kernel info:
; codeLenInByte = 3872
; TotalNumSgprs: 64
; NumVgprs: 63
; ScratchSize: 12
; MemoryBound: 0
; FloatMode: 240
; IeeeMode: 1
; LDSByteSize: 16384 bytes/workgroup (compile time only)
; SGPRBlocks: 8
; VGPRBlocks: 15
; NumSGPRsForWavesPerEU: 65
; NumVGPRsForWavesPerEU: 63
; Occupancy: 4
; WaveLimiterHint : 0
; COMPUTE_PGM_RSRC2:SCRATCH_EN: 1
; COMPUTE_PGM_RSRC2:USER_SGPR: 6
; COMPUTE_PGM_RSRC2:TRAP_HANDLER: 0
; COMPUTE_PGM_RSRC2:TGID_X_EN: 1
; COMPUTE_PGM_RSRC2:TGID_Y_EN: 1
; COMPUTE_PGM_RSRC2:TGID_Z_EN: 1
; COMPUTE_PGM_RSRC2:TIDIG_COMP_CNT: 1
	.section	.text._ZL30rocblas_trmm_outofplace_kernelIdLi32ELi2ELb1ELb1ELb1ELb1EdKddEv17rocblas_diagonal_iiT6_lPT7_lllS4_lllPT8_llli,"axG",@progbits,_ZL30rocblas_trmm_outofplace_kernelIdLi32ELi2ELb1ELb1ELb1ELb1EdKddEv17rocblas_diagonal_iiT6_lPT7_lllS4_lllPT8_llli,comdat
	.globl	_ZL30rocblas_trmm_outofplace_kernelIdLi32ELi2ELb1ELb1ELb1ELb1EdKddEv17rocblas_diagonal_iiT6_lPT7_lllS4_lllPT8_llli ; -- Begin function _ZL30rocblas_trmm_outofplace_kernelIdLi32ELi2ELb1ELb1ELb1ELb1EdKddEv17rocblas_diagonal_iiT6_lPT7_lllS4_lllPT8_llli
	.p2align	8
	.type	_ZL30rocblas_trmm_outofplace_kernelIdLi32ELi2ELb1ELb1ELb1ELb1EdKddEv17rocblas_diagonal_iiT6_lPT7_lllS4_lllPT8_llli,@function
_ZL30rocblas_trmm_outofplace_kernelIdLi32ELi2ELb1ELb1ELb1ELb1EdKddEv17rocblas_diagonal_iiT6_lPT7_lllS4_lllPT8_llli: ; @_ZL30rocblas_trmm_outofplace_kernelIdLi32ELi2ELb1ELb1ELb1ELb1EdKddEv17rocblas_diagonal_iiT6_lPT7_lllS4_lllPT8_llli
; %bb.0:
	s_load_dwordx2 s[34:35], s[4:5], 0x10
	s_mov_b64 s[54:55], s[2:3]
	s_mov_b64 s[52:53], s[0:1]
	s_add_u32 s52, s52, s9
	s_addc_u32 s53, s53, 0
	s_waitcnt lgkmcnt(0)
	v_cmp_eq_f64_e64 s[0:1], s[34:35], 0
	s_and_b64 vcc, exec, s[0:1]
	s_cbranch_vccnz .LBB47_51
; %bb.1:
	s_load_dwordx4 s[28:31], s[4:5], 0x0
	s_waitcnt lgkmcnt(0)
	s_add_i32 s0, s30, -1
	s_ashr_i32 s1, s0, 31
	s_lshr_b32 s1, s1, 27
	s_add_i32 s0, s0, s1
	s_ashr_i32 s31, s0, 5
	s_cmp_gt_i32 s7, s31
	s_cbranch_scc1 .LBB47_51
; %bb.2:
	s_load_dwordx16 s[12:27], s[4:5], 0x20
	s_load_dwordx8 s[36:43], s[4:5], 0x60
	v_lshlrev_b32_e32 v20, 3, v1
	s_load_dword s48, s[4:5], 0x8c
	v_lshlrev_b32_e32 v44, 3, v0
	s_waitcnt lgkmcnt(0)
	s_mul_i32 s1, s19, s8
	s_mul_hi_u32 s2, s18, s8
	s_mul_i32 s0, s18, s8
	s_add_i32 s1, s2, s1
	s_lshl_b64 s[10:11], s[0:1], 3
	s_add_u32 s0, s12, s10
	s_addc_u32 s1, s13, s11
	s_lshl_b64 s[14:15], s[14:15], 3
	s_add_u32 s2, s0, s14
	s_addc_u32 s3, s1, s15
	s_mul_i32 s0, s43, s8
	s_mul_hi_u32 s1, s42, s8
	s_add_i32 s1, s1, s0
	s_mul_i32 s0, s42, s8
	s_lshl_b64 s[0:1], s[0:1], 3
	s_add_u32 s9, s36, s0
	s_addc_u32 s18, s37, s1
	s_lshl_b64 s[0:1], s[38:39], 3
	s_add_u32 s33, s9, s0
	s_addc_u32 s46, s18, s1
	s_lshl_b32 s47, s6, 5
	v_add_u32_e32 v2, s47, v0
	v_ashrrev_i32_e32 v3, 31, v2
	v_mul_lo_u32 v6, s16, v3
	v_mul_lo_u32 v7, s17, v2
	v_mad_u64_u32 v[4:5], s[0:1], s16, v2, 0
	s_cmp_gt_i32 s6, -1
	s_cselect_b64 s[36:37], -1, 0
	v_add3_u32 v5, v5, v6, v7
	v_lshlrev_b64 v[4:5], 3, v[4:5]
	s_cmpk_eq_i32 s28, 0x84
	v_mov_b32_e32 v6, s3
	v_add_co_u32_e32 v4, vcc, s2, v4
	s_cselect_b64 s[38:39], -1, 0
	s_ashr_i32 s43, s29, 31
	s_ashr_i32 s6, s30, 31
	v_addc_co_u32_e32 v5, vcc, v6, v5, vcc
	s_add_u32 s44, s29, -16
	s_mul_i32 s9, s27, s8
	s_mul_hi_u32 s27, s26, s8
	v_add_co_u32_e32 v42, vcc, v4, v20
	s_addc_u32 s45, s43, -1
	s_add_i32 s9, s27, s9
	s_mul_i32 s8, s26, s8
	v_addc_co_u32_e32 v43, vcc, 0, v5, vcc
	v_lshlrev_b32_e32 v4, 8, v1
	s_lshl_b64 s[8:9], s[8:9], 3
	s_lshl_b64 s[22:23], s[22:23], 3
	v_add_u32_e32 v45, v44, v4
	v_add_u32_e32 v46, 0x2000, v4
	v_add_co_u32_e32 v4, vcc, 16, v2
	s_add_u32 s8, s8, s22
	v_addc_co_u32_e32 v5, vcc, 0, v3, vcc
	s_addc_u32 s9, s9, s23
	v_sub_co_u32_e32 v6, vcc, v2, v1
	s_add_u32 s20, s20, s8
	v_subbrev_co_u32_e32 v7, vcc, 0, v3, vcc
	s_addc_u32 s8, s21, s9
	s_lshl_b64 s[22:23], s[24:25], 3
	s_lshl_b32 s49, s48, 5
	v_add_co_u32_e32 v8, vcc, 16, v6
	v_mov_b32_e32 v14, s8
	v_lshlrev_b64 v[10:11], 3, v[2:3]
	s_add_u32 s8, s14, s10
	v_addc_co_u32_e32 v9, vcc, 0, v7, vcc
	s_movk_i32 s21, 0x80
	s_addc_u32 s9, s15, s11
	v_add_co_u32_e32 v15, vcc, s21, v10
	v_mov_b32_e32 v13, s9
	v_addc_co_u32_e32 v21, vcc, 0, v11, vcc
	v_mov_b32_e32 v12, s8
	v_mad_u64_u32 v[16:17], s[8:9], s16, v15, v[12:13]
	v_mul_lo_u32 v21, s16, v21
	v_mul_lo_u32 v15, s17, v15
	v_add_co_u32_e32 v12, vcc, s20, v44
	v_addc_co_u32_e32 v13, vcc, 0, v14, vcc
	v_add_co_u32_e32 v14, vcc, -16, v6
	v_add3_u32 v17, v15, v17, v21
	v_addc_co_u32_e32 v15, vcc, -1, v7, vcc
	v_add_co_u32_e32 v16, vcc, v16, v20
	v_addc_co_u32_e32 v17, vcc, 0, v17, vcc
	v_add_u32_e32 v18, 16, v2
	v_mov_b32_e32 v20, s13
	v_add_co_u32_e32 v48, vcc, s12, v16
	s_mov_b32 s42, s29
	v_ashrrev_i32_e32 v19, 31, v18
	v_addc_co_u32_e32 v49, vcc, v20, v17, vcc
	v_cmp_le_i64_e64 s[2:3], s[42:43], v[4:5]
	v_cmp_gt_i32_e64 s[18:19], s29, v18
	v_add_co_u32_e32 v16, vcc, s21, v12
	v_lshlrev_b64 v[18:19], 3, v[18:19]
	v_add_u32_e32 v47, v46, v44
	v_cmp_le_i32_e64 s[0:1], s29, v2
	v_cmp_gt_i32_e64 s[4:5], s29, v2
	v_addc_co_u32_e32 v17, vcc, 0, v13, vcc
	v_mov_b32_e32 v50, 0x3ff00000
	v_mov_b32_e32 v20, 0
	v_lshl_add_u32 v22, s7, 5, v1
	buffer_store_dword v16, off, s[52:55], 0 ; 4-byte Folded Spill
	s_nop 0
	buffer_store_dword v17, off, s[52:55], 0 offset:4 ; 4-byte Folded Spill
	s_branch .LBB47_4
.LBB47_3:                               ;   in Loop: Header=BB47_4 Depth=1
	s_or_b64 exec, exec, s[8:9]
	s_add_i32 s7, s48, s7
	s_cmp_le_i32 s7, s31
	v_add_u32_e32 v22, s49, v22
	s_cbranch_scc0 .LBB47_51
.LBB47_4:                               ; =>This Loop Header: Depth=1
                                        ;     Child Loop BB47_7 Depth 2
	v_lshl_add_u32 v51, s7, 5, v1
	v_mov_b32_e32 v34, 0
	v_mov_b32_e32 v32, 0
	;; [unrolled: 1-line block ×5, first 2 shown]
	s_andn2_b64 vcc, exec, s[36:37]
	v_mov_b32_e32 v33, 0
	v_mov_b32_e32 v31, 0
	;; [unrolled: 1-line block ×3, first 2 shown]
	v_ashrrev_i32_e32 v52, 31, v51
	s_cbranch_vccnz .LBB47_43
; %bb.5:                                ;   in Loop: Header=BB47_4 Depth=1
	buffer_load_dword v16, off, s[52:55], 0 ; 4-byte Folded Reload
	buffer_load_dword v17, off, s[52:55], 0 offset:4 ; 4-byte Folded Reload
	v_ashrrev_i32_e32 v23, 31, v22
	v_lshlrev_b64 v[26:27], 3, v[22:23]
	v_mov_b32_e32 v30, 0
	v_add_co_u32_e32 v21, vcc, 0x80, v26
	v_mul_lo_u32 v28, s25, v21
	v_mov_b32_e32 v32, 0
	v_mov_b32_e32 v34, 0
	s_mov_b64 s[26:27], 0
	v_mov_b32_e32 v31, 0
	v_mov_b32_e32 v33, 0
	;; [unrolled: 1-line block ×3, first 2 shown]
	s_mov_b64 s[28:29], 0
	s_waitcnt vmcnt(0)
	v_mad_u64_u32 v[24:25], s[8:9], s22, v22, v[16:17]
	v_mul_lo_u32 v17, s22, v23
	v_addc_co_u32_e32 v23, vcc, 0, v27, vcc
	v_mul_lo_u32 v16, s23, v22
	v_mul_lo_u32 v23, s24, v23
	v_mad_u64_u32 v[26:27], s[8:9], s24, v21, v[12:13]
	v_add3_u32 v25, v16, v25, v17
	v_mov_b32_e32 v16, s6
	v_add3_u32 v27, v28, v27, v23
	v_sub_co_u32_e32 v28, vcc, s30, v51
	v_subb_co_u32_e32 v29, vcc, v16, v52, vcc
	v_cmp_lt_i64_e32 vcc, 0, v[28:29]
	v_cmp_lt_i64_e64 s[8:9], 16, v[28:29]
	v_mov_b32_e32 v28, 0
	v_mov_b32_e32 v29, 0
	s_branch .LBB47_7
.LBB47_6:                               ;   in Loop: Header=BB47_7 Depth=2
	s_or_b64 exec, exec, s[10:11]
	s_waitcnt lgkmcnt(0)
	s_barrier
	ds_read_b128 v[36:39], v46
	ds_read2_b64 v[53:56], v44 offset1:16
	ds_read_b128 v[57:60], v46 offset:4096
	v_add_u32_e32 v21, 0x800, v44
	s_add_u32 s28, s28, 32
	s_addc_u32 s29, s29, 0
	s_waitcnt lgkmcnt(1)
	v_fma_f64 v[40:41], v[53:54], v[36:37], v[34:35]
	v_fma_f64 v[61:62], v[55:56], v[36:37], v[32:33]
	s_waitcnt lgkmcnt(0)
	v_fma_f64 v[16:17], v[53:54], v[57:58], v[30:31]
	v_fma_f64 v[28:29], v[55:56], v[57:58], v[28:29]
	ds_read2_b64 v[30:33], v44 offset0:32 offset1:48
	ds_read_b128 v[34:37], v46 offset:16
	ds_read2_b64 v[53:56], v44 offset0:64 offset1:80
	s_sub_i32 s10, s28, 32
	s_add_u32 s26, s26, 0x100
	s_addc_u32 s27, s27, 0
	s_waitcnt lgkmcnt(2)
	v_fma_f64 v[57:58], v[30:31], v[38:39], v[40:41]
	v_fma_f64 v[61:62], v[32:33], v[38:39], v[61:62]
	;; [unrolled: 1-line block ×4, first 2 shown]
	ds_read_b128 v[28:31], v46 offset:4112
	ds_read2_b64 v[38:41], v44 offset0:96 offset1:112
	s_cmp_ge_i32 s10, s47
	s_waitcnt lgkmcnt(2)
	v_fma_f64 v[57:58], v[53:54], v[34:35], v[57:58]
	v_fma_f64 v[59:60], v[55:56], v[34:35], v[61:62]
	s_waitcnt lgkmcnt(1)
	v_fma_f64 v[16:17], v[53:54], v[28:29], v[16:17]
	v_fma_f64 v[28:29], v[55:56], v[28:29], v[32:33]
	ds_read_b128 v[32:35], v46 offset:32
	ds_read2_b64 v[53:56], v44 offset0:128 offset1:144
	s_waitcnt lgkmcnt(2)
	v_fma_f64 v[57:58], v[38:39], v[36:37], v[57:58]
	v_fma_f64 v[59:60], v[40:41], v[36:37], v[59:60]
	;; [unrolled: 1-line block ×4, first 2 shown]
	ds_read_b128 v[28:31], v46 offset:4128
	ds_read2_b64 v[36:39], v44 offset0:160 offset1:176
	s_waitcnt lgkmcnt(2)
	v_fma_f64 v[61:62], v[53:54], v[32:33], v[57:58]
	v_fma_f64 v[32:33], v[55:56], v[32:33], v[59:60]
	s_waitcnt lgkmcnt(1)
	v_fma_f64 v[16:17], v[53:54], v[28:29], v[16:17]
	v_fma_f64 v[28:29], v[55:56], v[28:29], v[40:41]
	ds_read_b128 v[53:56], v46 offset:48
	ds_read2_b64 v[57:60], v44 offset0:192 offset1:208
	s_waitcnt lgkmcnt(2)
	v_fma_f64 v[40:41], v[36:37], v[34:35], v[61:62]
	v_fma_f64 v[61:62], v[38:39], v[34:35], v[32:33]
	;; [unrolled: 1-line block ×4, first 2 shown]
	ds_read_b128 v[28:31], v46 offset:4144
	ds_read2_b64 v[32:35], v44 offset0:224 offset1:240
	s_waitcnt lgkmcnt(2)
	v_fma_f64 v[40:41], v[57:58], v[53:54], v[40:41]
	v_fma_f64 v[53:54], v[59:60], v[53:54], v[61:62]
	s_waitcnt lgkmcnt(1)
	v_fma_f64 v[16:17], v[57:58], v[28:29], v[16:17]
	v_fma_f64 v[28:29], v[59:60], v[28:29], v[36:37]
	ds_read_b128 v[36:39], v46 offset:64
	ds_read2_b64 v[57:60], v21 offset1:16
	s_waitcnt lgkmcnt(2)
	v_fma_f64 v[40:41], v[32:33], v[55:56], v[40:41]
	v_fma_f64 v[53:54], v[34:35], v[55:56], v[53:54]
	v_fma_f64 v[16:17], v[32:33], v[30:31], v[16:17]
	v_fma_f64 v[55:56], v[34:35], v[30:31], v[28:29]
	ds_read_b128 v[28:31], v46 offset:4160
	ds_read2_b64 v[32:35], v21 offset0:32 offset1:48
	s_waitcnt lgkmcnt(2)
	v_fma_f64 v[40:41], v[57:58], v[36:37], v[40:41]
	v_fma_f64 v[36:37], v[59:60], v[36:37], v[53:54]
	s_waitcnt lgkmcnt(1)
	v_fma_f64 v[16:17], v[57:58], v[28:29], v[16:17]
	v_fma_f64 v[28:29], v[59:60], v[28:29], v[55:56]
	ds_read_b128 v[53:56], v46 offset:80
	ds_read2_b64 v[57:60], v21 offset0:64 offset1:80
	s_waitcnt lgkmcnt(2)
	v_fma_f64 v[40:41], v[32:33], v[38:39], v[40:41]
	v_fma_f64 v[36:37], v[34:35], v[38:39], v[36:37]
	v_fma_f64 v[16:17], v[32:33], v[30:31], v[16:17]
	v_fma_f64 v[38:39], v[34:35], v[30:31], v[28:29]
	ds_read_b128 v[28:31], v46 offset:4176
	ds_read2_b64 v[32:35], v21 offset0:96 offset1:112
	s_waitcnt lgkmcnt(2)
	v_fma_f64 v[40:41], v[57:58], v[53:54], v[40:41]
	v_fma_f64 v[53:54], v[59:60], v[53:54], v[36:37]
	s_waitcnt lgkmcnt(1)
	v_fma_f64 v[16:17], v[57:58], v[28:29], v[16:17]
	v_fma_f64 v[28:29], v[59:60], v[28:29], v[38:39]
	ds_read_b128 v[36:39], v46 offset:96
	ds_read2_b64 v[57:60], v21 offset0:128 offset1:144
	;; [unrolled: 15-line block ×3, first 2 shown]
	s_waitcnt lgkmcnt(2)
	v_fma_f64 v[40:41], v[32:33], v[38:39], v[40:41]
	v_fma_f64 v[36:37], v[34:35], v[38:39], v[36:37]
	;; [unrolled: 1-line block ×4, first 2 shown]
	ds_read_b128 v[28:31], v46 offset:4208
	ds_read2_b64 v[32:35], v21 offset0:224 offset1:240
	v_add_u32_e32 v21, 0x1000, v44
	s_waitcnt lgkmcnt(2)
	v_fma_f64 v[40:41], v[57:58], v[53:54], v[40:41]
	v_fma_f64 v[53:54], v[59:60], v[53:54], v[36:37]
	s_waitcnt lgkmcnt(1)
	v_fma_f64 v[16:17], v[57:58], v[28:29], v[16:17]
	v_fma_f64 v[28:29], v[59:60], v[28:29], v[38:39]
	ds_read_b128 v[36:39], v46 offset:128
	ds_read2_b64 v[57:60], v21 offset1:16
	s_waitcnt lgkmcnt(2)
	v_fma_f64 v[40:41], v[32:33], v[55:56], v[40:41]
	v_fma_f64 v[53:54], v[34:35], v[55:56], v[53:54]
	v_fma_f64 v[16:17], v[32:33], v[30:31], v[16:17]
	v_fma_f64 v[55:56], v[34:35], v[30:31], v[28:29]
	ds_read_b128 v[28:31], v46 offset:4224
	ds_read2_b64 v[32:35], v21 offset0:32 offset1:48
	s_waitcnt lgkmcnt(2)
	v_fma_f64 v[40:41], v[57:58], v[36:37], v[40:41]
	v_fma_f64 v[36:37], v[59:60], v[36:37], v[53:54]
	s_waitcnt lgkmcnt(1)
	v_fma_f64 v[16:17], v[57:58], v[28:29], v[16:17]
	v_fma_f64 v[28:29], v[59:60], v[28:29], v[55:56]
	ds_read_b128 v[53:56], v46 offset:144
	ds_read2_b64 v[57:60], v21 offset0:64 offset1:80
	s_waitcnt lgkmcnt(2)
	v_fma_f64 v[40:41], v[32:33], v[38:39], v[40:41]
	v_fma_f64 v[36:37], v[34:35], v[38:39], v[36:37]
	v_fma_f64 v[16:17], v[32:33], v[30:31], v[16:17]
	v_fma_f64 v[38:39], v[34:35], v[30:31], v[28:29]
	ds_read_b128 v[28:31], v46 offset:4240
	ds_read2_b64 v[32:35], v21 offset0:96 offset1:112
	s_waitcnt lgkmcnt(2)
	v_fma_f64 v[40:41], v[57:58], v[53:54], v[40:41]
	v_fma_f64 v[53:54], v[59:60], v[53:54], v[36:37]
	s_waitcnt lgkmcnt(1)
	v_fma_f64 v[16:17], v[57:58], v[28:29], v[16:17]
	v_fma_f64 v[28:29], v[59:60], v[28:29], v[38:39]
	ds_read_b128 v[36:39], v46 offset:160
	ds_read2_b64 v[57:60], v21 offset0:128 offset1:144
	;; [unrolled: 15-line block ×3, first 2 shown]
	s_waitcnt lgkmcnt(2)
	v_fma_f64 v[40:41], v[32:33], v[38:39], v[40:41]
	v_fma_f64 v[36:37], v[34:35], v[38:39], v[36:37]
	;; [unrolled: 1-line block ×4, first 2 shown]
	ds_read_b128 v[28:31], v46 offset:4272
	ds_read2_b64 v[32:35], v21 offset0:224 offset1:240
	v_add_u32_e32 v21, 0x1800, v44
	s_waitcnt lgkmcnt(2)
	v_fma_f64 v[40:41], v[57:58], v[53:54], v[40:41]
	v_fma_f64 v[53:54], v[59:60], v[53:54], v[36:37]
	s_waitcnt lgkmcnt(1)
	v_fma_f64 v[16:17], v[57:58], v[28:29], v[16:17]
	v_fma_f64 v[28:29], v[59:60], v[28:29], v[38:39]
	ds_read_b128 v[36:39], v46 offset:192
	ds_read2_b64 v[57:60], v21 offset1:16
	s_waitcnt lgkmcnt(2)
	v_fma_f64 v[40:41], v[32:33], v[55:56], v[40:41]
	v_fma_f64 v[53:54], v[34:35], v[55:56], v[53:54]
	v_fma_f64 v[16:17], v[32:33], v[30:31], v[16:17]
	v_fma_f64 v[55:56], v[34:35], v[30:31], v[28:29]
	ds_read_b128 v[28:31], v46 offset:4288
	ds_read2_b64 v[32:35], v21 offset0:32 offset1:48
	s_waitcnt lgkmcnt(2)
	v_fma_f64 v[40:41], v[57:58], v[36:37], v[40:41]
	v_fma_f64 v[36:37], v[59:60], v[36:37], v[53:54]
	s_waitcnt lgkmcnt(1)
	v_fma_f64 v[16:17], v[57:58], v[28:29], v[16:17]
	v_fma_f64 v[28:29], v[59:60], v[28:29], v[55:56]
	ds_read_b128 v[53:56], v46 offset:208
	ds_read2_b64 v[57:60], v21 offset0:64 offset1:80
	s_waitcnt lgkmcnt(2)
	v_fma_f64 v[40:41], v[32:33], v[38:39], v[40:41]
	v_fma_f64 v[36:37], v[34:35], v[38:39], v[36:37]
	v_fma_f64 v[16:17], v[32:33], v[30:31], v[16:17]
	v_fma_f64 v[38:39], v[34:35], v[30:31], v[28:29]
	ds_read_b128 v[28:31], v46 offset:4304
	ds_read2_b64 v[32:35], v21 offset0:96 offset1:112
	s_waitcnt lgkmcnt(2)
	v_fma_f64 v[40:41], v[57:58], v[53:54], v[40:41]
	v_fma_f64 v[53:54], v[59:60], v[53:54], v[36:37]
	s_waitcnt lgkmcnt(1)
	v_fma_f64 v[16:17], v[57:58], v[28:29], v[16:17]
	v_fma_f64 v[28:29], v[59:60], v[28:29], v[38:39]
	ds_read_b128 v[36:39], v46 offset:224
	ds_read2_b64 v[57:60], v21 offset0:128 offset1:144
	;; [unrolled: 15-line block ×3, first 2 shown]
	s_waitcnt lgkmcnt(2)
	v_fma_f64 v[40:41], v[32:33], v[38:39], v[40:41]
	v_fma_f64 v[38:39], v[34:35], v[38:39], v[36:37]
	;; [unrolled: 1-line block ×4, first 2 shown]
	ds_read_b128 v[34:37], v46 offset:4336
	s_waitcnt lgkmcnt(1)
	v_fma_f64 v[30:31], v[57:58], v[53:54], v[40:41]
	v_fma_f64 v[32:33], v[59:60], v[53:54], v[38:39]
	s_waitcnt lgkmcnt(0)
	v_fma_f64 v[16:17], v[57:58], v[34:35], v[16:17]
	v_fma_f64 v[28:29], v[59:60], v[34:35], v[28:29]
	ds_read2_b64 v[38:41], v21 offset0:224 offset1:240
	s_waitcnt lgkmcnt(0)
	s_barrier
	v_fma_f64 v[34:35], v[38:39], v[55:56], v[30:31]
	v_fma_f64 v[32:33], v[40:41], v[55:56], v[32:33]
	;; [unrolled: 1-line block ×4, first 2 shown]
	s_cbranch_scc1 .LBB47_43
.LBB47_7:                               ;   Parent Loop BB47_4 Depth=1
                                        ; =>  This Inner Loop Header: Depth=2
	v_mov_b32_e32 v16, s29
	v_add_co_u32_e64 v38, s[10:11], s28, v1
	v_addc_co_u32_e64 v39, s[10:11], 0, v16, s[10:11]
	v_mov_b32_e32 v16, s27
	v_add_co_u32_e64 v36, s[10:11], s26, v42
	v_addc_co_u32_e64 v37, s[10:11], v43, v16, s[10:11]
	v_cmp_le_i64_e64 s[14:15], s[42:43], v[38:39]
	v_cmp_eq_u64_e64 s[10:11], s[28:29], v[6:7]
	v_cmp_gt_i64_e64 s[12:13], v[38:39], v[2:3]
	s_and_b64 s[10:11], s[38:39], s[10:11]
	s_or_b64 s[16:17], s[14:15], s[12:13]
	s_or_b64 s[16:17], s[16:17], s[10:11]
	s_nor_b64 s[16:17], s[0:1], s[16:17]
                                        ; implicit-def: $vgpr40_vgpr41
	s_and_saveexec_b64 s[20:21], s[16:17]
	s_xor_b64 s[16:17], exec, s[20:21]
	s_cbranch_execz .LBB47_9
; %bb.8:                                ;   in Loop: Header=BB47_7 Depth=2
	global_load_dwordx2 v[40:41], v[36:37], off
.LBB47_9:                               ;   in Loop: Header=BB47_7 Depth=2
	s_andn2_saveexec_b64 s[16:17], s[16:17]
	s_cbranch_execz .LBB47_11
; %bb.10:                               ;   in Loop: Header=BB47_7 Depth=2
	v_cndmask_b32_e64 v21, 0, v50, s[10:11]
	s_waitcnt vmcnt(0)
	v_mov_b32_e32 v41, v21
	v_mov_b32_e32 v40, v20
.LBB47_11:                              ;   in Loop: Header=BB47_7 Depth=2
	s_or_b64 exec, exec, s[16:17]
	v_cmp_eq_u64_e64 s[16:17], s[28:29], v[8:9]
	v_cmp_lt_i64_e64 s[20:21], v[4:5], v[38:39]
	s_and_b64 s[16:17], s[38:39], s[16:17]
	s_or_b64 s[14:15], s[14:15], s[20:21]
	s_or_b64 s[14:15], s[14:15], s[16:17]
	s_nor_b64 s[14:15], s[2:3], s[14:15]
	s_waitcnt vmcnt(0)
	ds_write_b64 v45, v[40:41]
	s_and_saveexec_b64 s[20:21], s[14:15]
	s_xor_b64 s[20:21], exec, s[20:21]
	s_cbranch_execz .LBB47_13
; %bb.12:                               ;   in Loop: Header=BB47_7 Depth=2
	v_mov_b32_e32 v16, s27
	v_add_co_u32_e64 v40, s[14:15], s26, v48
	v_addc_co_u32_e64 v41, s[14:15], v49, v16, s[14:15]
	global_load_dwordx2 v[40:41], v[40:41], off
	s_waitcnt vmcnt(0)
	ds_write_b64 v45, v[40:41] offset:128
.LBB47_13:                              ;   in Loop: Header=BB47_7 Depth=2
	s_andn2_saveexec_b64 s[14:15], s[20:21]
	s_cbranch_execz .LBB47_19
; %bb.14:                               ;   in Loop: Header=BB47_7 Depth=2
	s_xor_b64 s[16:17], s[16:17], -1
	s_and_saveexec_b64 s[20:21], s[16:17]
	s_xor_b64 s[16:17], exec, s[20:21]
; %bb.15:                               ;   in Loop: Header=BB47_7 Depth=2
	v_mov_b32_e32 v21, v20
	ds_write_b64 v45, v[20:21] offset:128
; %bb.16:                               ;   in Loop: Header=BB47_7 Depth=2
	s_andn2_saveexec_b64 s[16:17], s[16:17]
; %bb.17:                               ;   in Loop: Header=BB47_7 Depth=2
	v_mov_b32_e32 v21, v50
	ds_write_b64 v45, v[20:21] offset:128
; %bb.18:                               ;   in Loop: Header=BB47_7 Depth=2
	s_or_b64 exec, exec, s[16:17]
.LBB47_19:                              ;   in Loop: Header=BB47_7 Depth=2
	s_or_b64 exec, exec, s[14:15]
	v_add_co_u32_e64 v38, s[14:15], 16, v38
	v_addc_co_u32_e64 v39, s[14:15], 0, v39, s[14:15]
	v_cmp_le_i64_e64 s[14:15], s[42:43], v[38:39]
	v_cmp_eq_u64_e64 s[16:17], s[28:29], v[14:15]
	v_cmp_gt_i64_e64 s[20:21], v[38:39], v[2:3]
	s_and_b64 s[16:17], s[38:39], s[16:17]
	s_or_b64 s[20:21], s[14:15], s[20:21]
	s_or_b64 s[20:21], s[20:21], s[16:17]
	s_nor_b64 s[20:21], s[0:1], s[20:21]
                                        ; implicit-def: $vgpr38_vgpr39
	s_and_saveexec_b64 s[50:51], s[20:21]
	s_xor_b64 s[20:21], exec, s[50:51]
	s_cbranch_execz .LBB47_21
; %bb.20:                               ;   in Loop: Header=BB47_7 Depth=2
	global_load_dwordx2 v[38:39], v[36:37], off offset:128
.LBB47_21:                              ;   in Loop: Header=BB47_7 Depth=2
	s_andn2_saveexec_b64 s[20:21], s[20:21]
	s_cbranch_execz .LBB47_23
; %bb.22:                               ;   in Loop: Header=BB47_7 Depth=2
	v_cndmask_b32_e64 v21, 0, v50, s[16:17]
	s_waitcnt vmcnt(0)
	v_mov_b32_e32 v39, v21
	v_mov_b32_e32 v38, v20
.LBB47_23:                              ;   in Loop: Header=BB47_7 Depth=2
	s_or_b64 exec, exec, s[20:21]
	s_or_b64 s[12:13], s[14:15], s[12:13]
	s_or_b64 s[12:13], s[12:13], s[10:11]
	s_nor_b64 s[12:13], s[2:3], s[12:13]
	s_waitcnt vmcnt(0)
	ds_write_b64 v45, v[38:39] offset:4096
	s_and_saveexec_b64 s[14:15], s[12:13]
	s_xor_b64 s[14:15], exec, s[14:15]
	s_cbranch_execz .LBB47_25
; %bb.24:                               ;   in Loop: Header=BB47_7 Depth=2
	v_mov_b32_e32 v16, s27
	v_add_co_u32_e64 v36, s[12:13], s26, v48
	v_addc_co_u32_e64 v37, s[12:13], v49, v16, s[12:13]
	global_load_dwordx2 v[36:37], v[36:37], off offset:128
	s_waitcnt vmcnt(0)
	ds_write_b64 v45, v[36:37] offset:4224
.LBB47_25:                              ;   in Loop: Header=BB47_7 Depth=2
	s_andn2_saveexec_b64 s[12:13], s[14:15]
	s_cbranch_execz .LBB47_31
; %bb.26:                               ;   in Loop: Header=BB47_7 Depth=2
	s_xor_b64 s[10:11], s[10:11], -1
	s_and_saveexec_b64 s[14:15], s[10:11]
	s_xor_b64 s[10:11], exec, s[14:15]
; %bb.27:                               ;   in Loop: Header=BB47_7 Depth=2
	v_mov_b32_e32 v21, v20
	ds_write_b64 v45, v[20:21] offset:4224
; %bb.28:                               ;   in Loop: Header=BB47_7 Depth=2
	s_andn2_saveexec_b64 s[10:11], s[10:11]
; %bb.29:                               ;   in Loop: Header=BB47_7 Depth=2
	v_mov_b32_e32 v21, v50
	ds_write_b64 v45, v[20:21] offset:4224
; %bb.30:                               ;   in Loop: Header=BB47_7 Depth=2
	s_or_b64 exec, exec, s[10:11]
.LBB47_31:                              ;   in Loop: Header=BB47_7 Depth=2
	s_or_b64 exec, exec, s[12:13]
	v_mov_b32_e32 v16, s29
	v_add_co_u32_e64 v38, s[10:11], s28, v0
	v_addc_co_u32_e64 v39, s[10:11], 0, v16, s[10:11]
	v_mov_b32_e32 v16, s27
	v_add_co_u32_e64 v36, s[10:11], s26, v24
	v_addc_co_u32_e64 v37, s[10:11], v25, v16, s[10:11]
	v_cmp_gt_i64_e64 s[10:11], s[42:43], v[38:39]
	v_mov_b32_e32 v40, 0
	v_mov_b32_e32 v41, 0
	s_and_b64 s[14:15], vcc, s[10:11]
	s_and_saveexec_b64 s[12:13], s[14:15]
	s_cbranch_execz .LBB47_33
; %bb.32:                               ;   in Loop: Header=BB47_7 Depth=2
	global_load_dwordx2 v[40:41], v[36:37], off offset:-128
.LBB47_33:                              ;   in Loop: Header=BB47_7 Depth=2
	s_or_b64 exec, exec, s[12:13]
	v_cmp_gt_i64_e64 s[12:13], s[44:45], v[38:39]
	s_waitcnt vmcnt(0)
	ds_write_b64 v47, v[40:41]
	s_and_b64 s[14:15], vcc, s[12:13]
	s_xor_b64 s[14:15], s[14:15], -1
	s_and_saveexec_b64 s[16:17], s[14:15]
	s_xor_b64 s[14:15], exec, s[16:17]
; %bb.34:                               ;   in Loop: Header=BB47_7 Depth=2
	v_mov_b32_e32 v21, v20
	ds_write_b64 v47, v[20:21] offset:128
                                        ; implicit-def: $vgpr36_vgpr37
; %bb.35:                               ;   in Loop: Header=BB47_7 Depth=2
	s_andn2_saveexec_b64 s[14:15], s[14:15]
	s_cbranch_execz .LBB47_37
; %bb.36:                               ;   in Loop: Header=BB47_7 Depth=2
	global_load_dwordx2 v[36:37], v[36:37], off
	s_waitcnt vmcnt(0)
	ds_write_b64 v47, v[36:37] offset:128
.LBB47_37:                              ;   in Loop: Header=BB47_7 Depth=2
	s_or_b64 exec, exec, s[14:15]
	v_mov_b32_e32 v16, s27
	v_add_co_u32_e64 v36, s[14:15], s26, v26
	v_addc_co_u32_e64 v37, s[14:15], v27, v16, s[14:15]
	v_mov_b32_e32 v38, 0
	v_mov_b32_e32 v39, 0
	s_and_b64 s[14:15], s[8:9], s[10:11]
	s_and_saveexec_b64 s[10:11], s[14:15]
	s_cbranch_execz .LBB47_39
; %bb.38:                               ;   in Loop: Header=BB47_7 Depth=2
	global_load_dwordx2 v[38:39], v[36:37], off
.LBB47_39:                              ;   in Loop: Header=BB47_7 Depth=2
	s_or_b64 exec, exec, s[10:11]
	s_and_b64 s[10:11], s[8:9], s[12:13]
	s_xor_b64 s[10:11], s[10:11], -1
	s_waitcnt vmcnt(0)
	ds_write_b64 v47, v[38:39] offset:4096
	s_and_saveexec_b64 s[12:13], s[10:11]
	s_xor_b64 s[10:11], exec, s[12:13]
; %bb.40:                               ;   in Loop: Header=BB47_7 Depth=2
	v_mov_b32_e32 v21, v20
	ds_write_b64 v47, v[20:21] offset:4224
                                        ; implicit-def: $vgpr36_vgpr37
; %bb.41:                               ;   in Loop: Header=BB47_7 Depth=2
	s_andn2_saveexec_b64 s[10:11], s[10:11]
	s_cbranch_execz .LBB47_6
; %bb.42:                               ;   in Loop: Header=BB47_7 Depth=2
	global_load_dwordx2 v[36:37], v[36:37], off offset:128
	s_waitcnt vmcnt(0)
	ds_write_b64 v47, v[36:37] offset:4224
	s_branch .LBB47_6
.LBB47_43:                              ;   in Loop: Header=BB47_4 Depth=1
	v_mul_lo_u32 v16, s41, v51
	v_mul_lo_u32 v17, s40, v52
	v_mad_u64_u32 v[23:24], s[8:9], s40, v51, 0
	v_cmp_gt_i32_e32 vcc, s30, v51
	v_add3_u32 v24, v24, v17, v16
	v_lshlrev_b64 v[23:24], 3, v[23:24]
	v_mov_b32_e32 v16, s46
	v_add_co_u32_e64 v21, s[8:9], s33, v23
	v_addc_co_u32_e64 v23, s[8:9], v16, v24, s[8:9]
	s_and_b64 s[8:9], s[4:5], vcc
	s_and_saveexec_b64 s[10:11], s[8:9]
	s_cbranch_execz .LBB47_45
; %bb.44:                               ;   in Loop: Header=BB47_4 Depth=1
	v_add_co_u32_e64 v16, s[8:9], v21, v10
	v_addc_co_u32_e64 v17, s[8:9], v23, v11, s[8:9]
	global_load_dwordx2 v[24:25], v[16:17], off
	s_waitcnt vmcnt(0)
	v_fma_f64 v[24:25], s[34:35], v[34:35], v[24:25]
	global_store_dwordx2 v[16:17], v[24:25], off
.LBB47_45:                              ;   in Loop: Header=BB47_4 Depth=1
	s_or_b64 exec, exec, s[10:11]
	s_and_b64 s[10:11], s[18:19], vcc
	s_and_saveexec_b64 s[8:9], s[10:11]
	s_cbranch_execz .LBB47_47
; %bb.46:                               ;   in Loop: Header=BB47_4 Depth=1
	v_add_co_u32_e32 v16, vcc, v21, v18
	v_addc_co_u32_e32 v17, vcc, v23, v19, vcc
	global_load_dwordx2 v[23:24], v[16:17], off
	s_waitcnt vmcnt(0)
	v_fma_f64 v[23:24], s[34:35], v[32:33], v[23:24]
	global_store_dwordx2 v[16:17], v[23:24], off
.LBB47_47:                              ;   in Loop: Header=BB47_4 Depth=1
	s_or_b64 exec, exec, s[8:9]
	v_add_u32_e32 v21, 16, v51
	v_ashrrev_i32_e32 v16, 31, v21
	v_mul_lo_u32 v23, s40, v16
	v_mul_lo_u32 v24, s41, v21
	v_mad_u64_u32 v[16:17], s[8:9], s40, v21, 0
	v_cmp_gt_i32_e32 vcc, s30, v21
	v_add3_u32 v17, v17, v23, v24
	v_lshlrev_b64 v[16:17], 3, v[16:17]
	v_mov_b32_e32 v23, s46
	v_add_co_u32_e64 v21, s[8:9], s33, v16
	v_addc_co_u32_e64 v23, s[8:9], v23, v17, s[8:9]
	s_and_b64 s[8:9], s[4:5], vcc
	s_and_saveexec_b64 s[10:11], s[8:9]
	s_cbranch_execz .LBB47_49
; %bb.48:                               ;   in Loop: Header=BB47_4 Depth=1
	v_add_co_u32_e64 v16, s[8:9], v21, v10
	v_addc_co_u32_e64 v17, s[8:9], v23, v11, s[8:9]
	global_load_dwordx2 v[24:25], v[16:17], off
	s_waitcnt vmcnt(0)
	v_fma_f64 v[24:25], s[34:35], v[30:31], v[24:25]
	global_store_dwordx2 v[16:17], v[24:25], off
.LBB47_49:                              ;   in Loop: Header=BB47_4 Depth=1
	s_or_b64 exec, exec, s[10:11]
	s_and_b64 s[10:11], s[18:19], vcc
	s_and_saveexec_b64 s[8:9], s[10:11]
	s_cbranch_execz .LBB47_3
; %bb.50:                               ;   in Loop: Header=BB47_4 Depth=1
	v_add_co_u32_e32 v16, vcc, v21, v18
	v_addc_co_u32_e32 v17, vcc, v23, v19, vcc
	global_load_dwordx2 v[23:24], v[16:17], off
	s_waitcnt vmcnt(0)
	v_fma_f64 v[23:24], s[34:35], v[28:29], v[23:24]
	global_store_dwordx2 v[16:17], v[23:24], off
	s_branch .LBB47_3
.LBB47_51:
	s_endpgm
	.section	.rodata,"a",@progbits
	.p2align	6, 0x0
	.amdhsa_kernel _ZL30rocblas_trmm_outofplace_kernelIdLi32ELi2ELb1ELb1ELb1ELb1EdKddEv17rocblas_diagonal_iiT6_lPT7_lllS4_lllPT8_llli
		.amdhsa_group_segment_fixed_size 16384
		.amdhsa_private_segment_fixed_size 12
		.amdhsa_kernarg_size 392
		.amdhsa_user_sgpr_count 6
		.amdhsa_user_sgpr_private_segment_buffer 1
		.amdhsa_user_sgpr_dispatch_ptr 0
		.amdhsa_user_sgpr_queue_ptr 0
		.amdhsa_user_sgpr_kernarg_segment_ptr 1
		.amdhsa_user_sgpr_dispatch_id 0
		.amdhsa_user_sgpr_flat_scratch_init 0
		.amdhsa_user_sgpr_private_segment_size 0
		.amdhsa_uses_dynamic_stack 0
		.amdhsa_system_sgpr_private_segment_wavefront_offset 1
		.amdhsa_system_sgpr_workgroup_id_x 1
		.amdhsa_system_sgpr_workgroup_id_y 1
		.amdhsa_system_sgpr_workgroup_id_z 1
		.amdhsa_system_sgpr_workgroup_info 0
		.amdhsa_system_vgpr_workitem_id 1
		.amdhsa_next_free_vgpr 63
		.amdhsa_next_free_sgpr 61
		.amdhsa_reserve_vcc 1
		.amdhsa_reserve_flat_scratch 0
		.amdhsa_float_round_mode_32 0
		.amdhsa_float_round_mode_16_64 0
		.amdhsa_float_denorm_mode_32 3
		.amdhsa_float_denorm_mode_16_64 3
		.amdhsa_dx10_clamp 1
		.amdhsa_ieee_mode 1
		.amdhsa_fp16_overflow 0
		.amdhsa_exception_fp_ieee_invalid_op 0
		.amdhsa_exception_fp_denorm_src 0
		.amdhsa_exception_fp_ieee_div_zero 0
		.amdhsa_exception_fp_ieee_overflow 0
		.amdhsa_exception_fp_ieee_underflow 0
		.amdhsa_exception_fp_ieee_inexact 0
		.amdhsa_exception_int_div_zero 0
	.end_amdhsa_kernel
	.section	.text._ZL30rocblas_trmm_outofplace_kernelIdLi32ELi2ELb1ELb1ELb1ELb1EdKddEv17rocblas_diagonal_iiT6_lPT7_lllS4_lllPT8_llli,"axG",@progbits,_ZL30rocblas_trmm_outofplace_kernelIdLi32ELi2ELb1ELb1ELb1ELb1EdKddEv17rocblas_diagonal_iiT6_lPT7_lllS4_lllPT8_llli,comdat
.Lfunc_end47:
	.size	_ZL30rocblas_trmm_outofplace_kernelIdLi32ELi2ELb1ELb1ELb1ELb1EdKddEv17rocblas_diagonal_iiT6_lPT7_lllS4_lllPT8_llli, .Lfunc_end47-_ZL30rocblas_trmm_outofplace_kernelIdLi32ELi2ELb1ELb1ELb1ELb1EdKddEv17rocblas_diagonal_iiT6_lPT7_lllS4_lllPT8_llli
                                        ; -- End function
	.set _ZL30rocblas_trmm_outofplace_kernelIdLi32ELi2ELb1ELb1ELb1ELb1EdKddEv17rocblas_diagonal_iiT6_lPT7_lllS4_lllPT8_llli.num_vgpr, 63
	.set _ZL30rocblas_trmm_outofplace_kernelIdLi32ELi2ELb1ELb1ELb1ELb1EdKddEv17rocblas_diagonal_iiT6_lPT7_lllS4_lllPT8_llli.num_agpr, 0
	.set _ZL30rocblas_trmm_outofplace_kernelIdLi32ELi2ELb1ELb1ELb1ELb1EdKddEv17rocblas_diagonal_iiT6_lPT7_lllS4_lllPT8_llli.numbered_sgpr, 56
	.set _ZL30rocblas_trmm_outofplace_kernelIdLi32ELi2ELb1ELb1ELb1ELb1EdKddEv17rocblas_diagonal_iiT6_lPT7_lllS4_lllPT8_llli.num_named_barrier, 0
	.set _ZL30rocblas_trmm_outofplace_kernelIdLi32ELi2ELb1ELb1ELb1ELb1EdKddEv17rocblas_diagonal_iiT6_lPT7_lllS4_lllPT8_llli.private_seg_size, 12
	.set _ZL30rocblas_trmm_outofplace_kernelIdLi32ELi2ELb1ELb1ELb1ELb1EdKddEv17rocblas_diagonal_iiT6_lPT7_lllS4_lllPT8_llli.uses_vcc, 1
	.set _ZL30rocblas_trmm_outofplace_kernelIdLi32ELi2ELb1ELb1ELb1ELb1EdKddEv17rocblas_diagonal_iiT6_lPT7_lllS4_lllPT8_llli.uses_flat_scratch, 0
	.set _ZL30rocblas_trmm_outofplace_kernelIdLi32ELi2ELb1ELb1ELb1ELb1EdKddEv17rocblas_diagonal_iiT6_lPT7_lllS4_lllPT8_llli.has_dyn_sized_stack, 0
	.set _ZL30rocblas_trmm_outofplace_kernelIdLi32ELi2ELb1ELb1ELb1ELb1EdKddEv17rocblas_diagonal_iiT6_lPT7_lllS4_lllPT8_llli.has_recursion, 0
	.set _ZL30rocblas_trmm_outofplace_kernelIdLi32ELi2ELb1ELb1ELb1ELb1EdKddEv17rocblas_diagonal_iiT6_lPT7_lllS4_lllPT8_llli.has_indirect_call, 0
	.section	.AMDGPU.csdata,"",@progbits
; Kernel info:
; codeLenInByte = 3828
; TotalNumSgprs: 60
; NumVgprs: 63
; ScratchSize: 12
; MemoryBound: 0
; FloatMode: 240
; IeeeMode: 1
; LDSByteSize: 16384 bytes/workgroup (compile time only)
; SGPRBlocks: 8
; VGPRBlocks: 15
; NumSGPRsForWavesPerEU: 65
; NumVGPRsForWavesPerEU: 63
; Occupancy: 4
; WaveLimiterHint : 0
; COMPUTE_PGM_RSRC2:SCRATCH_EN: 1
; COMPUTE_PGM_RSRC2:USER_SGPR: 6
; COMPUTE_PGM_RSRC2:TRAP_HANDLER: 0
; COMPUTE_PGM_RSRC2:TGID_X_EN: 1
; COMPUTE_PGM_RSRC2:TGID_Y_EN: 1
; COMPUTE_PGM_RSRC2:TGID_Z_EN: 1
; COMPUTE_PGM_RSRC2:TIDIG_COMP_CNT: 1
	.section	.text._ZL30rocblas_trmm_outofplace_kernelIdLi32ELi2ELb0ELb0ELb0ELb0EPKdS0_dEv17rocblas_diagonal_iiT6_lPT7_lllS5_lllPT8_llli,"axG",@progbits,_ZL30rocblas_trmm_outofplace_kernelIdLi32ELi2ELb0ELb0ELb0ELb0EPKdS0_dEv17rocblas_diagonal_iiT6_lPT7_lllS5_lllPT8_llli,comdat
	.globl	_ZL30rocblas_trmm_outofplace_kernelIdLi32ELi2ELb0ELb0ELb0ELb0EPKdS0_dEv17rocblas_diagonal_iiT6_lPT7_lllS5_lllPT8_llli ; -- Begin function _ZL30rocblas_trmm_outofplace_kernelIdLi32ELi2ELb0ELb0ELb0ELb0EPKdS0_dEv17rocblas_diagonal_iiT6_lPT7_lllS5_lllPT8_llli
	.p2align	8
	.type	_ZL30rocblas_trmm_outofplace_kernelIdLi32ELi2ELb0ELb0ELb0ELb0EPKdS0_dEv17rocblas_diagonal_iiT6_lPT7_lllS5_lllPT8_llli,@function
_ZL30rocblas_trmm_outofplace_kernelIdLi32ELi2ELb0ELb0ELb0ELb0EPKdS0_dEv17rocblas_diagonal_iiT6_lPT7_lllS5_lllPT8_llli: ; @_ZL30rocblas_trmm_outofplace_kernelIdLi32ELi2ELb0ELb0ELb0ELb0EPKdS0_dEv17rocblas_diagonal_iiT6_lPT7_lllS5_lllPT8_llli
; %bb.0:
	s_load_dwordx16 s[36:51], s[4:5], 0x10
	s_mov_b64 s[66:67], s[2:3]
	s_mov_b64 s[64:65], s[0:1]
	s_add_u32 s64, s64, s9
	s_addc_u32 s65, s65, 0
	s_waitcnt lgkmcnt(0)
	s_mul_i32 s0, s39, s8
	s_mul_hi_u32 s1, s38, s8
	s_add_i32 s1, s1, s0
	s_mul_i32 s0, s38, s8
	s_lshl_b64 s[0:1], s[0:1], 3
	s_add_u32 s0, s36, s0
	s_addc_u32 s1, s37, s1
	s_load_dwordx2 s[34:35], s[0:1], 0x0
	s_waitcnt lgkmcnt(0)
	v_cmp_eq_f64_e64 s[0:1], s[34:35], 0
	s_and_b64 vcc, exec, s[0:1]
	s_cbranch_vccnz .LBB48_52
; %bb.1:
	s_load_dwordx4 s[36:39], s[4:5], 0x0
	s_waitcnt lgkmcnt(0)
	s_add_i32 s0, s38, -1
	s_ashr_i32 s1, s0, 31
	s_lshr_b32 s1, s1, 27
	s_add_i32 s0, s0, s1
	s_ashr_i32 s33, s0, 5
	s_cmp_gt_i32 s7, s33
	s_cbranch_scc1 .LBB48_52
; %bb.2:
	s_load_dwordx4 s[52:55], s[4:5], 0x70
	s_load_dwordx8 s[24:31], s[4:5], 0x50
	s_load_dword s56, s[4:5], 0x8c
	s_mul_hi_u32 s10, s46, s8
	v_lshl_add_u32 v2, s6, 5, v0
	s_waitcnt lgkmcnt(0)
	s_mul_i32 s1, s55, s8
	s_mul_hi_u32 s2, s54, s8
	s_mul_i32 s0, s54, s8
	s_add_i32 s1, s2, s1
	s_lshl_b64 s[0:1], s[0:1], 3
	s_add_u32 s2, s28, s0
	s_addc_u32 s3, s29, s1
	s_lshl_b64 s[0:1], s[30:31], 3
	s_add_u32 s57, s2, s0
	s_addc_u32 s58, s3, s1
	s_cmpk_eq_i32 s36, 0x84
	s_cselect_b64 s[28:29], -1, 0
	s_ashr_i32 s39, s38, 31
	s_ashr_i32 s0, s37, 31
	s_lshl_b64 s[30:31], s[24:25], 8
	s_add_u32 s54, s38, -16
	s_addc_u32 s55, s39, -1
	s_lshl_b32 s9, s7, 5
	v_add_u32_e32 v12, s9, v0
	v_add_u32_e32 v14, s9, v1
	s_mul_i32 s9, s47, s8
	s_add_i32 s11, s10, s9
	s_mul_i32 s10, s46, s8
	s_lshl_b32 s6, s56, 5
	s_lshl_b64 s[10:11], s[10:11], 3
	s_lshl_b64 s[12:13], s[42:43], 3
	v_ashrrev_i32_e32 v3, 31, v2
	v_mov_b32_e32 v5, s0
	v_sub_co_u32_e32 v4, vcc, s37, v2
	s_add_u32 s9, s10, s12
	v_subb_co_u32_e32 v5, vcc, v5, v3, vcc
	s_addc_u32 s10, s11, s13
	v_cmp_gt_i64_e64 s[0:1], 1, v[4:5]
	v_cmp_gt_i64_e64 s[2:3], 17, v[4:5]
	v_add_u32_e32 v4, 16, v2
	s_add_u32 s36, s40, s9
	v_cmp_gt_i32_e64 s[4:5], s37, v2
	v_cmp_gt_i32_e64 s[20:21], s37, v4
	s_addc_u32 s37, s41, s10
	s_add_u32 s40, s48, 0x80
	s_mul_i32 s9, s27, s8
	s_mul_hi_u32 s10, s26, s8
	s_addc_u32 s41, s49, 0
	s_add_i32 s9, s10, s9
	s_mul_i32 s8, s26, s8
	v_ashrrev_i32_e32 v5, 31, v4
	s_lshl_b64 s[42:43], s[24:25], 3
	s_lshl_b64 s[8:9], s[8:9], 3
	;; [unrolled: 1-line block ×3, first 2 shown]
	v_lshlrev_b64 v[2:3], 3, v[2:3]
	buffer_store_dword v4, off, s[64:67], 0 ; 4-byte Folded Spill
	s_nop 0
	buffer_store_dword v5, off, s[64:67], 0 offset:4 ; 4-byte Folded Spill
	s_add_u32 s8, s8, s10
	v_add_co_u32_e32 v4, vcc, s8, v2
	buffer_store_dword v2, off, s[64:67], 0 offset:8 ; 4-byte Folded Spill
	s_nop 0
	buffer_store_dword v3, off, s[64:67], 0 offset:12 ; 4-byte Folded Spill
	v_lshlrev_b32_e32 v6, 3, v0
	s_addc_u32 s9, s9, s11
	v_lshlrev_b32_e32 v52, 8, v1
	v_or_b32_e32 v54, 0x2000, v6
	v_mov_b32_e32 v0, s9
	v_add_u32_e32 v53, v52, v6
	v_add_u32_e32 v55, v54, v52
	s_lshl_b64 s[26:27], s[44:45], 3
	v_mov_b32_e32 v20, 0
	s_movk_i32 s50, 0x100
	v_addc_co_u32_e32 v5, vcc, v0, v3, vcc
	v_mov_b32_e32 v0, 0x3ff00000
	buffer_store_dword v4, off, s[64:67], 0 offset:16 ; 4-byte Folded Spill
	s_nop 0
	buffer_store_dword v5, off, s[64:67], 0 offset:20 ; 4-byte Folded Spill
	s_branch .LBB48_4
.LBB48_3:                               ;   in Loop: Header=BB48_4 Depth=1
	s_or_b64 exec, exec, s[8:9]
	s_add_i32 s7, s56, s7
	v_add_u32_e32 v12, s6, v12
	s_cmp_le_i32 s7, s33
	v_add_u32_e32 v14, s6, v14
	s_cbranch_scc0 .LBB48_52
.LBB48_4:                               ; =>This Loop Header: Depth=1
                                        ;     Child Loop BB48_7 Depth 2
	s_lshl_b32 s8, s7, 5
	v_add_u32_e32 v22, s8, v1
	s_sub_i32 s51, s38, s8
	v_ashrrev_i32_e32 v13, 31, v12
	v_ashrrev_i32_e32 v15, 31, v14
	s_cmp_lt_i32 s51, 1
	v_ashrrev_i32_e32 v23, 31, v22
	s_cbranch_scc1 .LBB48_43
; %bb.5:                                ;   in Loop: Header=BB48_4 Depth=1
	buffer_load_dword v42, off, s[64:67], 0 offset:16 ; 4-byte Folded Reload
	buffer_load_dword v43, off, s[64:67], 0 offset:20 ; 4-byte Folded Reload
	v_sub_co_u32_e32 v24, vcc, v14, v12
	v_lshlrev_b64 v[2:3], 3, v[14:15]
	v_subb_co_u32_e32 v25, vcc, v15, v13, vcc
	v_add_co_u32_e32 v6, vcc, 0x80, v2
	v_addc_co_u32_e32 v7, vcc, 0, v3, vcc
	v_mov_b32_e32 v2, s36
	v_mov_b32_e32 v3, s37
	v_mad_u64_u32 v[28:29], s[8:9], s44, v6, v[2:3]
	v_mov_b32_e32 v4, s40
	v_mad_u64_u32 v[32:33], s[8:9], s26, v14, v[2:3]
	v_mov_b32_e32 v2, s48
	v_mov_b32_e32 v5, s41
	;; [unrolled: 1-line block ×3, first 2 shown]
	v_add_co_u32_e32 v36, vcc, 16, v22
	v_mul_lo_u32 v8, s44, v7
	v_mul_lo_u32 v9, s45, v6
	v_mad_u64_u32 v[30:31], s[8:9], s42, v14, v[4:5]
	v_mul_lo_u32 v4, s42, v15
	v_mul_lo_u32 v5, s43, v14
	v_mul_lo_u32 v10, s26, v15
	v_mul_lo_u32 v11, s27, v14
	v_mul_lo_u32 v7, s24, v7
	v_mad_u64_u32 v[34:35], s[8:9], s24, v6, v[2:3]
	v_mul_lo_u32 v2, s25, v6
	v_addc_co_u32_e32 v37, vcc, 0, v23, vcc
	v_add_co_u32_e32 v38, vcc, 16, v24
	v_addc_co_u32_e32 v39, vcc, 0, v25, vcc
	v_lshlrev_b64 v[26:27], 3, v[12:13]
	v_cmp_le_i64_e64 s[10:11], s[38:39], v[36:37]
	v_add_co_u32_e32 v40, vcc, -16, v24
	v_mov_b32_e32 v44, 0
	v_mov_b32_e32 v46, 0
	;; [unrolled: 1-line block ×4, first 2 shown]
	v_add3_u32 v29, v9, v29, v8
	v_add3_u32 v31, v5, v31, v4
	;; [unrolled: 1-line block ×4, first 2 shown]
	v_cmp_le_i32_e64 s[8:9], s38, v22
	v_addc_co_u32_e32 v41, vcc, -1, v25, vcc
	v_mov_b32_e32 v45, 0
	s_mov_b64 s[46:47], 0
	v_mov_b32_e32 v47, 0
	v_mov_b32_e32 v49, 0
	;; [unrolled: 1-line block ×3, first 2 shown]
	s_branch .LBB48_7
.LBB48_6:                               ;   in Loop: Header=BB48_7 Depth=2
	s_or_b64 exec, exec, s[12:13]
	s_waitcnt lgkmcnt(0)
	s_barrier
	ds_read_b128 v[56:59], v52
	ds_read_b128 v[60:63], v52 offset:16
	ds_read_b128 v[6:9], v52 offset:32
	;; [unrolled: 1-line block ×3, first 2 shown]
	ds_read2_b64 v[16:19], v54 offset1:16
	v_add_co_u32_e32 v28, vcc, s50, v28
	v_addc_co_u32_e32 v29, vcc, 0, v29, vcc
	s_waitcnt lgkmcnt(0)
	v_fma_f64 v[10:11], v[16:17], v[56:57], v[50:51]
	v_fma_f64 v[56:57], v[18:19], v[56:57], v[48:49]
	ds_read_b128 v[48:51], v52 offset:4096
	v_add_co_u32_e32 v42, vcc, s30, v42
	s_add_u32 s46, s46, 32
	s_addc_u32 s47, s47, 0
	s_waitcnt lgkmcnt(0)
	v_fma_f64 v[46:47], v[16:17], v[48:49], v[46:47]
	v_fma_f64 v[44:45], v[18:19], v[48:49], v[44:45]
	ds_read2_b64 v[16:19], v54 offset0:32 offset1:48
	s_cmp_ge_i32 s46, s51
	s_waitcnt lgkmcnt(0)
	v_fma_f64 v[10:11], v[16:17], v[58:59], v[10:11]
	v_fma_f64 v[48:49], v[18:19], v[58:59], v[56:57]
	v_fma_f64 v[56:57], v[16:17], v[50:51], v[46:47]
	v_fma_f64 v[50:51], v[18:19], v[50:51], v[44:45]
	ds_read2_b64 v[16:19], v54 offset0:64 offset1:80
	ds_read_b128 v[44:47], v52 offset:4112
	s_waitcnt lgkmcnt(1)
	v_fma_f64 v[10:11], v[16:17], v[60:61], v[10:11]
	v_fma_f64 v[48:49], v[18:19], v[60:61], v[48:49]
	s_waitcnt lgkmcnt(0)
	v_fma_f64 v[56:57], v[16:17], v[44:45], v[56:57]
	v_fma_f64 v[44:45], v[18:19], v[44:45], v[50:51]
	ds_read2_b64 v[16:19], v54 offset0:96 offset1:112
	s_waitcnt lgkmcnt(0)
	v_fma_f64 v[10:11], v[16:17], v[62:63], v[10:11]
	v_fma_f64 v[48:49], v[18:19], v[62:63], v[48:49]
	v_fma_f64 v[50:51], v[16:17], v[46:47], v[56:57]
	v_fma_f64 v[56:57], v[18:19], v[46:47], v[44:45]
	ds_read2_b64 v[16:19], v54 offset0:128 offset1:144
	ds_read_b128 v[44:47], v52 offset:4128
	s_waitcnt lgkmcnt(1)
	v_fma_f64 v[10:11], v[16:17], v[6:7], v[10:11]
	v_fma_f64 v[6:7], v[18:19], v[6:7], v[48:49]
	s_waitcnt lgkmcnt(0)
	v_fma_f64 v[48:49], v[16:17], v[44:45], v[50:51]
	v_fma_f64 v[44:45], v[18:19], v[44:45], v[56:57]
	ds_read2_b64 v[16:19], v54 offset0:160 offset1:176
	;; [unrolled: 14-line block ×3, first 2 shown]
	s_waitcnt lgkmcnt(0)
	v_fma_f64 v[10:11], v[6:7], v[4:5], v[10:11]
	v_fma_f64 v[44:45], v[8:9], v[4:5], v[2:3]
	v_add_u32_e32 v2, 0x800, v54
	v_fma_f64 v[48:49], v[6:7], v[18:19], v[46:47]
	v_fma_f64 v[7:8], v[8:9], v[18:19], v[16:17]
	ds_read_b128 v[3:6], v52 offset:64
	ds_read2_b64 v[16:19], v2 offset1:16
	s_waitcnt lgkmcnt(0)
	v_fma_f64 v[9:10], v[16:17], v[3:4], v[10:11]
	v_fma_f64 v[3:4], v[18:19], v[3:4], v[44:45]
	ds_read_b128 v[44:47], v52 offset:4160
	s_waitcnt lgkmcnt(0)
	v_fma_f64 v[48:49], v[16:17], v[44:45], v[48:49]
	v_fma_f64 v[7:8], v[18:19], v[44:45], v[7:8]
	ds_read2_b64 v[16:19], v2 offset0:32 offset1:48
	s_waitcnt lgkmcnt(0)
	v_fma_f64 v[9:10], v[16:17], v[5:6], v[9:10]
	v_fma_f64 v[44:45], v[18:19], v[5:6], v[3:4]
	v_fma_f64 v[48:49], v[16:17], v[46:47], v[48:49]
	v_fma_f64 v[7:8], v[18:19], v[46:47], v[7:8]
	ds_read_b128 v[3:6], v52 offset:80
	ds_read2_b64 v[16:19], v2 offset0:64 offset1:80
	s_waitcnt lgkmcnt(0)
	v_fma_f64 v[9:10], v[16:17], v[3:4], v[9:10]
	v_fma_f64 v[3:4], v[18:19], v[3:4], v[44:45]
	ds_read_b128 v[44:47], v52 offset:4176
	s_waitcnt lgkmcnt(0)
	v_fma_f64 v[48:49], v[16:17], v[44:45], v[48:49]
	v_fma_f64 v[7:8], v[18:19], v[44:45], v[7:8]
	ds_read2_b64 v[16:19], v2 offset0:96 offset1:112
	s_waitcnt lgkmcnt(0)
	v_fma_f64 v[9:10], v[16:17], v[5:6], v[9:10]
	v_fma_f64 v[44:45], v[18:19], v[5:6], v[3:4]
	v_fma_f64 v[48:49], v[16:17], v[46:47], v[48:49]
	v_fma_f64 v[7:8], v[18:19], v[46:47], v[7:8]
	ds_read_b128 v[3:6], v52 offset:96
	ds_read2_b64 v[16:19], v2 offset0:128 offset1:144
	;; [unrolled: 15-line block ×3, first 2 shown]
	s_waitcnt lgkmcnt(0)
	v_fma_f64 v[9:10], v[16:17], v[3:4], v[9:10]
	v_fma_f64 v[3:4], v[18:19], v[3:4], v[44:45]
	ds_read_b128 v[44:47], v52 offset:4208
	s_waitcnt lgkmcnt(0)
	v_fma_f64 v[48:49], v[16:17], v[44:45], v[48:49]
	v_fma_f64 v[7:8], v[18:19], v[44:45], v[7:8]
	ds_read2_b64 v[16:19], v2 offset0:224 offset1:240
	v_add_u32_e32 v2, 0x1000, v54
	s_waitcnt lgkmcnt(0)
	v_fma_f64 v[9:10], v[16:17], v[5:6], v[9:10]
	v_fma_f64 v[44:45], v[18:19], v[5:6], v[3:4]
	;; [unrolled: 1-line block ×4, first 2 shown]
	ds_read_b128 v[3:6], v52 offset:128
	ds_read2_b64 v[16:19], v2 offset1:16
	s_waitcnt lgkmcnt(0)
	v_fma_f64 v[9:10], v[16:17], v[3:4], v[9:10]
	v_fma_f64 v[3:4], v[18:19], v[3:4], v[44:45]
	ds_read_b128 v[44:47], v52 offset:4224
	s_waitcnt lgkmcnt(0)
	v_fma_f64 v[48:49], v[16:17], v[44:45], v[48:49]
	v_fma_f64 v[7:8], v[18:19], v[44:45], v[7:8]
	ds_read2_b64 v[16:19], v2 offset0:32 offset1:48
	s_waitcnt lgkmcnt(0)
	v_fma_f64 v[9:10], v[16:17], v[5:6], v[9:10]
	v_fma_f64 v[44:45], v[18:19], v[5:6], v[3:4]
	v_fma_f64 v[48:49], v[16:17], v[46:47], v[48:49]
	v_fma_f64 v[7:8], v[18:19], v[46:47], v[7:8]
	ds_read_b128 v[3:6], v52 offset:144
	ds_read2_b64 v[16:19], v2 offset0:64 offset1:80
	s_waitcnt lgkmcnt(0)
	v_fma_f64 v[9:10], v[16:17], v[3:4], v[9:10]
	v_fma_f64 v[3:4], v[18:19], v[3:4], v[44:45]
	ds_read_b128 v[44:47], v52 offset:4240
	s_waitcnt lgkmcnt(0)
	v_fma_f64 v[48:49], v[16:17], v[44:45], v[48:49]
	v_fma_f64 v[7:8], v[18:19], v[44:45], v[7:8]
	ds_read2_b64 v[16:19], v2 offset0:96 offset1:112
	s_waitcnt lgkmcnt(0)
	v_fma_f64 v[9:10], v[16:17], v[5:6], v[9:10]
	v_fma_f64 v[44:45], v[18:19], v[5:6], v[3:4]
	v_fma_f64 v[48:49], v[16:17], v[46:47], v[48:49]
	v_fma_f64 v[7:8], v[18:19], v[46:47], v[7:8]
	ds_read_b128 v[3:6], v52 offset:160
	ds_read2_b64 v[16:19], v2 offset0:128 offset1:144
	;; [unrolled: 15-line block ×3, first 2 shown]
	s_waitcnt lgkmcnt(0)
	v_fma_f64 v[9:10], v[16:17], v[3:4], v[9:10]
	v_fma_f64 v[3:4], v[18:19], v[3:4], v[44:45]
	ds_read_b128 v[44:47], v52 offset:4272
	s_waitcnt lgkmcnt(0)
	v_fma_f64 v[48:49], v[16:17], v[44:45], v[48:49]
	v_fma_f64 v[7:8], v[18:19], v[44:45], v[7:8]
	ds_read2_b64 v[16:19], v2 offset0:224 offset1:240
	v_add_u32_e32 v2, 0x1800, v54
	s_waitcnt lgkmcnt(0)
	v_fma_f64 v[9:10], v[16:17], v[5:6], v[9:10]
	v_fma_f64 v[44:45], v[18:19], v[5:6], v[3:4]
	;; [unrolled: 1-line block ×4, first 2 shown]
	ds_read_b128 v[3:6], v52 offset:192
	ds_read2_b64 v[16:19], v2 offset1:16
	s_waitcnt lgkmcnt(0)
	v_fma_f64 v[9:10], v[16:17], v[3:4], v[9:10]
	v_fma_f64 v[3:4], v[18:19], v[3:4], v[44:45]
	ds_read_b128 v[44:47], v52 offset:4288
	s_waitcnt lgkmcnt(0)
	v_fma_f64 v[48:49], v[16:17], v[44:45], v[48:49]
	v_fma_f64 v[7:8], v[18:19], v[44:45], v[7:8]
	ds_read2_b64 v[16:19], v2 offset0:32 offset1:48
	s_waitcnt lgkmcnt(0)
	v_fma_f64 v[9:10], v[16:17], v[5:6], v[9:10]
	v_fma_f64 v[44:45], v[18:19], v[5:6], v[3:4]
	v_fma_f64 v[48:49], v[16:17], v[46:47], v[48:49]
	v_fma_f64 v[7:8], v[18:19], v[46:47], v[7:8]
	ds_read_b128 v[3:6], v52 offset:208
	ds_read2_b64 v[16:19], v2 offset0:64 offset1:80
	s_waitcnt lgkmcnt(0)
	v_fma_f64 v[9:10], v[16:17], v[3:4], v[9:10]
	v_fma_f64 v[3:4], v[18:19], v[3:4], v[44:45]
	ds_read_b128 v[44:47], v52 offset:4304
	s_waitcnt lgkmcnt(0)
	v_fma_f64 v[48:49], v[16:17], v[44:45], v[48:49]
	v_fma_f64 v[7:8], v[18:19], v[44:45], v[7:8]
	ds_read2_b64 v[16:19], v2 offset0:96 offset1:112
	s_waitcnt lgkmcnt(0)
	v_fma_f64 v[9:10], v[16:17], v[5:6], v[9:10]
	v_fma_f64 v[44:45], v[18:19], v[5:6], v[3:4]
	v_fma_f64 v[48:49], v[16:17], v[46:47], v[48:49]
	v_fma_f64 v[7:8], v[18:19], v[46:47], v[7:8]
	ds_read_b128 v[3:6], v52 offset:224
	ds_read2_b64 v[16:19], v2 offset0:128 offset1:144
	s_waitcnt lgkmcnt(0)
	v_fma_f64 v[9:10], v[16:17], v[3:4], v[9:10]
	v_fma_f64 v[3:4], v[18:19], v[3:4], v[44:45]
	ds_read_b128 v[44:47], v52 offset:4320
	s_waitcnt lgkmcnt(0)
	v_fma_f64 v[48:49], v[16:17], v[44:45], v[48:49]
	v_fma_f64 v[7:8], v[18:19], v[44:45], v[7:8]
	ds_read2_b64 v[16:19], v2 offset0:160 offset1:176
	s_waitcnt lgkmcnt(0)
	v_fma_f64 v[9:10], v[16:17], v[5:6], v[9:10]
	v_fma_f64 v[44:45], v[18:19], v[5:6], v[3:4]
	v_fma_f64 v[48:49], v[16:17], v[46:47], v[48:49]
	v_fma_f64 v[7:8], v[18:19], v[46:47], v[7:8]
	ds_read_b128 v[3:6], v52 offset:240
	ds_read2_b64 v[16:19], v2 offset0:192 offset1:208
	ds_read_b128 v[56:59], v52 offset:4336
	s_waitcnt lgkmcnt(1)
	v_fma_f64 v[9:10], v[16:17], v[3:4], v[9:10]
	v_fma_f64 v[3:4], v[18:19], v[3:4], v[44:45]
	s_waitcnt lgkmcnt(0)
	v_fma_f64 v[44:45], v[16:17], v[56:57], v[48:49]
	v_fma_f64 v[7:8], v[18:19], v[56:57], v[7:8]
	ds_read2_b64 v[16:19], v2 offset0:224 offset1:240
	v_mov_b32_e32 v2, s31
	v_addc_co_u32_e32 v43, vcc, v43, v2, vcc
	v_add_co_u32_e32 v32, vcc, 0x100, v32
	s_waitcnt lgkmcnt(0)
	v_fma_f64 v[50:51], v[16:17], v[5:6], v[9:10]
	v_fma_f64 v[48:49], v[18:19], v[5:6], v[3:4]
	;; [unrolled: 1-line block ×4, first 2 shown]
	v_addc_co_u32_e32 v33, vcc, 0, v33, vcc
	s_barrier
	s_cbranch_scc1 .LBB48_44
.LBB48_7:                               ;   Parent Loop BB48_4 Depth=1
                                        ; =>  This Inner Loop Header: Depth=2
	v_mov_b32_e32 v3, s47
	v_add_co_u32_e32 v2, vcc, s46, v12
	v_add_co_u32_e64 v4, s[12:13], v32, v26
	v_addc_co_u32_e32 v3, vcc, v13, v3, vcc
	v_addc_co_u32_e64 v5, s[12:13], v33, v27, s[12:13]
	v_cmp_lt_i64_e64 s[12:13], v[2:3], v[22:23]
	v_cmp_eq_u64_e32 vcc, s[46:47], v[24:25]
	v_cmp_le_i64_e64 s[14:15], s[38:39], v[2:3]
	s_or_b64 s[16:17], s[8:9], s[12:13]
	s_and_b64 vcc, s[28:29], vcc
	s_or_b64 s[16:17], s[14:15], s[16:17]
	s_nor_b64 s[16:17], s[16:17], vcc
                                        ; implicit-def: $vgpr6_vgpr7
	s_and_saveexec_b64 s[18:19], s[16:17]
	s_xor_b64 s[16:17], exec, s[18:19]
	s_cbranch_execz .LBB48_9
; %bb.8:                                ;   in Loop: Header=BB48_7 Depth=2
	global_load_dwordx2 v[6:7], v[4:5], off
.LBB48_9:                               ;   in Loop: Header=BB48_7 Depth=2
	s_andn2_saveexec_b64 s[16:17], s[16:17]
	s_cbranch_execz .LBB48_11
; %bb.10:                               ;   in Loop: Header=BB48_7 Depth=2
	v_cndmask_b32_e32 v21, 0, v0, vcc
	s_waitcnt vmcnt(0)
	v_mov_b32_e32 v6, v20
	v_mov_b32_e32 v7, v21
.LBB48_11:                              ;   in Loop: Header=BB48_7 Depth=2
	s_or_b64 exec, exec, s[16:17]
	s_waitcnt vmcnt(0)
	ds_write_b64 v53, v[6:7]
	v_add_co_u32_e64 v6, s[18:19], 16, v2
	v_cmp_eq_u64_e64 s[16:17], s[46:47], v[40:41]
	v_addc_co_u32_e64 v7, s[18:19], 0, v3, s[18:19]
	v_cmp_lt_i64_e64 s[18:19], v[6:7], v[22:23]
	s_and_b64 s[22:23], s[28:29], s[16:17]
	v_cmp_le_i64_e64 s[16:17], s[38:39], v[6:7]
	s_or_b64 s[18:19], s[8:9], s[18:19]
	s_or_b64 s[18:19], s[16:17], s[18:19]
	s_nor_b64 s[18:19], s[18:19], s[22:23]
	s_and_saveexec_b64 s[60:61], s[18:19]
	s_xor_b64 s[18:19], exec, s[60:61]
	s_cbranch_execz .LBB48_13
; %bb.12:                               ;   in Loop: Header=BB48_7 Depth=2
	global_load_dwordx2 v[4:5], v[4:5], off offset:128
	s_waitcnt vmcnt(0)
	ds_write_b64 v53, v[4:5] offset:128
.LBB48_13:                              ;   in Loop: Header=BB48_7 Depth=2
	s_andn2_saveexec_b64 s[18:19], s[18:19]
	s_cbranch_execz .LBB48_19
; %bb.14:                               ;   in Loop: Header=BB48_7 Depth=2
	s_xor_b64 s[22:23], s[22:23], -1
	s_and_saveexec_b64 s[60:61], s[22:23]
	s_xor_b64 s[22:23], exec, s[60:61]
; %bb.15:                               ;   in Loop: Header=BB48_7 Depth=2
	v_mov_b32_e32 v21, v20
	ds_write_b64 v53, v[20:21] offset:128
; %bb.16:                               ;   in Loop: Header=BB48_7 Depth=2
	s_andn2_saveexec_b64 s[22:23], s[22:23]
; %bb.17:                               ;   in Loop: Header=BB48_7 Depth=2
	v_mov_b32_e32 v21, v0
	ds_write_b64 v53, v[20:21] offset:128
; %bb.18:                               ;   in Loop: Header=BB48_7 Depth=2
	s_or_b64 exec, exec, s[22:23]
.LBB48_19:                              ;   in Loop: Header=BB48_7 Depth=2
	s_or_b64 exec, exec, s[18:19]
	v_add_co_u32_e64 v4, s[18:19], v28, v26
	v_addc_co_u32_e64 v5, s[18:19], v29, v27, s[18:19]
	v_cmp_eq_u64_e64 s[18:19], s[46:47], v[38:39]
	v_cmp_lt_i64_e64 s[22:23], v[2:3], v[36:37]
	s_and_b64 s[18:19], s[28:29], s[18:19]
	s_or_b64 s[22:23], s[10:11], s[22:23]
	s_or_b64 s[22:23], s[22:23], s[18:19]
	s_nor_b64 s[14:15], s[14:15], s[22:23]
                                        ; implicit-def: $vgpr2_vgpr3
	s_and_saveexec_b64 s[22:23], s[14:15]
	s_xor_b64 s[14:15], exec, s[22:23]
	s_cbranch_execz .LBB48_21
; %bb.20:                               ;   in Loop: Header=BB48_7 Depth=2
	global_load_dwordx2 v[2:3], v[4:5], off
.LBB48_21:                              ;   in Loop: Header=BB48_7 Depth=2
	s_andn2_saveexec_b64 s[14:15], s[14:15]
	s_cbranch_execz .LBB48_23
; %bb.22:                               ;   in Loop: Header=BB48_7 Depth=2
	v_cndmask_b32_e64 v21, 0, v0, s[18:19]
	s_waitcnt vmcnt(0)
	v_mov_b32_e32 v2, v20
	v_mov_b32_e32 v3, v21
.LBB48_23:                              ;   in Loop: Header=BB48_7 Depth=2
	s_or_b64 exec, exec, s[14:15]
	s_or_b64 s[12:13], s[10:11], s[12:13]
	s_or_b64 s[12:13], s[16:17], s[12:13]
	s_nor_b64 s[12:13], s[12:13], vcc
	s_waitcnt vmcnt(0)
	ds_write_b64 v53, v[2:3] offset:4096
	s_and_saveexec_b64 s[14:15], s[12:13]
	s_xor_b64 s[12:13], exec, s[14:15]
	s_cbranch_execz .LBB48_25
; %bb.24:                               ;   in Loop: Header=BB48_7 Depth=2
	global_load_dwordx2 v[2:3], v[4:5], off offset:128
	s_waitcnt vmcnt(0)
	ds_write_b64 v53, v[2:3] offset:4224
.LBB48_25:                              ;   in Loop: Header=BB48_7 Depth=2
	s_andn2_saveexec_b64 s[12:13], s[12:13]
	s_cbranch_execz .LBB48_31
; %bb.26:                               ;   in Loop: Header=BB48_7 Depth=2
	s_xor_b64 s[14:15], vcc, -1
	s_and_saveexec_b64 s[16:17], s[14:15]
	s_xor_b64 s[14:15], exec, s[16:17]
; %bb.27:                               ;   in Loop: Header=BB48_7 Depth=2
	v_mov_b32_e32 v21, v20
	ds_write_b64 v53, v[20:21] offset:4224
; %bb.28:                               ;   in Loop: Header=BB48_7 Depth=2
	s_andn2_saveexec_b64 s[14:15], s[14:15]
; %bb.29:                               ;   in Loop: Header=BB48_7 Depth=2
	v_mov_b32_e32 v21, v0
	ds_write_b64 v53, v[20:21] offset:4224
; %bb.30:                               ;   in Loop: Header=BB48_7 Depth=2
	s_or_b64 exec, exec, s[14:15]
.LBB48_31:                              ;   in Loop: Header=BB48_7 Depth=2
	s_or_b64 exec, exec, s[12:13]
	v_mov_b32_e32 v3, s47
	v_add_co_u32_e32 v2, vcc, s46, v14
	v_addc_co_u32_e32 v3, vcc, v15, v3, vcc
	v_add_co_u32_e32 v4, vcc, v30, v42
	v_addc_co_u32_e32 v5, vcc, v31, v43, vcc
	v_cmp_le_i64_e32 vcc, s[38:39], v[2:3]
	v_mov_b32_e32 v6, 0
	v_mov_b32_e32 v7, 0
	s_nor_b64 s[14:15], vcc, s[0:1]
	s_and_saveexec_b64 s[12:13], s[14:15]
	s_cbranch_execz .LBB48_33
; %bb.32:                               ;   in Loop: Header=BB48_7 Depth=2
	global_load_dwordx2 v[6:7], v[4:5], off offset:-128
.LBB48_33:                              ;   in Loop: Header=BB48_7 Depth=2
	s_or_b64 exec, exec, s[12:13]
	s_nor_b64 s[12:13], vcc, s[2:3]
	s_waitcnt vmcnt(0)
	ds_write_b64 v55, v[6:7]
	s_and_saveexec_b64 s[14:15], s[12:13]
	s_xor_b64 s[12:13], exec, s[14:15]
	s_cbranch_execz .LBB48_35
; %bb.34:                               ;   in Loop: Header=BB48_7 Depth=2
	global_load_dwordx2 v[4:5], v[4:5], off
	s_waitcnt vmcnt(0)
	ds_write_b64 v55, v[4:5] offset:128
.LBB48_35:                              ;   in Loop: Header=BB48_7 Depth=2
	s_andn2_saveexec_b64 s[12:13], s[12:13]
; %bb.36:                               ;   in Loop: Header=BB48_7 Depth=2
	v_mov_b32_e32 v21, v20
	ds_write_b64 v55, v[20:21] offset:128
; %bb.37:                               ;   in Loop: Header=BB48_7 Depth=2
	s_or_b64 exec, exec, s[12:13]
	v_cmp_le_i64_e32 vcc, s[54:55], v[2:3]
	v_add_co_u32_e64 v2, s[12:13], v34, v42
	v_mov_b32_e32 v4, 0
	v_addc_co_u32_e64 v3, s[12:13], v35, v43, s[12:13]
	v_mov_b32_e32 v5, 0
	s_nor_b64 s[14:15], vcc, s[0:1]
	s_and_saveexec_b64 s[12:13], s[14:15]
	s_cbranch_execz .LBB48_39
; %bb.38:                               ;   in Loop: Header=BB48_7 Depth=2
	global_load_dwordx2 v[4:5], v[2:3], off
.LBB48_39:                              ;   in Loop: Header=BB48_7 Depth=2
	s_or_b64 exec, exec, s[12:13]
	s_nor_b64 s[12:13], vcc, s[2:3]
	s_waitcnt vmcnt(0)
	ds_write_b64 v55, v[4:5] offset:4096
	s_and_saveexec_b64 s[14:15], s[12:13]
	s_xor_b64 s[12:13], exec, s[14:15]
	s_cbranch_execz .LBB48_41
; %bb.40:                               ;   in Loop: Header=BB48_7 Depth=2
	global_load_dwordx2 v[2:3], v[2:3], off offset:128
	s_waitcnt vmcnt(0)
	ds_write_b64 v55, v[2:3] offset:4224
.LBB48_41:                              ;   in Loop: Header=BB48_7 Depth=2
	s_andn2_saveexec_b64 s[12:13], s[12:13]
	s_cbranch_execz .LBB48_6
; %bb.42:                               ;   in Loop: Header=BB48_7 Depth=2
	v_mov_b32_e32 v21, v20
	ds_write_b64 v55, v[20:21] offset:4224
	s_branch .LBB48_6
.LBB48_43:                              ;   in Loop: Header=BB48_4 Depth=1
	v_mov_b32_e32 v50, 0
	v_mov_b32_e32 v48, 0
	v_mov_b32_e32 v46, 0
	v_mov_b32_e32 v44, 0
	v_mov_b32_e32 v51, 0
	v_mov_b32_e32 v49, 0
	v_mov_b32_e32 v47, 0
	v_mov_b32_e32 v45, 0
.LBB48_44:                              ;   in Loop: Header=BB48_4 Depth=1
	v_mul_lo_u32 v4, s53, v22
	v_mul_lo_u32 v5, s52, v23
	v_mad_u64_u32 v[2:3], s[8:9], s52, v22, 0
	v_cmp_gt_i32_e32 vcc, s38, v22
	v_add3_u32 v3, v3, v5, v4
	v_lshlrev_b64 v[2:3], 3, v[2:3]
	v_mov_b32_e32 v4, s58
	v_add_co_u32_e64 v2, s[8:9], s57, v2
	v_addc_co_u32_e64 v3, s[8:9], v4, v3, s[8:9]
	s_and_b64 s[8:9], s[4:5], vcc
	s_and_saveexec_b64 s[10:11], s[8:9]
	s_cbranch_execz .LBB48_46
; %bb.45:                               ;   in Loop: Header=BB48_4 Depth=1
	buffer_load_dword v4, off, s[64:67], 0 offset:8 ; 4-byte Folded Reload
	buffer_load_dword v5, off, s[64:67], 0 offset:12 ; 4-byte Folded Reload
	s_waitcnt vmcnt(1)
	v_add_co_u32_e64 v4, s[8:9], v2, v4
	s_waitcnt vmcnt(0)
	v_addc_co_u32_e64 v5, s[8:9], v3, v5, s[8:9]
	global_load_dwordx2 v[6:7], v[4:5], off
	s_waitcnt vmcnt(0)
	v_fma_f64 v[6:7], s[34:35], v[50:51], v[6:7]
	global_store_dwordx2 v[4:5], v[6:7], off
.LBB48_46:                              ;   in Loop: Header=BB48_4 Depth=1
	s_or_b64 exec, exec, s[10:11]
	s_and_b64 s[10:11], s[20:21], vcc
	s_and_saveexec_b64 s[8:9], s[10:11]
	s_cbranch_execz .LBB48_48
; %bb.47:                               ;   in Loop: Header=BB48_4 Depth=1
	buffer_load_dword v4, off, s[64:67], 0  ; 4-byte Folded Reload
	buffer_load_dword v5, off, s[64:67], 0 offset:4 ; 4-byte Folded Reload
	s_waitcnt vmcnt(0)
	v_lshlrev_b64 v[4:5], 3, v[4:5]
	v_add_co_u32_e32 v2, vcc, v2, v4
	v_addc_co_u32_e32 v3, vcc, v3, v5, vcc
	global_load_dwordx2 v[4:5], v[2:3], off
	s_waitcnt vmcnt(0)
	v_fma_f64 v[4:5], s[34:35], v[48:49], v[4:5]
	global_store_dwordx2 v[2:3], v[4:5], off
.LBB48_48:                              ;   in Loop: Header=BB48_4 Depth=1
	s_or_b64 exec, exec, s[8:9]
	v_add_u32_e32 v4, 16, v22
	v_ashrrev_i32_e32 v2, 31, v4
	v_mul_lo_u32 v5, s52, v2
	v_mul_lo_u32 v6, s53, v4
	v_mad_u64_u32 v[2:3], s[8:9], s52, v4, 0
	v_cmp_gt_i32_e32 vcc, s38, v4
	v_mov_b32_e32 v4, s58
	v_add3_u32 v3, v3, v5, v6
	v_lshlrev_b64 v[2:3], 3, v[2:3]
	v_add_co_u32_e64 v2, s[8:9], s57, v2
	v_addc_co_u32_e64 v3, s[8:9], v4, v3, s[8:9]
	s_and_b64 s[8:9], s[4:5], vcc
	s_and_saveexec_b64 s[10:11], s[8:9]
	s_cbranch_execz .LBB48_50
; %bb.49:                               ;   in Loop: Header=BB48_4 Depth=1
	buffer_load_dword v4, off, s[64:67], 0 offset:8 ; 4-byte Folded Reload
	buffer_load_dword v5, off, s[64:67], 0 offset:12 ; 4-byte Folded Reload
	s_waitcnt vmcnt(1)
	v_add_co_u32_e64 v4, s[8:9], v2, v4
	s_waitcnt vmcnt(0)
	v_addc_co_u32_e64 v5, s[8:9], v3, v5, s[8:9]
	global_load_dwordx2 v[6:7], v[4:5], off
	s_waitcnt vmcnt(0)
	v_fma_f64 v[6:7], s[34:35], v[46:47], v[6:7]
	global_store_dwordx2 v[4:5], v[6:7], off
.LBB48_50:                              ;   in Loop: Header=BB48_4 Depth=1
	s_or_b64 exec, exec, s[10:11]
	s_and_b64 s[10:11], s[20:21], vcc
	s_and_saveexec_b64 s[8:9], s[10:11]
	s_cbranch_execz .LBB48_3
; %bb.51:                               ;   in Loop: Header=BB48_4 Depth=1
	buffer_load_dword v4, off, s[64:67], 0  ; 4-byte Folded Reload
	buffer_load_dword v5, off, s[64:67], 0 offset:4 ; 4-byte Folded Reload
	s_waitcnt vmcnt(0)
	v_lshlrev_b64 v[4:5], 3, v[4:5]
	v_add_co_u32_e32 v2, vcc, v2, v4
	v_addc_co_u32_e32 v3, vcc, v3, v5, vcc
	global_load_dwordx2 v[4:5], v[2:3], off
	s_waitcnt vmcnt(0)
	v_fma_f64 v[4:5], s[34:35], v[44:45], v[4:5]
	global_store_dwordx2 v[2:3], v[4:5], off
	s_branch .LBB48_3
.LBB48_52:
	s_endpgm
	.section	.rodata,"a",@progbits
	.p2align	6, 0x0
	.amdhsa_kernel _ZL30rocblas_trmm_outofplace_kernelIdLi32ELi2ELb0ELb0ELb0ELb0EPKdS0_dEv17rocblas_diagonal_iiT6_lPT7_lllS5_lllPT8_llli
		.amdhsa_group_segment_fixed_size 16384
		.amdhsa_private_segment_fixed_size 28
		.amdhsa_kernarg_size 392
		.amdhsa_user_sgpr_count 6
		.amdhsa_user_sgpr_private_segment_buffer 1
		.amdhsa_user_sgpr_dispatch_ptr 0
		.amdhsa_user_sgpr_queue_ptr 0
		.amdhsa_user_sgpr_kernarg_segment_ptr 1
		.amdhsa_user_sgpr_dispatch_id 0
		.amdhsa_user_sgpr_flat_scratch_init 0
		.amdhsa_user_sgpr_private_segment_size 0
		.amdhsa_uses_dynamic_stack 0
		.amdhsa_system_sgpr_private_segment_wavefront_offset 1
		.amdhsa_system_sgpr_workgroup_id_x 1
		.amdhsa_system_sgpr_workgroup_id_y 1
		.amdhsa_system_sgpr_workgroup_id_z 1
		.amdhsa_system_sgpr_workgroup_info 0
		.amdhsa_system_vgpr_workitem_id 1
		.amdhsa_next_free_vgpr 64
		.amdhsa_next_free_sgpr 68
		.amdhsa_reserve_vcc 1
		.amdhsa_reserve_flat_scratch 0
		.amdhsa_float_round_mode_32 0
		.amdhsa_float_round_mode_16_64 0
		.amdhsa_float_denorm_mode_32 3
		.amdhsa_float_denorm_mode_16_64 3
		.amdhsa_dx10_clamp 1
		.amdhsa_ieee_mode 1
		.amdhsa_fp16_overflow 0
		.amdhsa_exception_fp_ieee_invalid_op 0
		.amdhsa_exception_fp_denorm_src 0
		.amdhsa_exception_fp_ieee_div_zero 0
		.amdhsa_exception_fp_ieee_overflow 0
		.amdhsa_exception_fp_ieee_underflow 0
		.amdhsa_exception_fp_ieee_inexact 0
		.amdhsa_exception_int_div_zero 0
	.end_amdhsa_kernel
	.section	.text._ZL30rocblas_trmm_outofplace_kernelIdLi32ELi2ELb0ELb0ELb0ELb0EPKdS0_dEv17rocblas_diagonal_iiT6_lPT7_lllS5_lllPT8_llli,"axG",@progbits,_ZL30rocblas_trmm_outofplace_kernelIdLi32ELi2ELb0ELb0ELb0ELb0EPKdS0_dEv17rocblas_diagonal_iiT6_lPT7_lllS5_lllPT8_llli,comdat
.Lfunc_end48:
	.size	_ZL30rocblas_trmm_outofplace_kernelIdLi32ELi2ELb0ELb0ELb0ELb0EPKdS0_dEv17rocblas_diagonal_iiT6_lPT7_lllS5_lllPT8_llli, .Lfunc_end48-_ZL30rocblas_trmm_outofplace_kernelIdLi32ELi2ELb0ELb0ELb0ELb0EPKdS0_dEv17rocblas_diagonal_iiT6_lPT7_lllS5_lllPT8_llli
                                        ; -- End function
	.set _ZL30rocblas_trmm_outofplace_kernelIdLi32ELi2ELb0ELb0ELb0ELb0EPKdS0_dEv17rocblas_diagonal_iiT6_lPT7_lllS5_lllPT8_llli.num_vgpr, 64
	.set _ZL30rocblas_trmm_outofplace_kernelIdLi32ELi2ELb0ELb0ELb0ELb0EPKdS0_dEv17rocblas_diagonal_iiT6_lPT7_lllS5_lllPT8_llli.num_agpr, 0
	.set _ZL30rocblas_trmm_outofplace_kernelIdLi32ELi2ELb0ELb0ELb0ELb0EPKdS0_dEv17rocblas_diagonal_iiT6_lPT7_lllS5_lllPT8_llli.numbered_sgpr, 68
	.set _ZL30rocblas_trmm_outofplace_kernelIdLi32ELi2ELb0ELb0ELb0ELb0EPKdS0_dEv17rocblas_diagonal_iiT6_lPT7_lllS5_lllPT8_llli.num_named_barrier, 0
	.set _ZL30rocblas_trmm_outofplace_kernelIdLi32ELi2ELb0ELb0ELb0ELb0EPKdS0_dEv17rocblas_diagonal_iiT6_lPT7_lllS5_lllPT8_llli.private_seg_size, 28
	.set _ZL30rocblas_trmm_outofplace_kernelIdLi32ELi2ELb0ELb0ELb0ELb0EPKdS0_dEv17rocblas_diagonal_iiT6_lPT7_lllS5_lllPT8_llli.uses_vcc, 1
	.set _ZL30rocblas_trmm_outofplace_kernelIdLi32ELi2ELb0ELb0ELb0ELb0EPKdS0_dEv17rocblas_diagonal_iiT6_lPT7_lllS5_lllPT8_llli.uses_flat_scratch, 0
	.set _ZL30rocblas_trmm_outofplace_kernelIdLi32ELi2ELb0ELb0ELb0ELb0EPKdS0_dEv17rocblas_diagonal_iiT6_lPT7_lllS5_lllPT8_llli.has_dyn_sized_stack, 0
	.set _ZL30rocblas_trmm_outofplace_kernelIdLi32ELi2ELb0ELb0ELb0ELb0EPKdS0_dEv17rocblas_diagonal_iiT6_lPT7_lllS5_lllPT8_llli.has_recursion, 0
	.set _ZL30rocblas_trmm_outofplace_kernelIdLi32ELi2ELb0ELb0ELb0ELb0EPKdS0_dEv17rocblas_diagonal_iiT6_lPT7_lllS5_lllPT8_llli.has_indirect_call, 0
	.section	.AMDGPU.csdata,"",@progbits
; Kernel info:
; codeLenInByte = 3900
; TotalNumSgprs: 72
; NumVgprs: 64
; ScratchSize: 28
; MemoryBound: 0
; FloatMode: 240
; IeeeMode: 1
; LDSByteSize: 16384 bytes/workgroup (compile time only)
; SGPRBlocks: 8
; VGPRBlocks: 15
; NumSGPRsForWavesPerEU: 72
; NumVGPRsForWavesPerEU: 64
; Occupancy: 4
; WaveLimiterHint : 0
; COMPUTE_PGM_RSRC2:SCRATCH_EN: 1
; COMPUTE_PGM_RSRC2:USER_SGPR: 6
; COMPUTE_PGM_RSRC2:TRAP_HANDLER: 0
; COMPUTE_PGM_RSRC2:TGID_X_EN: 1
; COMPUTE_PGM_RSRC2:TGID_Y_EN: 1
; COMPUTE_PGM_RSRC2:TGID_Z_EN: 1
; COMPUTE_PGM_RSRC2:TIDIG_COMP_CNT: 1
	.section	.text._ZL30rocblas_trmm_outofplace_kernelIdLi32ELi2ELb0ELb0ELb0ELb0EdKddEv17rocblas_diagonal_iiT6_lPT7_lllS4_lllPT8_llli,"axG",@progbits,_ZL30rocblas_trmm_outofplace_kernelIdLi32ELi2ELb0ELb0ELb0ELb0EdKddEv17rocblas_diagonal_iiT6_lPT7_lllS4_lllPT8_llli,comdat
	.globl	_ZL30rocblas_trmm_outofplace_kernelIdLi32ELi2ELb0ELb0ELb0ELb0EdKddEv17rocblas_diagonal_iiT6_lPT7_lllS4_lllPT8_llli ; -- Begin function _ZL30rocblas_trmm_outofplace_kernelIdLi32ELi2ELb0ELb0ELb0ELb0EdKddEv17rocblas_diagonal_iiT6_lPT7_lllS4_lllPT8_llli
	.p2align	8
	.type	_ZL30rocblas_trmm_outofplace_kernelIdLi32ELi2ELb0ELb0ELb0ELb0EdKddEv17rocblas_diagonal_iiT6_lPT7_lllS4_lllPT8_llli,@function
_ZL30rocblas_trmm_outofplace_kernelIdLi32ELi2ELb0ELb0ELb0ELb0EdKddEv17rocblas_diagonal_iiT6_lPT7_lllS4_lllPT8_llli: ; @_ZL30rocblas_trmm_outofplace_kernelIdLi32ELi2ELb0ELb0ELb0ELb0EdKddEv17rocblas_diagonal_iiT6_lPT7_lllS4_lllPT8_llli
; %bb.0:
	s_load_dwordx2 s[34:35], s[4:5], 0x10
	s_mov_b64 s[66:67], s[2:3]
	s_mov_b64 s[64:65], s[0:1]
	s_add_u32 s64, s64, s9
	s_addc_u32 s65, s65, 0
	s_waitcnt lgkmcnt(0)
	v_cmp_eq_f64_e64 s[0:1], s[34:35], 0
	s_and_b64 vcc, exec, s[0:1]
	s_cbranch_vccnz .LBB49_52
; %bb.1:
	s_load_dwordx4 s[28:31], s[4:5], 0x0
	s_waitcnt lgkmcnt(0)
	s_add_i32 s0, s30, -1
	s_ashr_i32 s1, s0, 31
	s_lshr_b32 s1, s1, 27
	s_add_i32 s0, s0, s1
	s_ashr_i32 s33, s0, 5
	s_cmp_gt_i32 s7, s33
	s_cbranch_scc1 .LBB49_52
; %bb.2:
	s_load_dwordx8 s[20:27], s[4:5], 0x60
	s_load_dwordx16 s[36:51], s[4:5], 0x20
	v_lshl_add_u32 v2, s6, 5, v0
	s_load_dword s6, s[4:5], 0x8c
	v_ashrrev_i32_e32 v3, 31, v2
	s_waitcnt lgkmcnt(0)
	s_mul_i32 s1, s27, s8
	s_mul_hi_u32 s2, s26, s8
	s_mul_i32 s0, s26, s8
	s_add_i32 s1, s2, s1
	s_lshl_b64 s[0:1], s[0:1], 3
	s_add_u32 s2, s20, s0
	s_addc_u32 s3, s21, s1
	s_lshl_b64 s[0:1], s[22:23], 3
	s_add_u32 s56, s2, s0
	s_addc_u32 s57, s3, s1
	s_cmpk_eq_i32 s28, 0x84
	s_cselect_b64 s[26:27], -1, 0
	s_ashr_i32 s31, s30, 31
	s_ashr_i32 s0, s29, 31
	s_lshl_b64 s[52:53], s[48:49], 8
	s_add_u32 s54, s30, -16
	s_addc_u32 s55, s31, -1
	s_lshl_b32 s9, s7, 5
	v_add_u32_e32 v12, s9, v0
	v_add_u32_e32 v14, s9, v1
	s_mul_i32 s9, s43, s8
	s_mul_hi_u32 s10, s42, s8
	s_add_i32 s11, s10, s9
	s_mul_i32 s10, s42, s8
	s_lshl_b32 s58, s6, 5
	s_lshl_b64 s[10:11], s[10:11], 3
	s_lshl_b64 s[12:13], s[38:39], 3
	v_mov_b32_e32 v5, s0
	v_sub_co_u32_e32 v4, vcc, s29, v2
	s_add_u32 s9, s10, s12
	v_subb_co_u32_e32 v5, vcc, v5, v3, vcc
	s_addc_u32 s10, s11, s13
	v_cmp_gt_i64_e64 s[0:1], 1, v[4:5]
	v_cmp_gt_i64_e64 s[2:3], 17, v[4:5]
	v_add_u32_e32 v4, 16, v2
	s_add_u32 s28, s36, s9
	v_cmp_gt_i32_e64 s[4:5], s29, v2
	v_cmp_gt_i32_e64 s[20:21], s29, v4
	s_addc_u32 s29, s37, s10
	s_add_u32 s36, s44, 0x80
	s_mul_i32 s9, s51, s8
	s_mul_hi_u32 s10, s50, s8
	s_addc_u32 s37, s45, 0
	s_add_i32 s9, s10, s9
	s_mul_i32 s8, s50, s8
	v_ashrrev_i32_e32 v5, 31, v4
	s_lshl_b64 s[38:39], s[48:49], 3
	s_lshl_b64 s[8:9], s[8:9], 3
	;; [unrolled: 1-line block ×3, first 2 shown]
	v_lshlrev_b64 v[2:3], 3, v[2:3]
	buffer_store_dword v4, off, s[64:67], 0 ; 4-byte Folded Spill
	s_nop 0
	buffer_store_dword v5, off, s[64:67], 0 offset:4 ; 4-byte Folded Spill
	s_add_u32 s8, s8, s10
	v_add_co_u32_e32 v4, vcc, s8, v2
	buffer_store_dword v2, off, s[64:67], 0 offset:8 ; 4-byte Folded Spill
	s_nop 0
	buffer_store_dword v3, off, s[64:67], 0 offset:12 ; 4-byte Folded Spill
	v_lshlrev_b32_e32 v6, 3, v0
	s_addc_u32 s9, s9, s11
	v_lshlrev_b32_e32 v52, 8, v1
	v_or_b32_e32 v54, 0x2000, v6
	v_mov_b32_e32 v0, s9
	v_add_u32_e32 v53, v52, v6
	v_add_u32_e32 v55, v54, v52
	s_lshl_b64 s[42:43], s[40:41], 3
	v_mov_b32_e32 v20, 0
	s_movk_i32 s50, 0x100
	v_addc_co_u32_e32 v5, vcc, v0, v3, vcc
	v_mov_b32_e32 v0, 0x3ff00000
	buffer_store_dword v4, off, s[64:67], 0 offset:16 ; 4-byte Folded Spill
	s_nop 0
	buffer_store_dword v5, off, s[64:67], 0 offset:20 ; 4-byte Folded Spill
	s_branch .LBB49_4
.LBB49_3:                               ;   in Loop: Header=BB49_4 Depth=1
	s_or_b64 exec, exec, s[8:9]
	s_add_i32 s7, s6, s7
	v_add_u32_e32 v12, s58, v12
	s_cmp_le_i32 s7, s33
	v_add_u32_e32 v14, s58, v14
	s_cbranch_scc0 .LBB49_52
.LBB49_4:                               ; =>This Loop Header: Depth=1
                                        ;     Child Loop BB49_7 Depth 2
	s_lshl_b32 s8, s7, 5
	v_add_u32_e32 v22, s8, v1
	s_sub_i32 s51, s30, s8
	v_ashrrev_i32_e32 v13, 31, v12
	v_ashrrev_i32_e32 v15, 31, v14
	s_cmp_lt_i32 s51, 1
	v_ashrrev_i32_e32 v23, 31, v22
	s_cbranch_scc1 .LBB49_43
; %bb.5:                                ;   in Loop: Header=BB49_4 Depth=1
	buffer_load_dword v42, off, s[64:67], 0 offset:16 ; 4-byte Folded Reload
	buffer_load_dword v43, off, s[64:67], 0 offset:20 ; 4-byte Folded Reload
	v_sub_co_u32_e32 v24, vcc, v14, v12
	v_lshlrev_b64 v[2:3], 3, v[14:15]
	v_subb_co_u32_e32 v25, vcc, v15, v13, vcc
	v_add_co_u32_e32 v6, vcc, 0x80, v2
	v_addc_co_u32_e32 v7, vcc, 0, v3, vcc
	v_mov_b32_e32 v2, s28
	v_mov_b32_e32 v3, s29
	v_mad_u64_u32 v[28:29], s[8:9], s40, v6, v[2:3]
	v_mov_b32_e32 v4, s36
	v_mad_u64_u32 v[32:33], s[8:9], s42, v14, v[2:3]
	v_mov_b32_e32 v2, s44
	v_mov_b32_e32 v5, s37
	;; [unrolled: 1-line block ×3, first 2 shown]
	v_add_co_u32_e32 v36, vcc, 16, v22
	v_mul_lo_u32 v8, s40, v7
	v_mul_lo_u32 v9, s41, v6
	v_mad_u64_u32 v[30:31], s[8:9], s38, v14, v[4:5]
	v_mul_lo_u32 v4, s38, v15
	v_mul_lo_u32 v5, s39, v14
	;; [unrolled: 1-line block ×5, first 2 shown]
	v_mad_u64_u32 v[34:35], s[8:9], s48, v6, v[2:3]
	v_mul_lo_u32 v2, s49, v6
	v_addc_co_u32_e32 v37, vcc, 0, v23, vcc
	v_add_co_u32_e32 v38, vcc, 16, v24
	v_addc_co_u32_e32 v39, vcc, 0, v25, vcc
	v_lshlrev_b64 v[26:27], 3, v[12:13]
	v_cmp_le_i64_e64 s[10:11], s[30:31], v[36:37]
	v_add_co_u32_e32 v40, vcc, -16, v24
	v_mov_b32_e32 v44, 0
	v_mov_b32_e32 v46, 0
	;; [unrolled: 1-line block ×4, first 2 shown]
	v_add3_u32 v29, v9, v29, v8
	v_add3_u32 v31, v5, v31, v4
	;; [unrolled: 1-line block ×4, first 2 shown]
	v_cmp_le_i32_e64 s[8:9], s30, v22
	v_addc_co_u32_e32 v41, vcc, -1, v25, vcc
	v_mov_b32_e32 v45, 0
	s_mov_b64 s[46:47], 0
	v_mov_b32_e32 v47, 0
	v_mov_b32_e32 v49, 0
	;; [unrolled: 1-line block ×3, first 2 shown]
	s_branch .LBB49_7
.LBB49_6:                               ;   in Loop: Header=BB49_7 Depth=2
	s_or_b64 exec, exec, s[12:13]
	s_waitcnt lgkmcnt(0)
	s_barrier
	ds_read_b128 v[56:59], v52
	ds_read_b128 v[60:63], v52 offset:16
	ds_read_b128 v[6:9], v52 offset:32
	ds_read_b128 v[2:5], v52 offset:48
	ds_read2_b64 v[16:19], v54 offset1:16
	v_add_co_u32_e32 v28, vcc, s50, v28
	v_addc_co_u32_e32 v29, vcc, 0, v29, vcc
	s_waitcnt lgkmcnt(0)
	v_fma_f64 v[10:11], v[16:17], v[56:57], v[50:51]
	v_fma_f64 v[56:57], v[18:19], v[56:57], v[48:49]
	ds_read_b128 v[48:51], v52 offset:4096
	v_add_co_u32_e32 v42, vcc, s52, v42
	s_add_u32 s46, s46, 32
	s_addc_u32 s47, s47, 0
	s_waitcnt lgkmcnt(0)
	v_fma_f64 v[46:47], v[16:17], v[48:49], v[46:47]
	v_fma_f64 v[44:45], v[18:19], v[48:49], v[44:45]
	ds_read2_b64 v[16:19], v54 offset0:32 offset1:48
	s_cmp_ge_i32 s46, s51
	s_waitcnt lgkmcnt(0)
	v_fma_f64 v[10:11], v[16:17], v[58:59], v[10:11]
	v_fma_f64 v[48:49], v[18:19], v[58:59], v[56:57]
	v_fma_f64 v[56:57], v[16:17], v[50:51], v[46:47]
	v_fma_f64 v[50:51], v[18:19], v[50:51], v[44:45]
	ds_read2_b64 v[16:19], v54 offset0:64 offset1:80
	ds_read_b128 v[44:47], v52 offset:4112
	s_waitcnt lgkmcnt(1)
	v_fma_f64 v[10:11], v[16:17], v[60:61], v[10:11]
	v_fma_f64 v[48:49], v[18:19], v[60:61], v[48:49]
	s_waitcnt lgkmcnt(0)
	v_fma_f64 v[56:57], v[16:17], v[44:45], v[56:57]
	v_fma_f64 v[44:45], v[18:19], v[44:45], v[50:51]
	ds_read2_b64 v[16:19], v54 offset0:96 offset1:112
	s_waitcnt lgkmcnt(0)
	v_fma_f64 v[10:11], v[16:17], v[62:63], v[10:11]
	v_fma_f64 v[48:49], v[18:19], v[62:63], v[48:49]
	v_fma_f64 v[50:51], v[16:17], v[46:47], v[56:57]
	v_fma_f64 v[56:57], v[18:19], v[46:47], v[44:45]
	ds_read2_b64 v[16:19], v54 offset0:128 offset1:144
	ds_read_b128 v[44:47], v52 offset:4128
	s_waitcnt lgkmcnt(1)
	v_fma_f64 v[10:11], v[16:17], v[6:7], v[10:11]
	v_fma_f64 v[6:7], v[18:19], v[6:7], v[48:49]
	s_waitcnt lgkmcnt(0)
	v_fma_f64 v[48:49], v[16:17], v[44:45], v[50:51]
	v_fma_f64 v[44:45], v[18:19], v[44:45], v[56:57]
	ds_read2_b64 v[16:19], v54 offset0:160 offset1:176
	;; [unrolled: 14-line block ×3, first 2 shown]
	s_waitcnt lgkmcnt(0)
	v_fma_f64 v[10:11], v[6:7], v[4:5], v[10:11]
	v_fma_f64 v[44:45], v[8:9], v[4:5], v[2:3]
	v_add_u32_e32 v2, 0x800, v54
	v_fma_f64 v[48:49], v[6:7], v[18:19], v[46:47]
	v_fma_f64 v[7:8], v[8:9], v[18:19], v[16:17]
	ds_read_b128 v[3:6], v52 offset:64
	ds_read2_b64 v[16:19], v2 offset1:16
	s_waitcnt lgkmcnt(0)
	v_fma_f64 v[9:10], v[16:17], v[3:4], v[10:11]
	v_fma_f64 v[3:4], v[18:19], v[3:4], v[44:45]
	ds_read_b128 v[44:47], v52 offset:4160
	s_waitcnt lgkmcnt(0)
	v_fma_f64 v[48:49], v[16:17], v[44:45], v[48:49]
	v_fma_f64 v[7:8], v[18:19], v[44:45], v[7:8]
	ds_read2_b64 v[16:19], v2 offset0:32 offset1:48
	s_waitcnt lgkmcnt(0)
	v_fma_f64 v[9:10], v[16:17], v[5:6], v[9:10]
	v_fma_f64 v[44:45], v[18:19], v[5:6], v[3:4]
	v_fma_f64 v[48:49], v[16:17], v[46:47], v[48:49]
	v_fma_f64 v[7:8], v[18:19], v[46:47], v[7:8]
	ds_read_b128 v[3:6], v52 offset:80
	ds_read2_b64 v[16:19], v2 offset0:64 offset1:80
	s_waitcnt lgkmcnt(0)
	v_fma_f64 v[9:10], v[16:17], v[3:4], v[9:10]
	v_fma_f64 v[3:4], v[18:19], v[3:4], v[44:45]
	ds_read_b128 v[44:47], v52 offset:4176
	s_waitcnt lgkmcnt(0)
	v_fma_f64 v[48:49], v[16:17], v[44:45], v[48:49]
	v_fma_f64 v[7:8], v[18:19], v[44:45], v[7:8]
	ds_read2_b64 v[16:19], v2 offset0:96 offset1:112
	s_waitcnt lgkmcnt(0)
	v_fma_f64 v[9:10], v[16:17], v[5:6], v[9:10]
	v_fma_f64 v[44:45], v[18:19], v[5:6], v[3:4]
	v_fma_f64 v[48:49], v[16:17], v[46:47], v[48:49]
	v_fma_f64 v[7:8], v[18:19], v[46:47], v[7:8]
	ds_read_b128 v[3:6], v52 offset:96
	ds_read2_b64 v[16:19], v2 offset0:128 offset1:144
	;; [unrolled: 15-line block ×3, first 2 shown]
	s_waitcnt lgkmcnt(0)
	v_fma_f64 v[9:10], v[16:17], v[3:4], v[9:10]
	v_fma_f64 v[3:4], v[18:19], v[3:4], v[44:45]
	ds_read_b128 v[44:47], v52 offset:4208
	s_waitcnt lgkmcnt(0)
	v_fma_f64 v[48:49], v[16:17], v[44:45], v[48:49]
	v_fma_f64 v[7:8], v[18:19], v[44:45], v[7:8]
	ds_read2_b64 v[16:19], v2 offset0:224 offset1:240
	v_add_u32_e32 v2, 0x1000, v54
	s_waitcnt lgkmcnt(0)
	v_fma_f64 v[9:10], v[16:17], v[5:6], v[9:10]
	v_fma_f64 v[44:45], v[18:19], v[5:6], v[3:4]
	;; [unrolled: 1-line block ×4, first 2 shown]
	ds_read_b128 v[3:6], v52 offset:128
	ds_read2_b64 v[16:19], v2 offset1:16
	s_waitcnt lgkmcnt(0)
	v_fma_f64 v[9:10], v[16:17], v[3:4], v[9:10]
	v_fma_f64 v[3:4], v[18:19], v[3:4], v[44:45]
	ds_read_b128 v[44:47], v52 offset:4224
	s_waitcnt lgkmcnt(0)
	v_fma_f64 v[48:49], v[16:17], v[44:45], v[48:49]
	v_fma_f64 v[7:8], v[18:19], v[44:45], v[7:8]
	ds_read2_b64 v[16:19], v2 offset0:32 offset1:48
	s_waitcnt lgkmcnt(0)
	v_fma_f64 v[9:10], v[16:17], v[5:6], v[9:10]
	v_fma_f64 v[44:45], v[18:19], v[5:6], v[3:4]
	v_fma_f64 v[48:49], v[16:17], v[46:47], v[48:49]
	v_fma_f64 v[7:8], v[18:19], v[46:47], v[7:8]
	ds_read_b128 v[3:6], v52 offset:144
	ds_read2_b64 v[16:19], v2 offset0:64 offset1:80
	s_waitcnt lgkmcnt(0)
	v_fma_f64 v[9:10], v[16:17], v[3:4], v[9:10]
	v_fma_f64 v[3:4], v[18:19], v[3:4], v[44:45]
	ds_read_b128 v[44:47], v52 offset:4240
	s_waitcnt lgkmcnt(0)
	v_fma_f64 v[48:49], v[16:17], v[44:45], v[48:49]
	v_fma_f64 v[7:8], v[18:19], v[44:45], v[7:8]
	ds_read2_b64 v[16:19], v2 offset0:96 offset1:112
	s_waitcnt lgkmcnt(0)
	v_fma_f64 v[9:10], v[16:17], v[5:6], v[9:10]
	v_fma_f64 v[44:45], v[18:19], v[5:6], v[3:4]
	v_fma_f64 v[48:49], v[16:17], v[46:47], v[48:49]
	v_fma_f64 v[7:8], v[18:19], v[46:47], v[7:8]
	ds_read_b128 v[3:6], v52 offset:160
	ds_read2_b64 v[16:19], v2 offset0:128 offset1:144
	;; [unrolled: 15-line block ×3, first 2 shown]
	s_waitcnt lgkmcnt(0)
	v_fma_f64 v[9:10], v[16:17], v[3:4], v[9:10]
	v_fma_f64 v[3:4], v[18:19], v[3:4], v[44:45]
	ds_read_b128 v[44:47], v52 offset:4272
	s_waitcnt lgkmcnt(0)
	v_fma_f64 v[48:49], v[16:17], v[44:45], v[48:49]
	v_fma_f64 v[7:8], v[18:19], v[44:45], v[7:8]
	ds_read2_b64 v[16:19], v2 offset0:224 offset1:240
	v_add_u32_e32 v2, 0x1800, v54
	s_waitcnt lgkmcnt(0)
	v_fma_f64 v[9:10], v[16:17], v[5:6], v[9:10]
	v_fma_f64 v[44:45], v[18:19], v[5:6], v[3:4]
	;; [unrolled: 1-line block ×4, first 2 shown]
	ds_read_b128 v[3:6], v52 offset:192
	ds_read2_b64 v[16:19], v2 offset1:16
	s_waitcnt lgkmcnt(0)
	v_fma_f64 v[9:10], v[16:17], v[3:4], v[9:10]
	v_fma_f64 v[3:4], v[18:19], v[3:4], v[44:45]
	ds_read_b128 v[44:47], v52 offset:4288
	s_waitcnt lgkmcnt(0)
	v_fma_f64 v[48:49], v[16:17], v[44:45], v[48:49]
	v_fma_f64 v[7:8], v[18:19], v[44:45], v[7:8]
	ds_read2_b64 v[16:19], v2 offset0:32 offset1:48
	s_waitcnt lgkmcnt(0)
	v_fma_f64 v[9:10], v[16:17], v[5:6], v[9:10]
	v_fma_f64 v[44:45], v[18:19], v[5:6], v[3:4]
	v_fma_f64 v[48:49], v[16:17], v[46:47], v[48:49]
	v_fma_f64 v[7:8], v[18:19], v[46:47], v[7:8]
	ds_read_b128 v[3:6], v52 offset:208
	ds_read2_b64 v[16:19], v2 offset0:64 offset1:80
	s_waitcnt lgkmcnt(0)
	v_fma_f64 v[9:10], v[16:17], v[3:4], v[9:10]
	v_fma_f64 v[3:4], v[18:19], v[3:4], v[44:45]
	ds_read_b128 v[44:47], v52 offset:4304
	s_waitcnt lgkmcnt(0)
	v_fma_f64 v[48:49], v[16:17], v[44:45], v[48:49]
	v_fma_f64 v[7:8], v[18:19], v[44:45], v[7:8]
	ds_read2_b64 v[16:19], v2 offset0:96 offset1:112
	s_waitcnt lgkmcnt(0)
	v_fma_f64 v[9:10], v[16:17], v[5:6], v[9:10]
	v_fma_f64 v[44:45], v[18:19], v[5:6], v[3:4]
	v_fma_f64 v[48:49], v[16:17], v[46:47], v[48:49]
	v_fma_f64 v[7:8], v[18:19], v[46:47], v[7:8]
	ds_read_b128 v[3:6], v52 offset:224
	ds_read2_b64 v[16:19], v2 offset0:128 offset1:144
	;; [unrolled: 15-line block ×3, first 2 shown]
	ds_read_b128 v[56:59], v52 offset:4336
	s_waitcnt lgkmcnt(1)
	v_fma_f64 v[9:10], v[16:17], v[3:4], v[9:10]
	v_fma_f64 v[3:4], v[18:19], v[3:4], v[44:45]
	s_waitcnt lgkmcnt(0)
	v_fma_f64 v[44:45], v[16:17], v[56:57], v[48:49]
	v_fma_f64 v[7:8], v[18:19], v[56:57], v[7:8]
	ds_read2_b64 v[16:19], v2 offset0:224 offset1:240
	v_mov_b32_e32 v2, s53
	v_addc_co_u32_e32 v43, vcc, v43, v2, vcc
	v_add_co_u32_e32 v32, vcc, 0x100, v32
	s_waitcnt lgkmcnt(0)
	v_fma_f64 v[50:51], v[16:17], v[5:6], v[9:10]
	v_fma_f64 v[48:49], v[18:19], v[5:6], v[3:4]
	v_fma_f64 v[46:47], v[16:17], v[58:59], v[44:45]
	v_fma_f64 v[44:45], v[18:19], v[58:59], v[7:8]
	v_addc_co_u32_e32 v33, vcc, 0, v33, vcc
	s_barrier
	s_cbranch_scc1 .LBB49_44
.LBB49_7:                               ;   Parent Loop BB49_4 Depth=1
                                        ; =>  This Inner Loop Header: Depth=2
	v_mov_b32_e32 v3, s47
	v_add_co_u32_e32 v2, vcc, s46, v12
	v_add_co_u32_e64 v4, s[12:13], v32, v26
	v_addc_co_u32_e32 v3, vcc, v13, v3, vcc
	v_addc_co_u32_e64 v5, s[12:13], v33, v27, s[12:13]
	v_cmp_lt_i64_e64 s[12:13], v[2:3], v[22:23]
	v_cmp_eq_u64_e32 vcc, s[46:47], v[24:25]
	v_cmp_le_i64_e64 s[14:15], s[30:31], v[2:3]
	s_or_b64 s[16:17], s[8:9], s[12:13]
	s_and_b64 vcc, s[26:27], vcc
	s_or_b64 s[16:17], s[14:15], s[16:17]
	s_nor_b64 s[16:17], s[16:17], vcc
                                        ; implicit-def: $vgpr6_vgpr7
	s_and_saveexec_b64 s[18:19], s[16:17]
	s_xor_b64 s[16:17], exec, s[18:19]
	s_cbranch_execz .LBB49_9
; %bb.8:                                ;   in Loop: Header=BB49_7 Depth=2
	global_load_dwordx2 v[6:7], v[4:5], off
.LBB49_9:                               ;   in Loop: Header=BB49_7 Depth=2
	s_andn2_saveexec_b64 s[16:17], s[16:17]
	s_cbranch_execz .LBB49_11
; %bb.10:                               ;   in Loop: Header=BB49_7 Depth=2
	v_cndmask_b32_e32 v21, 0, v0, vcc
	s_waitcnt vmcnt(0)
	v_mov_b32_e32 v6, v20
	v_mov_b32_e32 v7, v21
.LBB49_11:                              ;   in Loop: Header=BB49_7 Depth=2
	s_or_b64 exec, exec, s[16:17]
	s_waitcnt vmcnt(0)
	ds_write_b64 v53, v[6:7]
	v_add_co_u32_e64 v6, s[18:19], 16, v2
	v_cmp_eq_u64_e64 s[16:17], s[46:47], v[40:41]
	v_addc_co_u32_e64 v7, s[18:19], 0, v3, s[18:19]
	v_cmp_lt_i64_e64 s[18:19], v[6:7], v[22:23]
	s_and_b64 s[22:23], s[26:27], s[16:17]
	v_cmp_le_i64_e64 s[16:17], s[30:31], v[6:7]
	s_or_b64 s[18:19], s[8:9], s[18:19]
	s_or_b64 s[18:19], s[16:17], s[18:19]
	s_nor_b64 s[18:19], s[18:19], s[22:23]
	s_and_saveexec_b64 s[60:61], s[18:19]
	s_xor_b64 s[18:19], exec, s[60:61]
	s_cbranch_execz .LBB49_13
; %bb.12:                               ;   in Loop: Header=BB49_7 Depth=2
	global_load_dwordx2 v[4:5], v[4:5], off offset:128
	s_waitcnt vmcnt(0)
	ds_write_b64 v53, v[4:5] offset:128
.LBB49_13:                              ;   in Loop: Header=BB49_7 Depth=2
	s_andn2_saveexec_b64 s[18:19], s[18:19]
	s_cbranch_execz .LBB49_19
; %bb.14:                               ;   in Loop: Header=BB49_7 Depth=2
	s_xor_b64 s[22:23], s[22:23], -1
	s_and_saveexec_b64 s[60:61], s[22:23]
	s_xor_b64 s[22:23], exec, s[60:61]
; %bb.15:                               ;   in Loop: Header=BB49_7 Depth=2
	v_mov_b32_e32 v21, v20
	ds_write_b64 v53, v[20:21] offset:128
; %bb.16:                               ;   in Loop: Header=BB49_7 Depth=2
	s_andn2_saveexec_b64 s[22:23], s[22:23]
; %bb.17:                               ;   in Loop: Header=BB49_7 Depth=2
	v_mov_b32_e32 v21, v0
	ds_write_b64 v53, v[20:21] offset:128
; %bb.18:                               ;   in Loop: Header=BB49_7 Depth=2
	s_or_b64 exec, exec, s[22:23]
.LBB49_19:                              ;   in Loop: Header=BB49_7 Depth=2
	s_or_b64 exec, exec, s[18:19]
	v_add_co_u32_e64 v4, s[18:19], v28, v26
	v_addc_co_u32_e64 v5, s[18:19], v29, v27, s[18:19]
	v_cmp_eq_u64_e64 s[18:19], s[46:47], v[38:39]
	v_cmp_lt_i64_e64 s[22:23], v[2:3], v[36:37]
	s_and_b64 s[18:19], s[26:27], s[18:19]
	s_or_b64 s[22:23], s[10:11], s[22:23]
	s_or_b64 s[22:23], s[22:23], s[18:19]
	s_nor_b64 s[14:15], s[14:15], s[22:23]
                                        ; implicit-def: $vgpr2_vgpr3
	s_and_saveexec_b64 s[22:23], s[14:15]
	s_xor_b64 s[14:15], exec, s[22:23]
	s_cbranch_execz .LBB49_21
; %bb.20:                               ;   in Loop: Header=BB49_7 Depth=2
	global_load_dwordx2 v[2:3], v[4:5], off
.LBB49_21:                              ;   in Loop: Header=BB49_7 Depth=2
	s_andn2_saveexec_b64 s[14:15], s[14:15]
	s_cbranch_execz .LBB49_23
; %bb.22:                               ;   in Loop: Header=BB49_7 Depth=2
	v_cndmask_b32_e64 v21, 0, v0, s[18:19]
	s_waitcnt vmcnt(0)
	v_mov_b32_e32 v2, v20
	v_mov_b32_e32 v3, v21
.LBB49_23:                              ;   in Loop: Header=BB49_7 Depth=2
	s_or_b64 exec, exec, s[14:15]
	s_or_b64 s[12:13], s[10:11], s[12:13]
	s_or_b64 s[12:13], s[16:17], s[12:13]
	s_nor_b64 s[12:13], s[12:13], vcc
	s_waitcnt vmcnt(0)
	ds_write_b64 v53, v[2:3] offset:4096
	s_and_saveexec_b64 s[14:15], s[12:13]
	s_xor_b64 s[12:13], exec, s[14:15]
	s_cbranch_execz .LBB49_25
; %bb.24:                               ;   in Loop: Header=BB49_7 Depth=2
	global_load_dwordx2 v[2:3], v[4:5], off offset:128
	s_waitcnt vmcnt(0)
	ds_write_b64 v53, v[2:3] offset:4224
.LBB49_25:                              ;   in Loop: Header=BB49_7 Depth=2
	s_andn2_saveexec_b64 s[12:13], s[12:13]
	s_cbranch_execz .LBB49_31
; %bb.26:                               ;   in Loop: Header=BB49_7 Depth=2
	s_xor_b64 s[14:15], vcc, -1
	s_and_saveexec_b64 s[16:17], s[14:15]
	s_xor_b64 s[14:15], exec, s[16:17]
; %bb.27:                               ;   in Loop: Header=BB49_7 Depth=2
	v_mov_b32_e32 v21, v20
	ds_write_b64 v53, v[20:21] offset:4224
; %bb.28:                               ;   in Loop: Header=BB49_7 Depth=2
	s_andn2_saveexec_b64 s[14:15], s[14:15]
; %bb.29:                               ;   in Loop: Header=BB49_7 Depth=2
	v_mov_b32_e32 v21, v0
	ds_write_b64 v53, v[20:21] offset:4224
; %bb.30:                               ;   in Loop: Header=BB49_7 Depth=2
	s_or_b64 exec, exec, s[14:15]
.LBB49_31:                              ;   in Loop: Header=BB49_7 Depth=2
	s_or_b64 exec, exec, s[12:13]
	v_mov_b32_e32 v3, s47
	v_add_co_u32_e32 v2, vcc, s46, v14
	v_addc_co_u32_e32 v3, vcc, v15, v3, vcc
	v_add_co_u32_e32 v4, vcc, v30, v42
	v_addc_co_u32_e32 v5, vcc, v31, v43, vcc
	v_cmp_le_i64_e32 vcc, s[30:31], v[2:3]
	v_mov_b32_e32 v6, 0
	v_mov_b32_e32 v7, 0
	s_nor_b64 s[14:15], vcc, s[0:1]
	s_and_saveexec_b64 s[12:13], s[14:15]
	s_cbranch_execz .LBB49_33
; %bb.32:                               ;   in Loop: Header=BB49_7 Depth=2
	global_load_dwordx2 v[6:7], v[4:5], off offset:-128
.LBB49_33:                              ;   in Loop: Header=BB49_7 Depth=2
	s_or_b64 exec, exec, s[12:13]
	s_nor_b64 s[12:13], vcc, s[2:3]
	s_waitcnt vmcnt(0)
	ds_write_b64 v55, v[6:7]
	s_and_saveexec_b64 s[14:15], s[12:13]
	s_xor_b64 s[12:13], exec, s[14:15]
	s_cbranch_execz .LBB49_35
; %bb.34:                               ;   in Loop: Header=BB49_7 Depth=2
	global_load_dwordx2 v[4:5], v[4:5], off
	s_waitcnt vmcnt(0)
	ds_write_b64 v55, v[4:5] offset:128
.LBB49_35:                              ;   in Loop: Header=BB49_7 Depth=2
	s_andn2_saveexec_b64 s[12:13], s[12:13]
; %bb.36:                               ;   in Loop: Header=BB49_7 Depth=2
	v_mov_b32_e32 v21, v20
	ds_write_b64 v55, v[20:21] offset:128
; %bb.37:                               ;   in Loop: Header=BB49_7 Depth=2
	s_or_b64 exec, exec, s[12:13]
	v_cmp_le_i64_e32 vcc, s[54:55], v[2:3]
	v_add_co_u32_e64 v2, s[12:13], v34, v42
	v_mov_b32_e32 v4, 0
	v_addc_co_u32_e64 v3, s[12:13], v35, v43, s[12:13]
	v_mov_b32_e32 v5, 0
	s_nor_b64 s[14:15], vcc, s[0:1]
	s_and_saveexec_b64 s[12:13], s[14:15]
	s_cbranch_execz .LBB49_39
; %bb.38:                               ;   in Loop: Header=BB49_7 Depth=2
	global_load_dwordx2 v[4:5], v[2:3], off
.LBB49_39:                              ;   in Loop: Header=BB49_7 Depth=2
	s_or_b64 exec, exec, s[12:13]
	s_nor_b64 s[12:13], vcc, s[2:3]
	s_waitcnt vmcnt(0)
	ds_write_b64 v55, v[4:5] offset:4096
	s_and_saveexec_b64 s[14:15], s[12:13]
	s_xor_b64 s[12:13], exec, s[14:15]
	s_cbranch_execz .LBB49_41
; %bb.40:                               ;   in Loop: Header=BB49_7 Depth=2
	global_load_dwordx2 v[2:3], v[2:3], off offset:128
	s_waitcnt vmcnt(0)
	ds_write_b64 v55, v[2:3] offset:4224
.LBB49_41:                              ;   in Loop: Header=BB49_7 Depth=2
	s_andn2_saveexec_b64 s[12:13], s[12:13]
	s_cbranch_execz .LBB49_6
; %bb.42:                               ;   in Loop: Header=BB49_7 Depth=2
	v_mov_b32_e32 v21, v20
	ds_write_b64 v55, v[20:21] offset:4224
	s_branch .LBB49_6
.LBB49_43:                              ;   in Loop: Header=BB49_4 Depth=1
	v_mov_b32_e32 v50, 0
	v_mov_b32_e32 v48, 0
	;; [unrolled: 1-line block ×8, first 2 shown]
.LBB49_44:                              ;   in Loop: Header=BB49_4 Depth=1
	v_mul_lo_u32 v4, s25, v22
	v_mul_lo_u32 v5, s24, v23
	v_mad_u64_u32 v[2:3], s[8:9], s24, v22, 0
	v_cmp_gt_i32_e32 vcc, s30, v22
	v_add3_u32 v3, v3, v5, v4
	v_lshlrev_b64 v[2:3], 3, v[2:3]
	v_mov_b32_e32 v4, s57
	v_add_co_u32_e64 v2, s[8:9], s56, v2
	v_addc_co_u32_e64 v3, s[8:9], v4, v3, s[8:9]
	s_and_b64 s[8:9], s[4:5], vcc
	s_and_saveexec_b64 s[10:11], s[8:9]
	s_cbranch_execz .LBB49_46
; %bb.45:                               ;   in Loop: Header=BB49_4 Depth=1
	buffer_load_dword v4, off, s[64:67], 0 offset:8 ; 4-byte Folded Reload
	buffer_load_dword v5, off, s[64:67], 0 offset:12 ; 4-byte Folded Reload
	s_waitcnt vmcnt(1)
	v_add_co_u32_e64 v4, s[8:9], v2, v4
	s_waitcnt vmcnt(0)
	v_addc_co_u32_e64 v5, s[8:9], v3, v5, s[8:9]
	global_load_dwordx2 v[6:7], v[4:5], off
	s_waitcnt vmcnt(0)
	v_fma_f64 v[6:7], s[34:35], v[50:51], v[6:7]
	global_store_dwordx2 v[4:5], v[6:7], off
.LBB49_46:                              ;   in Loop: Header=BB49_4 Depth=1
	s_or_b64 exec, exec, s[10:11]
	s_and_b64 s[10:11], s[20:21], vcc
	s_and_saveexec_b64 s[8:9], s[10:11]
	s_cbranch_execz .LBB49_48
; %bb.47:                               ;   in Loop: Header=BB49_4 Depth=1
	buffer_load_dword v4, off, s[64:67], 0  ; 4-byte Folded Reload
	buffer_load_dword v5, off, s[64:67], 0 offset:4 ; 4-byte Folded Reload
	s_waitcnt vmcnt(0)
	v_lshlrev_b64 v[4:5], 3, v[4:5]
	v_add_co_u32_e32 v2, vcc, v2, v4
	v_addc_co_u32_e32 v3, vcc, v3, v5, vcc
	global_load_dwordx2 v[4:5], v[2:3], off
	s_waitcnt vmcnt(0)
	v_fma_f64 v[4:5], s[34:35], v[48:49], v[4:5]
	global_store_dwordx2 v[2:3], v[4:5], off
.LBB49_48:                              ;   in Loop: Header=BB49_4 Depth=1
	s_or_b64 exec, exec, s[8:9]
	v_add_u32_e32 v4, 16, v22
	v_ashrrev_i32_e32 v2, 31, v4
	v_mul_lo_u32 v5, s24, v2
	v_mul_lo_u32 v6, s25, v4
	v_mad_u64_u32 v[2:3], s[8:9], s24, v4, 0
	v_cmp_gt_i32_e32 vcc, s30, v4
	v_mov_b32_e32 v4, s57
	v_add3_u32 v3, v3, v5, v6
	v_lshlrev_b64 v[2:3], 3, v[2:3]
	v_add_co_u32_e64 v2, s[8:9], s56, v2
	v_addc_co_u32_e64 v3, s[8:9], v4, v3, s[8:9]
	s_and_b64 s[8:9], s[4:5], vcc
	s_and_saveexec_b64 s[10:11], s[8:9]
	s_cbranch_execz .LBB49_50
; %bb.49:                               ;   in Loop: Header=BB49_4 Depth=1
	buffer_load_dword v4, off, s[64:67], 0 offset:8 ; 4-byte Folded Reload
	buffer_load_dword v5, off, s[64:67], 0 offset:12 ; 4-byte Folded Reload
	s_waitcnt vmcnt(1)
	v_add_co_u32_e64 v4, s[8:9], v2, v4
	s_waitcnt vmcnt(0)
	v_addc_co_u32_e64 v5, s[8:9], v3, v5, s[8:9]
	global_load_dwordx2 v[6:7], v[4:5], off
	s_waitcnt vmcnt(0)
	v_fma_f64 v[6:7], s[34:35], v[46:47], v[6:7]
	global_store_dwordx2 v[4:5], v[6:7], off
.LBB49_50:                              ;   in Loop: Header=BB49_4 Depth=1
	s_or_b64 exec, exec, s[10:11]
	s_and_b64 s[10:11], s[20:21], vcc
	s_and_saveexec_b64 s[8:9], s[10:11]
	s_cbranch_execz .LBB49_3
; %bb.51:                               ;   in Loop: Header=BB49_4 Depth=1
	buffer_load_dword v4, off, s[64:67], 0  ; 4-byte Folded Reload
	buffer_load_dword v5, off, s[64:67], 0 offset:4 ; 4-byte Folded Reload
	s_waitcnt vmcnt(0)
	v_lshlrev_b64 v[4:5], 3, v[4:5]
	v_add_co_u32_e32 v2, vcc, v2, v4
	v_addc_co_u32_e32 v3, vcc, v3, v5, vcc
	global_load_dwordx2 v[4:5], v[2:3], off
	s_waitcnt vmcnt(0)
	v_fma_f64 v[4:5], s[34:35], v[44:45], v[4:5]
	global_store_dwordx2 v[2:3], v[4:5], off
	s_branch .LBB49_3
.LBB49_52:
	s_endpgm
	.section	.rodata,"a",@progbits
	.p2align	6, 0x0
	.amdhsa_kernel _ZL30rocblas_trmm_outofplace_kernelIdLi32ELi2ELb0ELb0ELb0ELb0EdKddEv17rocblas_diagonal_iiT6_lPT7_lllS4_lllPT8_llli
		.amdhsa_group_segment_fixed_size 16384
		.amdhsa_private_segment_fixed_size 28
		.amdhsa_kernarg_size 392
		.amdhsa_user_sgpr_count 6
		.amdhsa_user_sgpr_private_segment_buffer 1
		.amdhsa_user_sgpr_dispatch_ptr 0
		.amdhsa_user_sgpr_queue_ptr 0
		.amdhsa_user_sgpr_kernarg_segment_ptr 1
		.amdhsa_user_sgpr_dispatch_id 0
		.amdhsa_user_sgpr_flat_scratch_init 0
		.amdhsa_user_sgpr_private_segment_size 0
		.amdhsa_uses_dynamic_stack 0
		.amdhsa_system_sgpr_private_segment_wavefront_offset 1
		.amdhsa_system_sgpr_workgroup_id_x 1
		.amdhsa_system_sgpr_workgroup_id_y 1
		.amdhsa_system_sgpr_workgroup_id_z 1
		.amdhsa_system_sgpr_workgroup_info 0
		.amdhsa_system_vgpr_workitem_id 1
		.amdhsa_next_free_vgpr 64
		.amdhsa_next_free_sgpr 68
		.amdhsa_reserve_vcc 1
		.amdhsa_reserve_flat_scratch 0
		.amdhsa_float_round_mode_32 0
		.amdhsa_float_round_mode_16_64 0
		.amdhsa_float_denorm_mode_32 3
		.amdhsa_float_denorm_mode_16_64 3
		.amdhsa_dx10_clamp 1
		.amdhsa_ieee_mode 1
		.amdhsa_fp16_overflow 0
		.amdhsa_exception_fp_ieee_invalid_op 0
		.amdhsa_exception_fp_denorm_src 0
		.amdhsa_exception_fp_ieee_div_zero 0
		.amdhsa_exception_fp_ieee_overflow 0
		.amdhsa_exception_fp_ieee_underflow 0
		.amdhsa_exception_fp_ieee_inexact 0
		.amdhsa_exception_int_div_zero 0
	.end_amdhsa_kernel
	.section	.text._ZL30rocblas_trmm_outofplace_kernelIdLi32ELi2ELb0ELb0ELb0ELb0EdKddEv17rocblas_diagonal_iiT6_lPT7_lllS4_lllPT8_llli,"axG",@progbits,_ZL30rocblas_trmm_outofplace_kernelIdLi32ELi2ELb0ELb0ELb0ELb0EdKddEv17rocblas_diagonal_iiT6_lPT7_lllS4_lllPT8_llli,comdat
.Lfunc_end49:
	.size	_ZL30rocblas_trmm_outofplace_kernelIdLi32ELi2ELb0ELb0ELb0ELb0EdKddEv17rocblas_diagonal_iiT6_lPT7_lllS4_lllPT8_llli, .Lfunc_end49-_ZL30rocblas_trmm_outofplace_kernelIdLi32ELi2ELb0ELb0ELb0ELb0EdKddEv17rocblas_diagonal_iiT6_lPT7_lllS4_lllPT8_llli
                                        ; -- End function
	.set _ZL30rocblas_trmm_outofplace_kernelIdLi32ELi2ELb0ELb0ELb0ELb0EdKddEv17rocblas_diagonal_iiT6_lPT7_lllS4_lllPT8_llli.num_vgpr, 64
	.set _ZL30rocblas_trmm_outofplace_kernelIdLi32ELi2ELb0ELb0ELb0ELb0EdKddEv17rocblas_diagonal_iiT6_lPT7_lllS4_lllPT8_llli.num_agpr, 0
	.set _ZL30rocblas_trmm_outofplace_kernelIdLi32ELi2ELb0ELb0ELb0ELb0EdKddEv17rocblas_diagonal_iiT6_lPT7_lllS4_lllPT8_llli.numbered_sgpr, 68
	.set _ZL30rocblas_trmm_outofplace_kernelIdLi32ELi2ELb0ELb0ELb0ELb0EdKddEv17rocblas_diagonal_iiT6_lPT7_lllS4_lllPT8_llli.num_named_barrier, 0
	.set _ZL30rocblas_trmm_outofplace_kernelIdLi32ELi2ELb0ELb0ELb0ELb0EdKddEv17rocblas_diagonal_iiT6_lPT7_lllS4_lllPT8_llli.private_seg_size, 28
	.set _ZL30rocblas_trmm_outofplace_kernelIdLi32ELi2ELb0ELb0ELb0ELb0EdKddEv17rocblas_diagonal_iiT6_lPT7_lllS4_lllPT8_llli.uses_vcc, 1
	.set _ZL30rocblas_trmm_outofplace_kernelIdLi32ELi2ELb0ELb0ELb0ELb0EdKddEv17rocblas_diagonal_iiT6_lPT7_lllS4_lllPT8_llli.uses_flat_scratch, 0
	.set _ZL30rocblas_trmm_outofplace_kernelIdLi32ELi2ELb0ELb0ELb0ELb0EdKddEv17rocblas_diagonal_iiT6_lPT7_lllS4_lllPT8_llli.has_dyn_sized_stack, 0
	.set _ZL30rocblas_trmm_outofplace_kernelIdLi32ELi2ELb0ELb0ELb0ELb0EdKddEv17rocblas_diagonal_iiT6_lPT7_lllS4_lllPT8_llli.has_recursion, 0
	.set _ZL30rocblas_trmm_outofplace_kernelIdLi32ELi2ELb0ELb0ELb0ELb0EdKddEv17rocblas_diagonal_iiT6_lPT7_lllS4_lllPT8_llli.has_indirect_call, 0
	.section	.AMDGPU.csdata,"",@progbits
; Kernel info:
; codeLenInByte = 3860
; TotalNumSgprs: 72
; NumVgprs: 64
; ScratchSize: 28
; MemoryBound: 0
; FloatMode: 240
; IeeeMode: 1
; LDSByteSize: 16384 bytes/workgroup (compile time only)
; SGPRBlocks: 8
; VGPRBlocks: 15
; NumSGPRsForWavesPerEU: 72
; NumVGPRsForWavesPerEU: 64
; Occupancy: 4
; WaveLimiterHint : 0
; COMPUTE_PGM_RSRC2:SCRATCH_EN: 1
; COMPUTE_PGM_RSRC2:USER_SGPR: 6
; COMPUTE_PGM_RSRC2:TRAP_HANDLER: 0
; COMPUTE_PGM_RSRC2:TGID_X_EN: 1
; COMPUTE_PGM_RSRC2:TGID_Y_EN: 1
; COMPUTE_PGM_RSRC2:TGID_Z_EN: 1
; COMPUTE_PGM_RSRC2:TIDIG_COMP_CNT: 1
	.section	.text._ZL30rocblas_trmm_outofplace_kernelIdLi32ELi2ELb0ELb1ELb0ELb0EPKdS0_dEv17rocblas_diagonal_iiT6_lPT7_lllS5_lllPT8_llli,"axG",@progbits,_ZL30rocblas_trmm_outofplace_kernelIdLi32ELi2ELb0ELb1ELb0ELb0EPKdS0_dEv17rocblas_diagonal_iiT6_lPT7_lllS5_lllPT8_llli,comdat
	.globl	_ZL30rocblas_trmm_outofplace_kernelIdLi32ELi2ELb0ELb1ELb0ELb0EPKdS0_dEv17rocblas_diagonal_iiT6_lPT7_lllS5_lllPT8_llli ; -- Begin function _ZL30rocblas_trmm_outofplace_kernelIdLi32ELi2ELb0ELb1ELb0ELb0EPKdS0_dEv17rocblas_diagonal_iiT6_lPT7_lllS5_lllPT8_llli
	.p2align	8
	.type	_ZL30rocblas_trmm_outofplace_kernelIdLi32ELi2ELb0ELb1ELb0ELb0EPKdS0_dEv17rocblas_diagonal_iiT6_lPT7_lllS5_lllPT8_llli,@function
_ZL30rocblas_trmm_outofplace_kernelIdLi32ELi2ELb0ELb1ELb0ELb0EPKdS0_dEv17rocblas_diagonal_iiT6_lPT7_lllS5_lllPT8_llli: ; @_ZL30rocblas_trmm_outofplace_kernelIdLi32ELi2ELb0ELb1ELb0ELb0EPKdS0_dEv17rocblas_diagonal_iiT6_lPT7_lllS5_lllPT8_llli
; %bb.0:
	s_load_dwordx16 s[36:51], s[4:5], 0x10
	s_mov_b64 s[58:59], s[2:3]
	s_mov_b64 s[56:57], s[0:1]
	s_add_u32 s56, s56, s9
	s_addc_u32 s57, s57, 0
	s_waitcnt lgkmcnt(0)
	s_mul_i32 s0, s39, s8
	s_mul_hi_u32 s1, s38, s8
	s_add_i32 s1, s1, s0
	s_mul_i32 s0, s38, s8
	s_lshl_b64 s[0:1], s[0:1], 3
	s_add_u32 s0, s36, s0
	s_addc_u32 s1, s37, s1
	s_load_dwordx2 s[34:35], s[0:1], 0x0
	s_waitcnt lgkmcnt(0)
	v_cmp_eq_f64_e64 s[0:1], s[34:35], 0
	s_and_b64 vcc, exec, s[0:1]
	s_cbranch_vccnz .LBB50_51
; %bb.1:
	s_load_dwordx4 s[24:27], s[4:5], 0x0
	s_waitcnt lgkmcnt(0)
	s_add_i32 s0, s26, -1
	s_ashr_i32 s1, s0, 31
	s_lshr_b32 s1, s1, 27
	s_add_i32 s0, s0, s1
	s_ashr_i32 s33, s0, 5
	s_cmp_gt_i32 s7, s33
	s_cbranch_scc1 .LBB50_51
; %bb.2:
	s_load_dwordx8 s[12:19], s[4:5], 0x50
	s_load_dwordx4 s[28:31], s[4:5], 0x70
	v_lshl_add_u32 v2, s6, 5, v0
	v_ashrrev_i32_e32 v3, 31, v2
	v_lshlrev_b64 v[5:6], 3, v[2:3]
	s_waitcnt lgkmcnt(0)
	s_mul_i32 s1, s15, s8
	s_mul_hi_u32 s2, s14, s8
	s_mul_i32 s0, s14, s8
	s_add_i32 s1, s2, s1
	s_lshl_b64 s[0:1], s[0:1], 3
	s_add_u32 s2, s48, s0
	s_addc_u32 s3, s49, s1
	s_lshl_b64 s[0:1], s[50:51], 3
	s_add_u32 s2, s2, s0
	s_load_dword s48, s[4:5], 0x8c
	v_add_co_u32_e32 v7, vcc, s2, v5
	buffer_store_dword v5, off, s[56:59], 0 ; 4-byte Folded Spill
	s_nop 0
	buffer_store_dword v6, off, s[56:59], 0 offset:4 ; 4-byte Folded Spill
	s_addc_u32 s3, s3, s1
	s_mul_i32 s0, s31, s8
	s_mul_hi_u32 s1, s30, s8
	s_add_i32 s1, s1, s0
	s_mul_i32 s0, s30, s8
	s_lshl_b64 s[0:1], s[0:1], 3
	s_add_u32 s4, s16, s0
	s_addc_u32 s5, s17, s1
	s_lshl_b64 s[0:1], s[18:19], 3
	s_add_u32 s49, s4, s0
	s_addc_u32 s50, s5, s1
	v_mov_b32_e32 v4, s3
	s_cmpk_eq_i32 s24, 0x84
	s_cselect_b64 s[30:31], -1, 0
	s_ashr_i32 s0, s25, 31
	v_mov_b32_e32 v5, s0
	s_ashr_i32 s27, s26, 31
	s_lshl_b64 s[36:37], s[12:13], 8
	s_add_u32 s38, s26, -16
	s_mul_i32 s9, s47, s8
	s_addc_u32 s39, s27, -1
	s_waitcnt lgkmcnt(0)
	s_lshl_b32 s6, s48, 5
	v_cmp_gt_i32_e64 s[4:5], s25, v2
	v_lshlrev_b32_e32 v46, 3, v0
	v_lshlrev_b32_e32 v45, 8, v1
	v_or_b32_e32 v48, 0x2000, v46
	v_mov_b32_e32 v10, 0
	v_add_u32_e32 v47, v45, v46
	v_add_u32_e32 v49, v48, v45
	v_lshl_add_u32 v16, s7, 5, v1
	v_mov_b32_e32 v55, 0x3ff00000
	v_addc_co_u32_e32 v8, vcc, v4, v6, vcc
	v_sub_co_u32_e32 v4, vcc, s25, v2
	v_subb_co_u32_e32 v5, vcc, v5, v3, vcc
	v_sub_co_u32_e32 v15, vcc, 0, v0
	v_cmp_gt_i64_e64 s[0:1], 1, v[4:5]
	v_cmp_gt_i64_e64 s[2:3], 17, v[4:5]
	v_subb_co_u32_e64 v4, s[10:11], 0, 0, vcc
	s_mul_hi_u32 s10, s46, s8
	s_add_i32 s9, s10, s9
	s_mul_i32 s8, s46, s8
	buffer_store_dword v7, off, s[56:59], 0 offset:8 ; 4-byte Folded Spill
	s_nop 0
	buffer_store_dword v8, off, s[56:59], 0 offset:12 ; 4-byte Folded Spill
	buffer_store_dword v4, off, s[56:59], 0 offset:16 ; 4-byte Folded Spill
	s_lshl_b64 s[8:9], s[8:9], 3
	s_lshl_b64 s[10:11], s[42:43], 3
	v_mad_u64_u32 v[4:5], s[14:15], s12, v1, 0
	s_add_u32 s8, s8, s10
	s_addc_u32 s9, s9, s11
	v_add_u32_e32 v2, 16, v2
	s_add_u32 s24, s40, s8
	v_cmp_gt_i32_e64 s[20:21], s25, v2
	s_addc_u32 s25, s41, s9
	v_mad_u64_u32 v[5:6], s[8:9], s13, v1, v[5:6]
	v_mov_b32_e32 v6, 0x80
	v_lshl_add_u32 v7, v1, 3, v6
	v_mad_u64_u32 v[18:19], s[8:9], s12, v7, 0
	v_lshlrev_b64 v[4:5], 3, v[4:5]
	v_ashrrev_i32_e32 v3, 31, v2
	v_mov_b32_e32 v6, v19
	v_mad_u64_u32 v[6:7], s[8:9], s13, v7, v[6:7]
	s_movk_i32 s10, 0x80
	v_add_co_u32_e32 v52, vcc, s10, v4
	v_lshlrev_b64 v[19:20], 3, v[2:3]
	v_addc_co_u32_e32 v53, vcc, 0, v5, vcc
	s_lshl_b64 s[40:41], s[44:45], 3
	v_mov_b32_e32 v54, v6
	s_movk_i32 s46, 0x100
	s_branch .LBB50_4
.LBB50_3:                               ;   in Loop: Header=BB50_4 Depth=1
	s_or_b64 exec, exec, s[8:9]
	s_add_i32 s7, s48, s7
	s_cmp_le_i32 s7, s33
	v_add_u32_e32 v16, s6, v16
	s_cbranch_scc0 .LBB50_51
.LBB50_4:                               ; =>This Loop Header: Depth=1
                                        ;     Child Loop BB50_7 Depth 2
	s_lshl_b32 s47, s7, 5
	v_add_u32_e32 v21, s47, v1
	v_mov_b32_e32 v43, 0
	v_mov_b32_e32 v41, 0
	;; [unrolled: 1-line block ×5, first 2 shown]
	s_cmp_lt_i32 s7, 0
	v_mov_b32_e32 v42, 0
	v_mov_b32_e32 v40, 0
	;; [unrolled: 1-line block ×3, first 2 shown]
	v_ashrrev_i32_e32 v22, 31, v21
	s_cbranch_scc1 .LBB50_43
; %bb.5:                                ;   in Loop: Header=BB50_4 Depth=1
	v_ashrrev_i32_e32 v17, 31, v16
	v_lshlrev_b64 v[2:3], 3, v[16:17]
	v_mov_b32_e32 v37, 0
	v_add_co_u32_e32 v4, vcc, 0x80, v2
	v_addc_co_u32_e32 v2, vcc, 0, v3, vcc
	v_mul_lo_u32 v5, s44, v2
	v_mov_b32_e32 v2, s24
	v_mov_b32_e32 v3, s25
	v_mul_lo_u32 v6, s45, v4
	v_mad_u64_u32 v[23:24], s[8:9], s44, v4, v[2:3]
	buffer_load_dword v4, off, s[56:59], 0 offset:16 ; 4-byte Folded Reload
	buffer_load_dword v35, off, s[56:59], 0 offset:8 ; 4-byte Folded Reload
	;; [unrolled: 1-line block ×3, first 2 shown]
	v_add_co_u32_e32 v27, vcc, v15, v16
	v_mad_u64_u32 v[25:26], s[8:9], s40, v16, v[2:3]
	v_mul_lo_u32 v2, s41, v16
	v_mul_lo_u32 v3, s40, v17
	v_mov_b32_e32 v39, 0
	v_mov_b32_e32 v41, 0
	v_mov_b32_e32 v43, 0
	v_add3_u32 v24, v6, v24, v5
	v_add3_u32 v26, v2, v26, v3
	v_cmp_le_i32_e64 s[8:9], s26, v21
	v_mov_b32_e32 v38, 0
	s_mov_b64 s[42:43], 0
	v_mov_b32_e32 v40, 0
	v_mov_b32_e32 v42, 0
	;; [unrolled: 1-line block ×3, first 2 shown]
	s_waitcnt vmcnt(2)
	v_addc_co_u32_e32 v28, vcc, v4, v17, vcc
	v_add_co_u32_e32 v29, vcc, 16, v21
	v_addc_co_u32_e32 v30, vcc, 0, v22, vcc
	v_add_co_u32_e32 v31, vcc, 16, v27
	v_addc_co_u32_e32 v32, vcc, 0, v28, vcc
	v_cmp_le_i64_e64 s[10:11], s[26:27], v[29:30]
	v_add_co_u32_e32 v33, vcc, -16, v27
	v_addc_co_u32_e32 v34, vcc, -1, v28, vcc
	s_branch .LBB50_7
.LBB50_6:                               ;   in Loop: Header=BB50_7 Depth=2
	s_or_b64 exec, exec, s[12:13]
	s_waitcnt lgkmcnt(0)
	s_barrier
	ds_read_b128 v[56:59], v45
	ds_read_b128 v[60:63], v45 offset:16
	ds_read_b128 v[6:9], v45 offset:32
	ds_read_b128 v[2:5], v45 offset:48
	ds_read2_b64 v[11:14], v48 offset1:16
	v_add_co_u32_e32 v23, vcc, s46, v23
	v_addc_co_u32_e32 v24, vcc, 0, v24, vcc
	s_waitcnt lgkmcnt(0)
	v_fma_f64 v[50:51], v[11:12], v[56:57], v[43:44]
	v_fma_f64 v[56:57], v[13:14], v[56:57], v[41:42]
	ds_read_b128 v[41:44], v45 offset:4096
	v_add_co_u32_e32 v35, vcc, s36, v35
	s_add_u32 s42, s42, 32
	s_addc_u32 s43, s43, 0
	s_waitcnt lgkmcnt(0)
	v_fma_f64 v[39:40], v[11:12], v[41:42], v[39:40]
	v_fma_f64 v[37:38], v[13:14], v[41:42], v[37:38]
	ds_read2_b64 v[11:14], v48 offset0:32 offset1:48
	s_sub_i32 s12, s42, 32
	s_cmp_ge_i32 s12, s47
	s_waitcnt lgkmcnt(0)
	v_fma_f64 v[41:42], v[11:12], v[58:59], v[50:51]
	v_fma_f64 v[50:51], v[13:14], v[58:59], v[56:57]
	v_fma_f64 v[56:57], v[11:12], v[43:44], v[39:40]
	v_fma_f64 v[43:44], v[13:14], v[43:44], v[37:38]
	ds_read2_b64 v[11:14], v48 offset0:64 offset1:80
	ds_read_b128 v[37:40], v45 offset:4112
	s_waitcnt lgkmcnt(1)
	v_fma_f64 v[41:42], v[11:12], v[60:61], v[41:42]
	v_fma_f64 v[50:51], v[13:14], v[60:61], v[50:51]
	s_waitcnt lgkmcnt(0)
	v_fma_f64 v[56:57], v[11:12], v[37:38], v[56:57]
	v_fma_f64 v[37:38], v[13:14], v[37:38], v[43:44]
	ds_read2_b64 v[11:14], v48 offset0:96 offset1:112
	s_waitcnt lgkmcnt(0)
	v_fma_f64 v[41:42], v[11:12], v[62:63], v[41:42]
	v_fma_f64 v[43:44], v[13:14], v[62:63], v[50:51]
	v_fma_f64 v[50:51], v[11:12], v[39:40], v[56:57]
	v_fma_f64 v[56:57], v[13:14], v[39:40], v[37:38]
	ds_read2_b64 v[11:14], v48 offset0:128 offset1:144
	ds_read_b128 v[37:40], v45 offset:4128
	s_waitcnt lgkmcnt(1)
	v_fma_f64 v[41:42], v[11:12], v[6:7], v[41:42]
	v_fma_f64 v[6:7], v[13:14], v[6:7], v[43:44]
	s_waitcnt lgkmcnt(0)
	v_fma_f64 v[43:44], v[11:12], v[37:38], v[50:51]
	v_fma_f64 v[37:38], v[13:14], v[37:38], v[56:57]
	ds_read2_b64 v[11:14], v48 offset0:160 offset1:176
	;; [unrolled: 14-line block ×3, first 2 shown]
	s_waitcnt lgkmcnt(0)
	v_fma_f64 v[37:38], v[6:7], v[4:5], v[39:40]
	v_fma_f64 v[39:40], v[8:9], v[4:5], v[2:3]
	v_add_u32_e32 v2, 0x800, v48
	v_fma_f64 v[41:42], v[6:7], v[13:14], v[41:42]
	v_fma_f64 v[7:8], v[8:9], v[13:14], v[11:12]
	ds_read_b128 v[3:6], v45 offset:64
	ds_read2_b64 v[11:14], v2 offset1:16
	s_waitcnt lgkmcnt(0)
	v_fma_f64 v[43:44], v[11:12], v[3:4], v[37:38]
	v_fma_f64 v[3:4], v[13:14], v[3:4], v[39:40]
	ds_read_b128 v[37:40], v45 offset:4160
	s_waitcnt lgkmcnt(0)
	v_fma_f64 v[41:42], v[11:12], v[37:38], v[41:42]
	v_fma_f64 v[7:8], v[13:14], v[37:38], v[7:8]
	ds_read2_b64 v[11:14], v2 offset0:32 offset1:48
	s_waitcnt lgkmcnt(0)
	v_fma_f64 v[37:38], v[11:12], v[5:6], v[43:44]
	v_fma_f64 v[43:44], v[13:14], v[5:6], v[3:4]
	v_fma_f64 v[41:42], v[11:12], v[39:40], v[41:42]
	v_fma_f64 v[7:8], v[13:14], v[39:40], v[7:8]
	ds_read_b128 v[3:6], v45 offset:80
	ds_read2_b64 v[11:14], v2 offset0:64 offset1:80
	s_waitcnt lgkmcnt(0)
	v_fma_f64 v[50:51], v[11:12], v[3:4], v[37:38]
	ds_read_b128 v[37:40], v45 offset:4176
	v_fma_f64 v[3:4], v[13:14], v[3:4], v[43:44]
	s_waitcnt lgkmcnt(0)
	v_fma_f64 v[41:42], v[11:12], v[37:38], v[41:42]
	v_fma_f64 v[7:8], v[13:14], v[37:38], v[7:8]
	ds_read2_b64 v[11:14], v2 offset0:96 offset1:112
	s_waitcnt lgkmcnt(0)
	v_fma_f64 v[37:38], v[11:12], v[5:6], v[50:51]
	v_fma_f64 v[43:44], v[13:14], v[5:6], v[3:4]
	v_fma_f64 v[41:42], v[11:12], v[39:40], v[41:42]
	v_fma_f64 v[7:8], v[13:14], v[39:40], v[7:8]
	ds_read_b128 v[3:6], v45 offset:96
	ds_read2_b64 v[11:14], v2 offset0:128 offset1:144
	s_waitcnt lgkmcnt(0)
	v_fma_f64 v[50:51], v[11:12], v[3:4], v[37:38]
	ds_read_b128 v[37:40], v45 offset:4192
	v_fma_f64 v[3:4], v[13:14], v[3:4], v[43:44]
	;; [unrolled: 15-line block ×3, first 2 shown]
	s_waitcnt lgkmcnt(0)
	v_fma_f64 v[41:42], v[11:12], v[37:38], v[41:42]
	v_fma_f64 v[7:8], v[13:14], v[37:38], v[7:8]
	ds_read2_b64 v[11:14], v2 offset0:224 offset1:240
	v_add_u32_e32 v2, 0x1000, v48
	s_waitcnt lgkmcnt(0)
	v_fma_f64 v[37:38], v[11:12], v[5:6], v[50:51]
	v_fma_f64 v[43:44], v[13:14], v[5:6], v[3:4]
	v_fma_f64 v[41:42], v[11:12], v[39:40], v[41:42]
	v_fma_f64 v[7:8], v[13:14], v[39:40], v[7:8]
	ds_read_b128 v[3:6], v45 offset:128
	ds_read2_b64 v[11:14], v2 offset1:16
	s_waitcnt lgkmcnt(0)
	v_fma_f64 v[50:51], v[11:12], v[3:4], v[37:38]
	ds_read_b128 v[37:40], v45 offset:4224
	v_fma_f64 v[3:4], v[13:14], v[3:4], v[43:44]
	s_waitcnt lgkmcnt(0)
	v_fma_f64 v[41:42], v[11:12], v[37:38], v[41:42]
	v_fma_f64 v[7:8], v[13:14], v[37:38], v[7:8]
	ds_read2_b64 v[11:14], v2 offset0:32 offset1:48
	s_waitcnt lgkmcnt(0)
	v_fma_f64 v[37:38], v[11:12], v[5:6], v[50:51]
	v_fma_f64 v[43:44], v[13:14], v[5:6], v[3:4]
	v_fma_f64 v[41:42], v[11:12], v[39:40], v[41:42]
	v_fma_f64 v[7:8], v[13:14], v[39:40], v[7:8]
	ds_read_b128 v[3:6], v45 offset:144
	ds_read2_b64 v[11:14], v2 offset0:64 offset1:80
	s_waitcnt lgkmcnt(0)
	v_fma_f64 v[50:51], v[11:12], v[3:4], v[37:38]
	ds_read_b128 v[37:40], v45 offset:4240
	v_fma_f64 v[3:4], v[13:14], v[3:4], v[43:44]
	s_waitcnt lgkmcnt(0)
	v_fma_f64 v[41:42], v[11:12], v[37:38], v[41:42]
	v_fma_f64 v[7:8], v[13:14], v[37:38], v[7:8]
	ds_read2_b64 v[11:14], v2 offset0:96 offset1:112
	s_waitcnt lgkmcnt(0)
	v_fma_f64 v[37:38], v[11:12], v[5:6], v[50:51]
	v_fma_f64 v[43:44], v[13:14], v[5:6], v[3:4]
	v_fma_f64 v[41:42], v[11:12], v[39:40], v[41:42]
	v_fma_f64 v[7:8], v[13:14], v[39:40], v[7:8]
	ds_read_b128 v[3:6], v45 offset:160
	ds_read2_b64 v[11:14], v2 offset0:128 offset1:144
	;; [unrolled: 15-line block ×3, first 2 shown]
	s_waitcnt lgkmcnt(0)
	v_fma_f64 v[50:51], v[11:12], v[3:4], v[37:38]
	ds_read_b128 v[37:40], v45 offset:4272
	v_fma_f64 v[3:4], v[13:14], v[3:4], v[43:44]
	s_waitcnt lgkmcnt(0)
	v_fma_f64 v[41:42], v[11:12], v[37:38], v[41:42]
	v_fma_f64 v[7:8], v[13:14], v[37:38], v[7:8]
	ds_read2_b64 v[11:14], v2 offset0:224 offset1:240
	v_add_u32_e32 v2, 0x1800, v48
	s_waitcnt lgkmcnt(0)
	v_fma_f64 v[37:38], v[11:12], v[5:6], v[50:51]
	v_fma_f64 v[43:44], v[13:14], v[5:6], v[3:4]
	;; [unrolled: 1-line block ×4, first 2 shown]
	ds_read_b128 v[3:6], v45 offset:192
	ds_read2_b64 v[11:14], v2 offset1:16
	s_waitcnt lgkmcnt(0)
	v_fma_f64 v[50:51], v[11:12], v[3:4], v[37:38]
	ds_read_b128 v[37:40], v45 offset:4288
	v_fma_f64 v[3:4], v[13:14], v[3:4], v[43:44]
	s_waitcnt lgkmcnt(0)
	v_fma_f64 v[41:42], v[11:12], v[37:38], v[41:42]
	v_fma_f64 v[7:8], v[13:14], v[37:38], v[7:8]
	ds_read2_b64 v[11:14], v2 offset0:32 offset1:48
	s_waitcnt lgkmcnt(0)
	v_fma_f64 v[37:38], v[11:12], v[5:6], v[50:51]
	v_fma_f64 v[43:44], v[13:14], v[5:6], v[3:4]
	v_fma_f64 v[41:42], v[11:12], v[39:40], v[41:42]
	v_fma_f64 v[7:8], v[13:14], v[39:40], v[7:8]
	ds_read_b128 v[3:6], v45 offset:208
	ds_read2_b64 v[11:14], v2 offset0:64 offset1:80
	s_waitcnt lgkmcnt(0)
	v_fma_f64 v[50:51], v[11:12], v[3:4], v[37:38]
	ds_read_b128 v[37:40], v45 offset:4304
	v_fma_f64 v[3:4], v[13:14], v[3:4], v[43:44]
	s_waitcnt lgkmcnt(0)
	v_fma_f64 v[41:42], v[11:12], v[37:38], v[41:42]
	v_fma_f64 v[7:8], v[13:14], v[37:38], v[7:8]
	ds_read2_b64 v[11:14], v2 offset0:96 offset1:112
	s_waitcnt lgkmcnt(0)
	v_fma_f64 v[37:38], v[11:12], v[5:6], v[50:51]
	v_fma_f64 v[43:44], v[13:14], v[5:6], v[3:4]
	v_fma_f64 v[41:42], v[11:12], v[39:40], v[41:42]
	v_fma_f64 v[7:8], v[13:14], v[39:40], v[7:8]
	ds_read_b128 v[3:6], v45 offset:224
	ds_read2_b64 v[11:14], v2 offset0:128 offset1:144
	;; [unrolled: 15-line block ×3, first 2 shown]
	ds_read_b128 v[56:59], v45 offset:4336
	s_waitcnt lgkmcnt(1)
	v_fma_f64 v[37:38], v[11:12], v[3:4], v[37:38]
	v_fma_f64 v[3:4], v[13:14], v[3:4], v[43:44]
	s_waitcnt lgkmcnt(0)
	v_fma_f64 v[39:40], v[11:12], v[56:57], v[41:42]
	v_fma_f64 v[7:8], v[13:14], v[56:57], v[7:8]
	ds_read2_b64 v[11:14], v2 offset0:224 offset1:240
	v_mov_b32_e32 v2, s37
	v_addc_co_u32_e32 v36, vcc, v36, v2, vcc
	v_add_co_u32_e32 v25, vcc, 0x100, v25
	s_waitcnt lgkmcnt(0)
	v_fma_f64 v[43:44], v[11:12], v[5:6], v[37:38]
	v_fma_f64 v[41:42], v[13:14], v[5:6], v[3:4]
	v_fma_f64 v[39:40], v[11:12], v[58:59], v[39:40]
	v_fma_f64 v[37:38], v[13:14], v[58:59], v[7:8]
	v_addc_co_u32_e32 v26, vcc, 0, v26, vcc
	s_barrier
	s_cbranch_scc1 .LBB50_43
.LBB50_7:                               ;   Parent Loop BB50_4 Depth=1
                                        ; =>  This Inner Loop Header: Depth=2
	v_mov_b32_e32 v3, s43
	v_add_co_u32_e32 v2, vcc, s42, v0
	v_add_co_u32_e64 v4, s[12:13], v25, v46
	v_addc_co_u32_e32 v3, vcc, 0, v3, vcc
	v_addc_co_u32_e64 v5, s[12:13], 0, v26, s[12:13]
	v_cmp_eq_u64_e32 vcc, s[42:43], v[27:28]
	v_cmp_gt_i64_e64 s[12:13], v[2:3], v[21:22]
	s_and_b64 vcc, s[30:31], vcc
	v_cmp_le_i64_e64 s[14:15], s[26:27], v[2:3]
	s_or_b64 s[16:17], s[8:9], s[12:13]
	s_or_b64 s[16:17], s[16:17], vcc
	s_nor_b64 s[16:17], s[14:15], s[16:17]
                                        ; implicit-def: $vgpr6_vgpr7
	s_and_saveexec_b64 s[18:19], s[16:17]
	s_xor_b64 s[16:17], exec, s[18:19]
	s_cbranch_execz .LBB50_9
; %bb.8:                                ;   in Loop: Header=BB50_7 Depth=2
	global_load_dwordx2 v[6:7], v[4:5], off
.LBB50_9:                               ;   in Loop: Header=BB50_7 Depth=2
	s_andn2_saveexec_b64 s[16:17], s[16:17]
	s_cbranch_execz .LBB50_11
; %bb.10:                               ;   in Loop: Header=BB50_7 Depth=2
	v_cndmask_b32_e32 v11, 0, v55, vcc
	s_waitcnt vmcnt(0)
	v_mov_b32_e32 v6, v10
	v_mov_b32_e32 v7, v11
.LBB50_11:                              ;   in Loop: Header=BB50_7 Depth=2
	s_or_b64 exec, exec, s[16:17]
	s_waitcnt vmcnt(0)
	ds_write_b64 v47, v[6:7]
	v_add_co_u32_e64 v6, s[18:19], 16, v2
	v_addc_co_u32_e64 v7, s[18:19], 0, v3, s[18:19]
	v_cmp_eq_u64_e64 s[16:17], s[42:43], v[33:34]
	v_cmp_gt_i64_e64 s[18:19], v[6:7], v[21:22]
	s_and_b64 s[22:23], s[30:31], s[16:17]
	v_cmp_le_i64_e64 s[16:17], s[26:27], v[6:7]
	s_or_b64 s[18:19], s[8:9], s[18:19]
	s_or_b64 s[18:19], s[18:19], s[22:23]
	s_nor_b64 s[18:19], s[16:17], s[18:19]
	s_and_saveexec_b64 s[52:53], s[18:19]
	s_xor_b64 s[18:19], exec, s[52:53]
	s_cbranch_execz .LBB50_13
; %bb.12:                               ;   in Loop: Header=BB50_7 Depth=2
	global_load_dwordx2 v[4:5], v[4:5], off offset:128
	s_waitcnt vmcnt(0)
	ds_write_b64 v47, v[4:5] offset:128
.LBB50_13:                              ;   in Loop: Header=BB50_7 Depth=2
	s_andn2_saveexec_b64 s[18:19], s[18:19]
	s_cbranch_execz .LBB50_19
; %bb.14:                               ;   in Loop: Header=BB50_7 Depth=2
	s_xor_b64 s[22:23], s[22:23], -1
	s_and_saveexec_b64 s[52:53], s[22:23]
	s_xor_b64 s[22:23], exec, s[52:53]
; %bb.15:                               ;   in Loop: Header=BB50_7 Depth=2
	v_mov_b32_e32 v11, v10
	ds_write_b64 v47, v[10:11] offset:128
; %bb.16:                               ;   in Loop: Header=BB50_7 Depth=2
	s_andn2_saveexec_b64 s[22:23], s[22:23]
; %bb.17:                               ;   in Loop: Header=BB50_7 Depth=2
	v_mov_b32_e32 v11, v55
	ds_write_b64 v47, v[10:11] offset:128
; %bb.18:                               ;   in Loop: Header=BB50_7 Depth=2
	s_or_b64 exec, exec, s[22:23]
.LBB50_19:                              ;   in Loop: Header=BB50_7 Depth=2
	s_or_b64 exec, exec, s[18:19]
	v_add_co_u32_e64 v4, s[18:19], v23, v46
	v_addc_co_u32_e64 v5, s[18:19], 0, v24, s[18:19]
	v_cmp_eq_u64_e64 s[18:19], s[42:43], v[31:32]
	v_cmp_gt_i64_e64 s[22:23], v[2:3], v[29:30]
	s_and_b64 s[18:19], s[30:31], s[18:19]
	s_or_b64 s[22:23], s[10:11], s[22:23]
	s_or_b64 s[22:23], s[22:23], s[18:19]
	s_nor_b64 s[14:15], s[14:15], s[22:23]
                                        ; implicit-def: $vgpr2_vgpr3
	s_and_saveexec_b64 s[22:23], s[14:15]
	s_xor_b64 s[14:15], exec, s[22:23]
	s_cbranch_execz .LBB50_21
; %bb.20:                               ;   in Loop: Header=BB50_7 Depth=2
	global_load_dwordx2 v[2:3], v[4:5], off
.LBB50_21:                              ;   in Loop: Header=BB50_7 Depth=2
	s_andn2_saveexec_b64 s[14:15], s[14:15]
	s_cbranch_execz .LBB50_23
; %bb.22:                               ;   in Loop: Header=BB50_7 Depth=2
	v_cndmask_b32_e64 v11, 0, v55, s[18:19]
	s_waitcnt vmcnt(0)
	v_mov_b32_e32 v2, v10
	v_mov_b32_e32 v3, v11
.LBB50_23:                              ;   in Loop: Header=BB50_7 Depth=2
	s_or_b64 exec, exec, s[14:15]
	s_or_b64 s[12:13], s[10:11], s[12:13]
	s_or_b64 s[12:13], s[12:13], vcc
	s_nor_b64 s[12:13], s[16:17], s[12:13]
	s_waitcnt vmcnt(0)
	ds_write_b64 v47, v[2:3] offset:4096
	s_and_saveexec_b64 s[14:15], s[12:13]
	s_xor_b64 s[12:13], exec, s[14:15]
	s_cbranch_execz .LBB50_25
; %bb.24:                               ;   in Loop: Header=BB50_7 Depth=2
	global_load_dwordx2 v[2:3], v[4:5], off offset:128
	s_waitcnt vmcnt(0)
	ds_write_b64 v47, v[2:3] offset:4224
.LBB50_25:                              ;   in Loop: Header=BB50_7 Depth=2
	s_andn2_saveexec_b64 s[12:13], s[12:13]
	s_cbranch_execz .LBB50_31
; %bb.26:                               ;   in Loop: Header=BB50_7 Depth=2
	s_xor_b64 s[14:15], vcc, -1
	s_and_saveexec_b64 s[16:17], s[14:15]
	s_xor_b64 s[14:15], exec, s[16:17]
; %bb.27:                               ;   in Loop: Header=BB50_7 Depth=2
	v_mov_b32_e32 v11, v10
	ds_write_b64 v47, v[10:11] offset:4224
; %bb.28:                               ;   in Loop: Header=BB50_7 Depth=2
	s_andn2_saveexec_b64 s[14:15], s[14:15]
; %bb.29:                               ;   in Loop: Header=BB50_7 Depth=2
	v_mov_b32_e32 v11, v55
	ds_write_b64 v47, v[10:11] offset:4224
; %bb.30:                               ;   in Loop: Header=BB50_7 Depth=2
	s_or_b64 exec, exec, s[14:15]
.LBB50_31:                              ;   in Loop: Header=BB50_7 Depth=2
	s_or_b64 exec, exec, s[12:13]
	v_mov_b32_e32 v3, s43
	v_add_co_u32_e32 v2, vcc, s42, v1
	v_addc_co_u32_e32 v3, vcc, 0, v3, vcc
	v_add_co_u32_e32 v4, vcc, v35, v52
	v_addc_co_u32_e32 v5, vcc, v36, v53, vcc
	v_cmp_le_i64_e32 vcc, s[26:27], v[2:3]
	v_mov_b32_e32 v6, 0
	v_mov_b32_e32 v7, 0
	s_nor_b64 s[14:15], vcc, s[0:1]
	s_and_saveexec_b64 s[12:13], s[14:15]
	s_cbranch_execz .LBB50_33
; %bb.32:                               ;   in Loop: Header=BB50_7 Depth=2
	global_load_dwordx2 v[6:7], v[4:5], off offset:-128
.LBB50_33:                              ;   in Loop: Header=BB50_7 Depth=2
	s_or_b64 exec, exec, s[12:13]
	s_nor_b64 s[12:13], vcc, s[2:3]
	s_waitcnt vmcnt(0)
	ds_write_b64 v49, v[6:7]
	s_and_saveexec_b64 s[14:15], s[12:13]
	s_xor_b64 s[12:13], exec, s[14:15]
	s_cbranch_execz .LBB50_35
; %bb.34:                               ;   in Loop: Header=BB50_7 Depth=2
	global_load_dwordx2 v[4:5], v[4:5], off
	s_waitcnt vmcnt(0)
	ds_write_b64 v49, v[4:5] offset:128
.LBB50_35:                              ;   in Loop: Header=BB50_7 Depth=2
	s_andn2_saveexec_b64 s[12:13], s[12:13]
; %bb.36:                               ;   in Loop: Header=BB50_7 Depth=2
	v_mov_b32_e32 v11, v10
	ds_write_b64 v49, v[10:11] offset:128
; %bb.37:                               ;   in Loop: Header=BB50_7 Depth=2
	s_or_b64 exec, exec, s[12:13]
	v_cmp_le_i64_e32 vcc, s[38:39], v[2:3]
	v_add_co_u32_e64 v2, s[12:13], v35, v18
	v_mov_b32_e32 v4, 0
	v_addc_co_u32_e64 v3, s[12:13], v36, v54, s[12:13]
	v_mov_b32_e32 v5, 0
	s_nor_b64 s[14:15], vcc, s[0:1]
	s_and_saveexec_b64 s[12:13], s[14:15]
	s_cbranch_execz .LBB50_39
; %bb.38:                               ;   in Loop: Header=BB50_7 Depth=2
	global_load_dwordx2 v[4:5], v[2:3], off
.LBB50_39:                              ;   in Loop: Header=BB50_7 Depth=2
	s_or_b64 exec, exec, s[12:13]
	s_nor_b64 s[12:13], vcc, s[2:3]
	s_waitcnt vmcnt(0)
	ds_write_b64 v49, v[4:5] offset:4096
	s_and_saveexec_b64 s[14:15], s[12:13]
	s_xor_b64 s[12:13], exec, s[14:15]
	s_cbranch_execz .LBB50_41
; %bb.40:                               ;   in Loop: Header=BB50_7 Depth=2
	global_load_dwordx2 v[2:3], v[2:3], off offset:128
	s_waitcnt vmcnt(0)
	ds_write_b64 v49, v[2:3] offset:4224
.LBB50_41:                              ;   in Loop: Header=BB50_7 Depth=2
	s_andn2_saveexec_b64 s[12:13], s[12:13]
	s_cbranch_execz .LBB50_6
; %bb.42:                               ;   in Loop: Header=BB50_7 Depth=2
	v_mov_b32_e32 v11, v10
	ds_write_b64 v49, v[10:11] offset:4224
	s_branch .LBB50_6
.LBB50_43:                              ;   in Loop: Header=BB50_4 Depth=1
	v_mul_lo_u32 v4, s29, v21
	v_mul_lo_u32 v5, s28, v22
	v_mad_u64_u32 v[2:3], s[8:9], s28, v21, 0
	v_cmp_gt_i32_e32 vcc, s26, v21
	v_add3_u32 v3, v3, v5, v4
	v_lshlrev_b64 v[2:3], 3, v[2:3]
	v_mov_b32_e32 v4, s50
	v_add_co_u32_e64 v2, s[8:9], s49, v2
	v_addc_co_u32_e64 v3, s[8:9], v4, v3, s[8:9]
	s_and_b64 s[8:9], s[4:5], vcc
	s_and_saveexec_b64 s[10:11], s[8:9]
	s_cbranch_execz .LBB50_45
; %bb.44:                               ;   in Loop: Header=BB50_4 Depth=1
	buffer_load_dword v4, off, s[56:59], 0  ; 4-byte Folded Reload
	buffer_load_dword v5, off, s[56:59], 0 offset:4 ; 4-byte Folded Reload
	s_waitcnt vmcnt(1)
	v_add_co_u32_e64 v4, s[8:9], v2, v4
	s_waitcnt vmcnt(0)
	v_addc_co_u32_e64 v5, s[8:9], v3, v5, s[8:9]
	global_load_dwordx2 v[6:7], v[4:5], off
	s_waitcnt vmcnt(0)
	v_fma_f64 v[6:7], s[34:35], v[43:44], v[6:7]
	global_store_dwordx2 v[4:5], v[6:7], off
.LBB50_45:                              ;   in Loop: Header=BB50_4 Depth=1
	s_or_b64 exec, exec, s[10:11]
	s_and_b64 s[10:11], s[20:21], vcc
	s_and_saveexec_b64 s[8:9], s[10:11]
	s_cbranch_execz .LBB50_47
; %bb.46:                               ;   in Loop: Header=BB50_4 Depth=1
	v_add_co_u32_e32 v2, vcc, v2, v19
	v_addc_co_u32_e32 v3, vcc, v3, v20, vcc
	global_load_dwordx2 v[4:5], v[2:3], off
	s_waitcnt vmcnt(0)
	v_fma_f64 v[4:5], s[34:35], v[41:42], v[4:5]
	global_store_dwordx2 v[2:3], v[4:5], off
.LBB50_47:                              ;   in Loop: Header=BB50_4 Depth=1
	s_or_b64 exec, exec, s[8:9]
	v_add_u32_e32 v4, 16, v21
	v_ashrrev_i32_e32 v2, 31, v4
	v_mul_lo_u32 v5, s28, v2
	v_mul_lo_u32 v6, s29, v4
	v_mad_u64_u32 v[2:3], s[8:9], s28, v4, 0
	v_cmp_gt_i32_e32 vcc, s26, v4
	v_mov_b32_e32 v4, s50
	v_add3_u32 v3, v3, v5, v6
	v_lshlrev_b64 v[2:3], 3, v[2:3]
	v_add_co_u32_e64 v2, s[8:9], s49, v2
	v_addc_co_u32_e64 v3, s[8:9], v4, v3, s[8:9]
	s_and_b64 s[8:9], s[4:5], vcc
	s_and_saveexec_b64 s[10:11], s[8:9]
	s_cbranch_execz .LBB50_49
; %bb.48:                               ;   in Loop: Header=BB50_4 Depth=1
	buffer_load_dword v4, off, s[56:59], 0  ; 4-byte Folded Reload
	buffer_load_dword v5, off, s[56:59], 0 offset:4 ; 4-byte Folded Reload
	s_waitcnt vmcnt(1)
	v_add_co_u32_e64 v4, s[8:9], v2, v4
	s_waitcnt vmcnt(0)
	v_addc_co_u32_e64 v5, s[8:9], v3, v5, s[8:9]
	global_load_dwordx2 v[6:7], v[4:5], off
	s_waitcnt vmcnt(0)
	v_fma_f64 v[6:7], s[34:35], v[39:40], v[6:7]
	global_store_dwordx2 v[4:5], v[6:7], off
.LBB50_49:                              ;   in Loop: Header=BB50_4 Depth=1
	s_or_b64 exec, exec, s[10:11]
	s_and_b64 s[10:11], s[20:21], vcc
	s_and_saveexec_b64 s[8:9], s[10:11]
	s_cbranch_execz .LBB50_3
; %bb.50:                               ;   in Loop: Header=BB50_4 Depth=1
	v_add_co_u32_e32 v2, vcc, v2, v19
	v_addc_co_u32_e32 v3, vcc, v3, v20, vcc
	global_load_dwordx2 v[4:5], v[2:3], off
	s_waitcnt vmcnt(0)
	v_fma_f64 v[4:5], s[34:35], v[37:38], v[4:5]
	global_store_dwordx2 v[2:3], v[4:5], off
	s_branch .LBB50_3
.LBB50_51:
	s_endpgm
	.section	.rodata,"a",@progbits
	.p2align	6, 0x0
	.amdhsa_kernel _ZL30rocblas_trmm_outofplace_kernelIdLi32ELi2ELb0ELb1ELb0ELb0EPKdS0_dEv17rocblas_diagonal_iiT6_lPT7_lllS5_lllPT8_llli
		.amdhsa_group_segment_fixed_size 16384
		.amdhsa_private_segment_fixed_size 24
		.amdhsa_kernarg_size 392
		.amdhsa_user_sgpr_count 6
		.amdhsa_user_sgpr_private_segment_buffer 1
		.amdhsa_user_sgpr_dispatch_ptr 0
		.amdhsa_user_sgpr_queue_ptr 0
		.amdhsa_user_sgpr_kernarg_segment_ptr 1
		.amdhsa_user_sgpr_dispatch_id 0
		.amdhsa_user_sgpr_flat_scratch_init 0
		.amdhsa_user_sgpr_private_segment_size 0
		.amdhsa_uses_dynamic_stack 0
		.amdhsa_system_sgpr_private_segment_wavefront_offset 1
		.amdhsa_system_sgpr_workgroup_id_x 1
		.amdhsa_system_sgpr_workgroup_id_y 1
		.amdhsa_system_sgpr_workgroup_id_z 1
		.amdhsa_system_sgpr_workgroup_info 0
		.amdhsa_system_vgpr_workitem_id 1
		.amdhsa_next_free_vgpr 64
		.amdhsa_next_free_sgpr 61
		.amdhsa_reserve_vcc 1
		.amdhsa_reserve_flat_scratch 0
		.amdhsa_float_round_mode_32 0
		.amdhsa_float_round_mode_16_64 0
		.amdhsa_float_denorm_mode_32 3
		.amdhsa_float_denorm_mode_16_64 3
		.amdhsa_dx10_clamp 1
		.amdhsa_ieee_mode 1
		.amdhsa_fp16_overflow 0
		.amdhsa_exception_fp_ieee_invalid_op 0
		.amdhsa_exception_fp_denorm_src 0
		.amdhsa_exception_fp_ieee_div_zero 0
		.amdhsa_exception_fp_ieee_overflow 0
		.amdhsa_exception_fp_ieee_underflow 0
		.amdhsa_exception_fp_ieee_inexact 0
		.amdhsa_exception_int_div_zero 0
	.end_amdhsa_kernel
	.section	.text._ZL30rocblas_trmm_outofplace_kernelIdLi32ELi2ELb0ELb1ELb0ELb0EPKdS0_dEv17rocblas_diagonal_iiT6_lPT7_lllS5_lllPT8_llli,"axG",@progbits,_ZL30rocblas_trmm_outofplace_kernelIdLi32ELi2ELb0ELb1ELb0ELb0EPKdS0_dEv17rocblas_diagonal_iiT6_lPT7_lllS5_lllPT8_llli,comdat
.Lfunc_end50:
	.size	_ZL30rocblas_trmm_outofplace_kernelIdLi32ELi2ELb0ELb1ELb0ELb0EPKdS0_dEv17rocblas_diagonal_iiT6_lPT7_lllS5_lllPT8_llli, .Lfunc_end50-_ZL30rocblas_trmm_outofplace_kernelIdLi32ELi2ELb0ELb1ELb0ELb0EPKdS0_dEv17rocblas_diagonal_iiT6_lPT7_lllS5_lllPT8_llli
                                        ; -- End function
	.set _ZL30rocblas_trmm_outofplace_kernelIdLi32ELi2ELb0ELb1ELb0ELb0EPKdS0_dEv17rocblas_diagonal_iiT6_lPT7_lllS5_lllPT8_llli.num_vgpr, 64
	.set _ZL30rocblas_trmm_outofplace_kernelIdLi32ELi2ELb0ELb1ELb0ELb0EPKdS0_dEv17rocblas_diagonal_iiT6_lPT7_lllS5_lllPT8_llli.num_agpr, 0
	.set _ZL30rocblas_trmm_outofplace_kernelIdLi32ELi2ELb0ELb1ELb0ELb0EPKdS0_dEv17rocblas_diagonal_iiT6_lPT7_lllS5_lllPT8_llli.numbered_sgpr, 60
	.set _ZL30rocblas_trmm_outofplace_kernelIdLi32ELi2ELb0ELb1ELb0ELb0EPKdS0_dEv17rocblas_diagonal_iiT6_lPT7_lllS5_lllPT8_llli.num_named_barrier, 0
	.set _ZL30rocblas_trmm_outofplace_kernelIdLi32ELi2ELb0ELb1ELb0ELb0EPKdS0_dEv17rocblas_diagonal_iiT6_lPT7_lllS5_lllPT8_llli.private_seg_size, 24
	.set _ZL30rocblas_trmm_outofplace_kernelIdLi32ELi2ELb0ELb1ELb0ELb0EPKdS0_dEv17rocblas_diagonal_iiT6_lPT7_lllS5_lllPT8_llli.uses_vcc, 1
	.set _ZL30rocblas_trmm_outofplace_kernelIdLi32ELi2ELb0ELb1ELb0ELb0EPKdS0_dEv17rocblas_diagonal_iiT6_lPT7_lllS5_lllPT8_llli.uses_flat_scratch, 0
	.set _ZL30rocblas_trmm_outofplace_kernelIdLi32ELi2ELb0ELb1ELb0ELb0EPKdS0_dEv17rocblas_diagonal_iiT6_lPT7_lllS5_lllPT8_llli.has_dyn_sized_stack, 0
	.set _ZL30rocblas_trmm_outofplace_kernelIdLi32ELi2ELb0ELb1ELb0ELb0EPKdS0_dEv17rocblas_diagonal_iiT6_lPT7_lllS5_lllPT8_llli.has_recursion, 0
	.set _ZL30rocblas_trmm_outofplace_kernelIdLi32ELi2ELb0ELb1ELb0ELb0EPKdS0_dEv17rocblas_diagonal_iiT6_lPT7_lllS5_lllPT8_llli.has_indirect_call, 0
	.section	.AMDGPU.csdata,"",@progbits
; Kernel info:
; codeLenInByte = 3836
; TotalNumSgprs: 64
; NumVgprs: 64
; ScratchSize: 24
; MemoryBound: 0
; FloatMode: 240
; IeeeMode: 1
; LDSByteSize: 16384 bytes/workgroup (compile time only)
; SGPRBlocks: 8
; VGPRBlocks: 15
; NumSGPRsForWavesPerEU: 65
; NumVGPRsForWavesPerEU: 64
; Occupancy: 4
; WaveLimiterHint : 0
; COMPUTE_PGM_RSRC2:SCRATCH_EN: 1
; COMPUTE_PGM_RSRC2:USER_SGPR: 6
; COMPUTE_PGM_RSRC2:TRAP_HANDLER: 0
; COMPUTE_PGM_RSRC2:TGID_X_EN: 1
; COMPUTE_PGM_RSRC2:TGID_Y_EN: 1
; COMPUTE_PGM_RSRC2:TGID_Z_EN: 1
; COMPUTE_PGM_RSRC2:TIDIG_COMP_CNT: 1
	.section	.text._ZL30rocblas_trmm_outofplace_kernelIdLi32ELi2ELb0ELb1ELb0ELb0EdKddEv17rocblas_diagonal_iiT6_lPT7_lllS4_lllPT8_llli,"axG",@progbits,_ZL30rocblas_trmm_outofplace_kernelIdLi32ELi2ELb0ELb1ELb0ELb0EdKddEv17rocblas_diagonal_iiT6_lPT7_lllS4_lllPT8_llli,comdat
	.globl	_ZL30rocblas_trmm_outofplace_kernelIdLi32ELi2ELb0ELb1ELb0ELb0EdKddEv17rocblas_diagonal_iiT6_lPT7_lllS4_lllPT8_llli ; -- Begin function _ZL30rocblas_trmm_outofplace_kernelIdLi32ELi2ELb0ELb1ELb0ELb0EdKddEv17rocblas_diagonal_iiT6_lPT7_lllS4_lllPT8_llli
	.p2align	8
	.type	_ZL30rocblas_trmm_outofplace_kernelIdLi32ELi2ELb0ELb1ELb0ELb0EdKddEv17rocblas_diagonal_iiT6_lPT7_lllS4_lllPT8_llli,@function
_ZL30rocblas_trmm_outofplace_kernelIdLi32ELi2ELb0ELb1ELb0ELb0EdKddEv17rocblas_diagonal_iiT6_lPT7_lllS4_lllPT8_llli: ; @_ZL30rocblas_trmm_outofplace_kernelIdLi32ELi2ELb0ELb1ELb0ELb0EdKddEv17rocblas_diagonal_iiT6_lPT7_lllS4_lllPT8_llli
; %bb.0:
	s_load_dwordx2 s[34:35], s[4:5], 0x10
	s_mov_b64 s[58:59], s[2:3]
	s_mov_b64 s[56:57], s[0:1]
	s_add_u32 s56, s56, s9
	s_addc_u32 s57, s57, 0
	s_waitcnt lgkmcnt(0)
	v_cmp_eq_f64_e64 s[0:1], s[34:35], 0
	s_and_b64 vcc, exec, s[0:1]
	s_cbranch_vccnz .LBB51_51
; %bb.1:
	s_load_dwordx4 s[28:31], s[4:5], 0x0
	s_waitcnt lgkmcnt(0)
	s_add_i32 s0, s30, -1
	s_ashr_i32 s1, s0, 31
	s_lshr_b32 s1, s1, 27
	s_add_i32 s0, s0, s1
	s_ashr_i32 s33, s0, 5
	s_cmp_gt_i32 s7, s33
	s_cbranch_scc1 .LBB51_51
; %bb.2:
	s_load_dwordx16 s[36:51], s[4:5], 0x20
	s_load_dwordx8 s[20:27], s[4:5], 0x60
	v_lshl_add_u32 v2, s6, 5, v0
	v_ashrrev_i32_e32 v3, 31, v2
	v_lshlrev_b64 v[5:6], 3, v[2:3]
	s_waitcnt lgkmcnt(0)
	s_mul_i32 s1, s51, s8
	s_mul_hi_u32 s2, s50, s8
	s_mul_i32 s0, s50, s8
	s_add_i32 s1, s2, s1
	s_lshl_b64 s[0:1], s[0:1], 3
	s_add_u32 s2, s44, s0
	s_addc_u32 s3, s45, s1
	s_lshl_b64 s[0:1], s[46:47], 3
	s_add_u32 s2, s2, s0
	v_add_co_u32_e32 v7, vcc, s2, v5
	buffer_store_dword v5, off, s[56:59], 0 ; 4-byte Folded Spill
	s_nop 0
	buffer_store_dword v6, off, s[56:59], 0 offset:4 ; 4-byte Folded Spill
	s_addc_u32 s3, s3, s1
	s_mul_i32 s0, s27, s8
	s_mul_hi_u32 s1, s26, s8
	s_add_i32 s1, s1, s0
	s_mul_i32 s0, s26, s8
	s_lshl_b64 s[0:1], s[0:1], 3
	s_add_u32 s9, s20, s0
	s_addc_u32 s10, s21, s1
	s_lshl_b64 s[0:1], s[22:23], 3
	s_add_u32 s50, s9, s0
	s_addc_u32 s51, s10, s1
	v_mov_b32_e32 v4, s3
	s_cmpk_eq_i32 s28, 0x84
	s_cselect_b64 s[26:27], -1, 0
	s_ashr_i32 s0, s29, 31
	v_mov_b32_e32 v5, s0
	s_ashr_i32 s31, s30, 31
	s_lshl_b64 s[44:45], s[48:49], 8
	s_add_u32 s46, s30, -16
	s_mul_i32 s9, s43, s8
	s_addc_u32 s47, s31, -1
	v_lshlrev_b32_e32 v46, 3, v0
	v_lshlrev_b32_e32 v45, 8, v1
	v_or_b32_e32 v48, 0x2000, v46
	v_mov_b32_e32 v10, 0
	v_add_u32_e32 v47, v45, v46
	v_add_u32_e32 v49, v48, v45
	v_lshl_add_u32 v16, s7, 5, v1
	v_mov_b32_e32 v55, 0x3ff00000
	v_addc_co_u32_e32 v8, vcc, v4, v6, vcc
	buffer_store_dword v7, off, s[56:59], 0 offset:8 ; 4-byte Folded Spill
	s_nop 0
	buffer_store_dword v8, off, s[56:59], 0 offset:12 ; 4-byte Folded Spill
	v_sub_co_u32_e32 v4, vcc, s29, v2
	v_subb_co_u32_e32 v5, vcc, v5, v3, vcc
	s_load_dword s6, s[4:5], 0x8c
	v_sub_co_u32_e32 v15, vcc, 0, v0
	v_cmp_gt_i64_e64 s[0:1], 1, v[4:5]
	v_cmp_gt_i64_e64 s[2:3], 17, v[4:5]
	v_subb_co_u32_e64 v4, s[10:11], 0, 0, vcc
	s_mul_hi_u32 s10, s42, s8
	s_add_i32 s9, s10, s9
	s_mul_i32 s8, s42, s8
	buffer_store_dword v4, off, s[56:59], 0 offset:16 ; 4-byte Folded Spill
	s_waitcnt lgkmcnt(0)
	s_lshl_b32 s52, s6, 5
	s_lshl_b64 s[8:9], s[8:9], 3
	s_lshl_b64 s[10:11], s[38:39], 3
	v_mad_u64_u32 v[4:5], s[12:13], s48, v1, 0
	s_add_u32 s8, s8, s10
	s_addc_u32 s9, s9, s11
	v_cmp_gt_i32_e64 s[4:5], s29, v2
	v_add_u32_e32 v2, 16, v2
	s_add_u32 s28, s36, s8
	v_cmp_gt_i32_e64 s[20:21], s29, v2
	s_addc_u32 s29, s37, s9
	v_mad_u64_u32 v[5:6], s[8:9], s49, v1, v[5:6]
	v_mov_b32_e32 v6, 0x80
	v_lshl_add_u32 v7, v1, 3, v6
	v_mad_u64_u32 v[18:19], s[8:9], s48, v7, 0
	v_lshlrev_b64 v[4:5], 3, v[4:5]
	v_ashrrev_i32_e32 v3, 31, v2
	v_mov_b32_e32 v6, v19
	v_mad_u64_u32 v[6:7], s[8:9], s49, v7, v[6:7]
	s_movk_i32 s10, 0x80
	v_add_co_u32_e32 v52, vcc, s10, v4
	v_lshlrev_b64 v[19:20], 3, v[2:3]
	v_addc_co_u32_e32 v53, vcc, 0, v5, vcc
	s_lshl_b64 s[36:37], s[40:41], 3
	v_mov_b32_e32 v54, v6
	s_movk_i32 s42, 0x100
	s_branch .LBB51_4
.LBB51_3:                               ;   in Loop: Header=BB51_4 Depth=1
	s_or_b64 exec, exec, s[8:9]
	s_add_i32 s7, s6, s7
	s_cmp_le_i32 s7, s33
	v_add_u32_e32 v16, s52, v16
	s_cbranch_scc0 .LBB51_51
.LBB51_4:                               ; =>This Loop Header: Depth=1
                                        ;     Child Loop BB51_7 Depth 2
	s_lshl_b32 s43, s7, 5
	v_add_u32_e32 v21, s43, v1
	v_mov_b32_e32 v43, 0
	v_mov_b32_e32 v41, 0
	;; [unrolled: 1-line block ×5, first 2 shown]
	s_cmp_lt_i32 s7, 0
	v_mov_b32_e32 v42, 0
	v_mov_b32_e32 v40, 0
	;; [unrolled: 1-line block ×3, first 2 shown]
	v_ashrrev_i32_e32 v22, 31, v21
	s_cbranch_scc1 .LBB51_43
; %bb.5:                                ;   in Loop: Header=BB51_4 Depth=1
	v_ashrrev_i32_e32 v17, 31, v16
	v_lshlrev_b64 v[2:3], 3, v[16:17]
	v_mov_b32_e32 v37, 0
	v_add_co_u32_e32 v4, vcc, 0x80, v2
	v_addc_co_u32_e32 v2, vcc, 0, v3, vcc
	v_mul_lo_u32 v5, s40, v2
	v_mov_b32_e32 v2, s28
	v_mov_b32_e32 v3, s29
	v_mul_lo_u32 v6, s41, v4
	v_mad_u64_u32 v[23:24], s[8:9], s40, v4, v[2:3]
	buffer_load_dword v4, off, s[56:59], 0 offset:16 ; 4-byte Folded Reload
	buffer_load_dword v35, off, s[56:59], 0 offset:8 ; 4-byte Folded Reload
	;; [unrolled: 1-line block ×3, first 2 shown]
	v_add_co_u32_e32 v27, vcc, v15, v16
	v_mad_u64_u32 v[25:26], s[8:9], s36, v16, v[2:3]
	v_mul_lo_u32 v2, s37, v16
	v_mul_lo_u32 v3, s36, v17
	v_mov_b32_e32 v39, 0
	v_mov_b32_e32 v41, 0
	v_mov_b32_e32 v43, 0
	v_add3_u32 v24, v6, v24, v5
	v_add3_u32 v26, v2, v26, v3
	v_cmp_le_i32_e64 s[8:9], s30, v21
	v_mov_b32_e32 v38, 0
	s_mov_b64 s[38:39], 0
	v_mov_b32_e32 v40, 0
	v_mov_b32_e32 v42, 0
	;; [unrolled: 1-line block ×3, first 2 shown]
	s_waitcnt vmcnt(2)
	v_addc_co_u32_e32 v28, vcc, v4, v17, vcc
	v_add_co_u32_e32 v29, vcc, 16, v21
	v_addc_co_u32_e32 v30, vcc, 0, v22, vcc
	v_add_co_u32_e32 v31, vcc, 16, v27
	v_addc_co_u32_e32 v32, vcc, 0, v28, vcc
	v_cmp_le_i64_e64 s[10:11], s[30:31], v[29:30]
	v_add_co_u32_e32 v33, vcc, -16, v27
	v_addc_co_u32_e32 v34, vcc, -1, v28, vcc
	s_branch .LBB51_7
.LBB51_6:                               ;   in Loop: Header=BB51_7 Depth=2
	s_or_b64 exec, exec, s[12:13]
	s_waitcnt lgkmcnt(0)
	s_barrier
	ds_read_b128 v[56:59], v45
	ds_read_b128 v[60:63], v45 offset:16
	ds_read_b128 v[6:9], v45 offset:32
	;; [unrolled: 1-line block ×3, first 2 shown]
	ds_read2_b64 v[11:14], v48 offset1:16
	v_add_co_u32_e32 v23, vcc, s42, v23
	v_addc_co_u32_e32 v24, vcc, 0, v24, vcc
	s_waitcnt lgkmcnt(0)
	v_fma_f64 v[50:51], v[11:12], v[56:57], v[43:44]
	v_fma_f64 v[56:57], v[13:14], v[56:57], v[41:42]
	ds_read_b128 v[41:44], v45 offset:4096
	v_add_co_u32_e32 v35, vcc, s44, v35
	s_add_u32 s38, s38, 32
	s_addc_u32 s39, s39, 0
	s_waitcnt lgkmcnt(0)
	v_fma_f64 v[39:40], v[11:12], v[41:42], v[39:40]
	v_fma_f64 v[37:38], v[13:14], v[41:42], v[37:38]
	ds_read2_b64 v[11:14], v48 offset0:32 offset1:48
	s_sub_i32 s12, s38, 32
	s_cmp_ge_i32 s12, s43
	s_waitcnt lgkmcnt(0)
	v_fma_f64 v[41:42], v[11:12], v[58:59], v[50:51]
	v_fma_f64 v[50:51], v[13:14], v[58:59], v[56:57]
	v_fma_f64 v[56:57], v[11:12], v[43:44], v[39:40]
	v_fma_f64 v[43:44], v[13:14], v[43:44], v[37:38]
	ds_read2_b64 v[11:14], v48 offset0:64 offset1:80
	ds_read_b128 v[37:40], v45 offset:4112
	s_waitcnt lgkmcnt(1)
	v_fma_f64 v[41:42], v[11:12], v[60:61], v[41:42]
	v_fma_f64 v[50:51], v[13:14], v[60:61], v[50:51]
	s_waitcnt lgkmcnt(0)
	v_fma_f64 v[56:57], v[11:12], v[37:38], v[56:57]
	v_fma_f64 v[37:38], v[13:14], v[37:38], v[43:44]
	ds_read2_b64 v[11:14], v48 offset0:96 offset1:112
	s_waitcnt lgkmcnt(0)
	v_fma_f64 v[41:42], v[11:12], v[62:63], v[41:42]
	v_fma_f64 v[43:44], v[13:14], v[62:63], v[50:51]
	v_fma_f64 v[50:51], v[11:12], v[39:40], v[56:57]
	v_fma_f64 v[56:57], v[13:14], v[39:40], v[37:38]
	ds_read2_b64 v[11:14], v48 offset0:128 offset1:144
	ds_read_b128 v[37:40], v45 offset:4128
	s_waitcnt lgkmcnt(1)
	v_fma_f64 v[41:42], v[11:12], v[6:7], v[41:42]
	v_fma_f64 v[6:7], v[13:14], v[6:7], v[43:44]
	s_waitcnt lgkmcnt(0)
	v_fma_f64 v[43:44], v[11:12], v[37:38], v[50:51]
	v_fma_f64 v[37:38], v[13:14], v[37:38], v[56:57]
	ds_read2_b64 v[11:14], v48 offset0:160 offset1:176
	s_waitcnt lgkmcnt(0)
	v_fma_f64 v[41:42], v[11:12], v[8:9], v[41:42]
	v_fma_f64 v[50:51], v[13:14], v[8:9], v[6:7]
	v_fma_f64 v[43:44], v[11:12], v[39:40], v[43:44]
	v_fma_f64 v[37:38], v[13:14], v[39:40], v[37:38]
	ds_read2_b64 v[6:9], v48 offset0:192 offset1:208
	ds_read_b128 v[11:14], v45 offset:4144
	s_waitcnt lgkmcnt(1)
	v_fma_f64 v[39:40], v[6:7], v[2:3], v[41:42]
	v_fma_f64 v[2:3], v[8:9], v[2:3], v[50:51]
	s_waitcnt lgkmcnt(0)
	v_fma_f64 v[41:42], v[6:7], v[11:12], v[43:44]
	v_fma_f64 v[11:12], v[8:9], v[11:12], v[37:38]
	ds_read2_b64 v[6:9], v48 offset0:224 offset1:240
	s_waitcnt lgkmcnt(0)
	v_fma_f64 v[37:38], v[6:7], v[4:5], v[39:40]
	v_fma_f64 v[39:40], v[8:9], v[4:5], v[2:3]
	v_add_u32_e32 v2, 0x800, v48
	v_fma_f64 v[41:42], v[6:7], v[13:14], v[41:42]
	v_fma_f64 v[7:8], v[8:9], v[13:14], v[11:12]
	ds_read_b128 v[3:6], v45 offset:64
	ds_read2_b64 v[11:14], v2 offset1:16
	s_waitcnt lgkmcnt(0)
	v_fma_f64 v[43:44], v[11:12], v[3:4], v[37:38]
	v_fma_f64 v[3:4], v[13:14], v[3:4], v[39:40]
	ds_read_b128 v[37:40], v45 offset:4160
	s_waitcnt lgkmcnt(0)
	v_fma_f64 v[41:42], v[11:12], v[37:38], v[41:42]
	v_fma_f64 v[7:8], v[13:14], v[37:38], v[7:8]
	ds_read2_b64 v[11:14], v2 offset0:32 offset1:48
	s_waitcnt lgkmcnt(0)
	v_fma_f64 v[37:38], v[11:12], v[5:6], v[43:44]
	v_fma_f64 v[43:44], v[13:14], v[5:6], v[3:4]
	v_fma_f64 v[41:42], v[11:12], v[39:40], v[41:42]
	v_fma_f64 v[7:8], v[13:14], v[39:40], v[7:8]
	ds_read_b128 v[3:6], v45 offset:80
	ds_read2_b64 v[11:14], v2 offset0:64 offset1:80
	s_waitcnt lgkmcnt(0)
	v_fma_f64 v[50:51], v[11:12], v[3:4], v[37:38]
	ds_read_b128 v[37:40], v45 offset:4176
	v_fma_f64 v[3:4], v[13:14], v[3:4], v[43:44]
	s_waitcnt lgkmcnt(0)
	v_fma_f64 v[41:42], v[11:12], v[37:38], v[41:42]
	v_fma_f64 v[7:8], v[13:14], v[37:38], v[7:8]
	ds_read2_b64 v[11:14], v2 offset0:96 offset1:112
	s_waitcnt lgkmcnt(0)
	v_fma_f64 v[37:38], v[11:12], v[5:6], v[50:51]
	v_fma_f64 v[43:44], v[13:14], v[5:6], v[3:4]
	v_fma_f64 v[41:42], v[11:12], v[39:40], v[41:42]
	v_fma_f64 v[7:8], v[13:14], v[39:40], v[7:8]
	ds_read_b128 v[3:6], v45 offset:96
	ds_read2_b64 v[11:14], v2 offset0:128 offset1:144
	s_waitcnt lgkmcnt(0)
	v_fma_f64 v[50:51], v[11:12], v[3:4], v[37:38]
	ds_read_b128 v[37:40], v45 offset:4192
	v_fma_f64 v[3:4], v[13:14], v[3:4], v[43:44]
	;; [unrolled: 15-line block ×3, first 2 shown]
	s_waitcnt lgkmcnt(0)
	v_fma_f64 v[41:42], v[11:12], v[37:38], v[41:42]
	v_fma_f64 v[7:8], v[13:14], v[37:38], v[7:8]
	ds_read2_b64 v[11:14], v2 offset0:224 offset1:240
	v_add_u32_e32 v2, 0x1000, v48
	s_waitcnt lgkmcnt(0)
	v_fma_f64 v[37:38], v[11:12], v[5:6], v[50:51]
	v_fma_f64 v[43:44], v[13:14], v[5:6], v[3:4]
	;; [unrolled: 1-line block ×4, first 2 shown]
	ds_read_b128 v[3:6], v45 offset:128
	ds_read2_b64 v[11:14], v2 offset1:16
	s_waitcnt lgkmcnt(0)
	v_fma_f64 v[50:51], v[11:12], v[3:4], v[37:38]
	ds_read_b128 v[37:40], v45 offset:4224
	v_fma_f64 v[3:4], v[13:14], v[3:4], v[43:44]
	s_waitcnt lgkmcnt(0)
	v_fma_f64 v[41:42], v[11:12], v[37:38], v[41:42]
	v_fma_f64 v[7:8], v[13:14], v[37:38], v[7:8]
	ds_read2_b64 v[11:14], v2 offset0:32 offset1:48
	s_waitcnt lgkmcnt(0)
	v_fma_f64 v[37:38], v[11:12], v[5:6], v[50:51]
	v_fma_f64 v[43:44], v[13:14], v[5:6], v[3:4]
	v_fma_f64 v[41:42], v[11:12], v[39:40], v[41:42]
	v_fma_f64 v[7:8], v[13:14], v[39:40], v[7:8]
	ds_read_b128 v[3:6], v45 offset:144
	ds_read2_b64 v[11:14], v2 offset0:64 offset1:80
	s_waitcnt lgkmcnt(0)
	v_fma_f64 v[50:51], v[11:12], v[3:4], v[37:38]
	ds_read_b128 v[37:40], v45 offset:4240
	v_fma_f64 v[3:4], v[13:14], v[3:4], v[43:44]
	s_waitcnt lgkmcnt(0)
	v_fma_f64 v[41:42], v[11:12], v[37:38], v[41:42]
	v_fma_f64 v[7:8], v[13:14], v[37:38], v[7:8]
	ds_read2_b64 v[11:14], v2 offset0:96 offset1:112
	s_waitcnt lgkmcnt(0)
	v_fma_f64 v[37:38], v[11:12], v[5:6], v[50:51]
	v_fma_f64 v[43:44], v[13:14], v[5:6], v[3:4]
	v_fma_f64 v[41:42], v[11:12], v[39:40], v[41:42]
	v_fma_f64 v[7:8], v[13:14], v[39:40], v[7:8]
	ds_read_b128 v[3:6], v45 offset:160
	ds_read2_b64 v[11:14], v2 offset0:128 offset1:144
	s_waitcnt lgkmcnt(0)
	v_fma_f64 v[50:51], v[11:12], v[3:4], v[37:38]
	ds_read_b128 v[37:40], v45 offset:4256
	v_fma_f64 v[3:4], v[13:14], v[3:4], v[43:44]
	s_waitcnt lgkmcnt(0)
	v_fma_f64 v[41:42], v[11:12], v[37:38], v[41:42]
	v_fma_f64 v[7:8], v[13:14], v[37:38], v[7:8]
	ds_read2_b64 v[11:14], v2 offset0:160 offset1:176
	s_waitcnt lgkmcnt(0)
	v_fma_f64 v[37:38], v[11:12], v[5:6], v[50:51]
	v_fma_f64 v[43:44], v[13:14], v[5:6], v[3:4]
	v_fma_f64 v[41:42], v[11:12], v[39:40], v[41:42]
	v_fma_f64 v[7:8], v[13:14], v[39:40], v[7:8]
	ds_read_b128 v[3:6], v45 offset:176
	ds_read2_b64 v[11:14], v2 offset0:192 offset1:208
	s_waitcnt lgkmcnt(0)
	v_fma_f64 v[50:51], v[11:12], v[3:4], v[37:38]
	ds_read_b128 v[37:40], v45 offset:4272
	v_fma_f64 v[3:4], v[13:14], v[3:4], v[43:44]
	s_waitcnt lgkmcnt(0)
	v_fma_f64 v[41:42], v[11:12], v[37:38], v[41:42]
	v_fma_f64 v[7:8], v[13:14], v[37:38], v[7:8]
	ds_read2_b64 v[11:14], v2 offset0:224 offset1:240
	v_add_u32_e32 v2, 0x1800, v48
	s_waitcnt lgkmcnt(0)
	v_fma_f64 v[37:38], v[11:12], v[5:6], v[50:51]
	v_fma_f64 v[43:44], v[13:14], v[5:6], v[3:4]
	;; [unrolled: 1-line block ×4, first 2 shown]
	ds_read_b128 v[3:6], v45 offset:192
	ds_read2_b64 v[11:14], v2 offset1:16
	s_waitcnt lgkmcnt(0)
	v_fma_f64 v[50:51], v[11:12], v[3:4], v[37:38]
	ds_read_b128 v[37:40], v45 offset:4288
	v_fma_f64 v[3:4], v[13:14], v[3:4], v[43:44]
	s_waitcnt lgkmcnt(0)
	v_fma_f64 v[41:42], v[11:12], v[37:38], v[41:42]
	v_fma_f64 v[7:8], v[13:14], v[37:38], v[7:8]
	ds_read2_b64 v[11:14], v2 offset0:32 offset1:48
	s_waitcnt lgkmcnt(0)
	v_fma_f64 v[37:38], v[11:12], v[5:6], v[50:51]
	v_fma_f64 v[43:44], v[13:14], v[5:6], v[3:4]
	v_fma_f64 v[41:42], v[11:12], v[39:40], v[41:42]
	v_fma_f64 v[7:8], v[13:14], v[39:40], v[7:8]
	ds_read_b128 v[3:6], v45 offset:208
	ds_read2_b64 v[11:14], v2 offset0:64 offset1:80
	s_waitcnt lgkmcnt(0)
	v_fma_f64 v[50:51], v[11:12], v[3:4], v[37:38]
	ds_read_b128 v[37:40], v45 offset:4304
	v_fma_f64 v[3:4], v[13:14], v[3:4], v[43:44]
	s_waitcnt lgkmcnt(0)
	v_fma_f64 v[41:42], v[11:12], v[37:38], v[41:42]
	v_fma_f64 v[7:8], v[13:14], v[37:38], v[7:8]
	ds_read2_b64 v[11:14], v2 offset0:96 offset1:112
	s_waitcnt lgkmcnt(0)
	v_fma_f64 v[37:38], v[11:12], v[5:6], v[50:51]
	v_fma_f64 v[43:44], v[13:14], v[5:6], v[3:4]
	v_fma_f64 v[41:42], v[11:12], v[39:40], v[41:42]
	v_fma_f64 v[7:8], v[13:14], v[39:40], v[7:8]
	ds_read_b128 v[3:6], v45 offset:224
	ds_read2_b64 v[11:14], v2 offset0:128 offset1:144
	;; [unrolled: 15-line block ×3, first 2 shown]
	ds_read_b128 v[56:59], v45 offset:4336
	s_waitcnt lgkmcnt(1)
	v_fma_f64 v[37:38], v[11:12], v[3:4], v[37:38]
	v_fma_f64 v[3:4], v[13:14], v[3:4], v[43:44]
	s_waitcnt lgkmcnt(0)
	v_fma_f64 v[39:40], v[11:12], v[56:57], v[41:42]
	v_fma_f64 v[7:8], v[13:14], v[56:57], v[7:8]
	ds_read2_b64 v[11:14], v2 offset0:224 offset1:240
	v_mov_b32_e32 v2, s45
	v_addc_co_u32_e32 v36, vcc, v36, v2, vcc
	v_add_co_u32_e32 v25, vcc, 0x100, v25
	s_waitcnt lgkmcnt(0)
	v_fma_f64 v[43:44], v[11:12], v[5:6], v[37:38]
	v_fma_f64 v[41:42], v[13:14], v[5:6], v[3:4]
	;; [unrolled: 1-line block ×4, first 2 shown]
	v_addc_co_u32_e32 v26, vcc, 0, v26, vcc
	s_barrier
	s_cbranch_scc1 .LBB51_43
.LBB51_7:                               ;   Parent Loop BB51_4 Depth=1
                                        ; =>  This Inner Loop Header: Depth=2
	v_mov_b32_e32 v3, s39
	v_add_co_u32_e32 v2, vcc, s38, v0
	v_add_co_u32_e64 v4, s[12:13], v25, v46
	v_addc_co_u32_e32 v3, vcc, 0, v3, vcc
	v_addc_co_u32_e64 v5, s[12:13], 0, v26, s[12:13]
	v_cmp_eq_u64_e32 vcc, s[38:39], v[27:28]
	v_cmp_gt_i64_e64 s[12:13], v[2:3], v[21:22]
	s_and_b64 vcc, s[26:27], vcc
	v_cmp_le_i64_e64 s[14:15], s[30:31], v[2:3]
	s_or_b64 s[16:17], s[8:9], s[12:13]
	s_or_b64 s[16:17], s[16:17], vcc
	s_nor_b64 s[16:17], s[14:15], s[16:17]
                                        ; implicit-def: $vgpr6_vgpr7
	s_and_saveexec_b64 s[18:19], s[16:17]
	s_xor_b64 s[16:17], exec, s[18:19]
	s_cbranch_execz .LBB51_9
; %bb.8:                                ;   in Loop: Header=BB51_7 Depth=2
	global_load_dwordx2 v[6:7], v[4:5], off
.LBB51_9:                               ;   in Loop: Header=BB51_7 Depth=2
	s_andn2_saveexec_b64 s[16:17], s[16:17]
	s_cbranch_execz .LBB51_11
; %bb.10:                               ;   in Loop: Header=BB51_7 Depth=2
	v_cndmask_b32_e32 v11, 0, v55, vcc
	s_waitcnt vmcnt(0)
	v_mov_b32_e32 v6, v10
	v_mov_b32_e32 v7, v11
.LBB51_11:                              ;   in Loop: Header=BB51_7 Depth=2
	s_or_b64 exec, exec, s[16:17]
	s_waitcnt vmcnt(0)
	ds_write_b64 v47, v[6:7]
	v_add_co_u32_e64 v6, s[18:19], 16, v2
	v_addc_co_u32_e64 v7, s[18:19], 0, v3, s[18:19]
	v_cmp_eq_u64_e64 s[16:17], s[38:39], v[33:34]
	v_cmp_gt_i64_e64 s[18:19], v[6:7], v[21:22]
	s_and_b64 s[22:23], s[26:27], s[16:17]
	v_cmp_le_i64_e64 s[16:17], s[30:31], v[6:7]
	s_or_b64 s[18:19], s[8:9], s[18:19]
	s_or_b64 s[18:19], s[18:19], s[22:23]
	s_nor_b64 s[18:19], s[16:17], s[18:19]
	s_and_saveexec_b64 s[48:49], s[18:19]
	s_xor_b64 s[18:19], exec, s[48:49]
	s_cbranch_execz .LBB51_13
; %bb.12:                               ;   in Loop: Header=BB51_7 Depth=2
	global_load_dwordx2 v[4:5], v[4:5], off offset:128
	s_waitcnt vmcnt(0)
	ds_write_b64 v47, v[4:5] offset:128
.LBB51_13:                              ;   in Loop: Header=BB51_7 Depth=2
	s_andn2_saveexec_b64 s[18:19], s[18:19]
	s_cbranch_execz .LBB51_19
; %bb.14:                               ;   in Loop: Header=BB51_7 Depth=2
	s_xor_b64 s[22:23], s[22:23], -1
	s_and_saveexec_b64 s[48:49], s[22:23]
	s_xor_b64 s[22:23], exec, s[48:49]
; %bb.15:                               ;   in Loop: Header=BB51_7 Depth=2
	v_mov_b32_e32 v11, v10
	ds_write_b64 v47, v[10:11] offset:128
; %bb.16:                               ;   in Loop: Header=BB51_7 Depth=2
	s_andn2_saveexec_b64 s[22:23], s[22:23]
; %bb.17:                               ;   in Loop: Header=BB51_7 Depth=2
	v_mov_b32_e32 v11, v55
	ds_write_b64 v47, v[10:11] offset:128
; %bb.18:                               ;   in Loop: Header=BB51_7 Depth=2
	s_or_b64 exec, exec, s[22:23]
.LBB51_19:                              ;   in Loop: Header=BB51_7 Depth=2
	s_or_b64 exec, exec, s[18:19]
	v_add_co_u32_e64 v4, s[18:19], v23, v46
	v_addc_co_u32_e64 v5, s[18:19], 0, v24, s[18:19]
	v_cmp_eq_u64_e64 s[18:19], s[38:39], v[31:32]
	v_cmp_gt_i64_e64 s[22:23], v[2:3], v[29:30]
	s_and_b64 s[18:19], s[26:27], s[18:19]
	s_or_b64 s[22:23], s[10:11], s[22:23]
	s_or_b64 s[22:23], s[22:23], s[18:19]
	s_nor_b64 s[14:15], s[14:15], s[22:23]
                                        ; implicit-def: $vgpr2_vgpr3
	s_and_saveexec_b64 s[22:23], s[14:15]
	s_xor_b64 s[14:15], exec, s[22:23]
	s_cbranch_execz .LBB51_21
; %bb.20:                               ;   in Loop: Header=BB51_7 Depth=2
	global_load_dwordx2 v[2:3], v[4:5], off
.LBB51_21:                              ;   in Loop: Header=BB51_7 Depth=2
	s_andn2_saveexec_b64 s[14:15], s[14:15]
	s_cbranch_execz .LBB51_23
; %bb.22:                               ;   in Loop: Header=BB51_7 Depth=2
	v_cndmask_b32_e64 v11, 0, v55, s[18:19]
	s_waitcnt vmcnt(0)
	v_mov_b32_e32 v2, v10
	v_mov_b32_e32 v3, v11
.LBB51_23:                              ;   in Loop: Header=BB51_7 Depth=2
	s_or_b64 exec, exec, s[14:15]
	s_or_b64 s[12:13], s[10:11], s[12:13]
	s_or_b64 s[12:13], s[12:13], vcc
	s_nor_b64 s[12:13], s[16:17], s[12:13]
	s_waitcnt vmcnt(0)
	ds_write_b64 v47, v[2:3] offset:4096
	s_and_saveexec_b64 s[14:15], s[12:13]
	s_xor_b64 s[12:13], exec, s[14:15]
	s_cbranch_execz .LBB51_25
; %bb.24:                               ;   in Loop: Header=BB51_7 Depth=2
	global_load_dwordx2 v[2:3], v[4:5], off offset:128
	s_waitcnt vmcnt(0)
	ds_write_b64 v47, v[2:3] offset:4224
.LBB51_25:                              ;   in Loop: Header=BB51_7 Depth=2
	s_andn2_saveexec_b64 s[12:13], s[12:13]
	s_cbranch_execz .LBB51_31
; %bb.26:                               ;   in Loop: Header=BB51_7 Depth=2
	s_xor_b64 s[14:15], vcc, -1
	s_and_saveexec_b64 s[16:17], s[14:15]
	s_xor_b64 s[14:15], exec, s[16:17]
; %bb.27:                               ;   in Loop: Header=BB51_7 Depth=2
	v_mov_b32_e32 v11, v10
	ds_write_b64 v47, v[10:11] offset:4224
; %bb.28:                               ;   in Loop: Header=BB51_7 Depth=2
	s_andn2_saveexec_b64 s[14:15], s[14:15]
; %bb.29:                               ;   in Loop: Header=BB51_7 Depth=2
	v_mov_b32_e32 v11, v55
	ds_write_b64 v47, v[10:11] offset:4224
; %bb.30:                               ;   in Loop: Header=BB51_7 Depth=2
	s_or_b64 exec, exec, s[14:15]
.LBB51_31:                              ;   in Loop: Header=BB51_7 Depth=2
	s_or_b64 exec, exec, s[12:13]
	v_mov_b32_e32 v3, s39
	v_add_co_u32_e32 v2, vcc, s38, v1
	v_addc_co_u32_e32 v3, vcc, 0, v3, vcc
	v_add_co_u32_e32 v4, vcc, v35, v52
	v_addc_co_u32_e32 v5, vcc, v36, v53, vcc
	v_cmp_le_i64_e32 vcc, s[30:31], v[2:3]
	v_mov_b32_e32 v6, 0
	v_mov_b32_e32 v7, 0
	s_nor_b64 s[14:15], vcc, s[0:1]
	s_and_saveexec_b64 s[12:13], s[14:15]
	s_cbranch_execz .LBB51_33
; %bb.32:                               ;   in Loop: Header=BB51_7 Depth=2
	global_load_dwordx2 v[6:7], v[4:5], off offset:-128
.LBB51_33:                              ;   in Loop: Header=BB51_7 Depth=2
	s_or_b64 exec, exec, s[12:13]
	s_nor_b64 s[12:13], vcc, s[2:3]
	s_waitcnt vmcnt(0)
	ds_write_b64 v49, v[6:7]
	s_and_saveexec_b64 s[14:15], s[12:13]
	s_xor_b64 s[12:13], exec, s[14:15]
	s_cbranch_execz .LBB51_35
; %bb.34:                               ;   in Loop: Header=BB51_7 Depth=2
	global_load_dwordx2 v[4:5], v[4:5], off
	s_waitcnt vmcnt(0)
	ds_write_b64 v49, v[4:5] offset:128
.LBB51_35:                              ;   in Loop: Header=BB51_7 Depth=2
	s_andn2_saveexec_b64 s[12:13], s[12:13]
; %bb.36:                               ;   in Loop: Header=BB51_7 Depth=2
	v_mov_b32_e32 v11, v10
	ds_write_b64 v49, v[10:11] offset:128
; %bb.37:                               ;   in Loop: Header=BB51_7 Depth=2
	s_or_b64 exec, exec, s[12:13]
	v_cmp_le_i64_e32 vcc, s[46:47], v[2:3]
	v_add_co_u32_e64 v2, s[12:13], v35, v18
	v_mov_b32_e32 v4, 0
	v_addc_co_u32_e64 v3, s[12:13], v36, v54, s[12:13]
	v_mov_b32_e32 v5, 0
	s_nor_b64 s[14:15], vcc, s[0:1]
	s_and_saveexec_b64 s[12:13], s[14:15]
	s_cbranch_execz .LBB51_39
; %bb.38:                               ;   in Loop: Header=BB51_7 Depth=2
	global_load_dwordx2 v[4:5], v[2:3], off
.LBB51_39:                              ;   in Loop: Header=BB51_7 Depth=2
	s_or_b64 exec, exec, s[12:13]
	s_nor_b64 s[12:13], vcc, s[2:3]
	s_waitcnt vmcnt(0)
	ds_write_b64 v49, v[4:5] offset:4096
	s_and_saveexec_b64 s[14:15], s[12:13]
	s_xor_b64 s[12:13], exec, s[14:15]
	s_cbranch_execz .LBB51_41
; %bb.40:                               ;   in Loop: Header=BB51_7 Depth=2
	global_load_dwordx2 v[2:3], v[2:3], off offset:128
	s_waitcnt vmcnt(0)
	ds_write_b64 v49, v[2:3] offset:4224
.LBB51_41:                              ;   in Loop: Header=BB51_7 Depth=2
	s_andn2_saveexec_b64 s[12:13], s[12:13]
	s_cbranch_execz .LBB51_6
; %bb.42:                               ;   in Loop: Header=BB51_7 Depth=2
	v_mov_b32_e32 v11, v10
	ds_write_b64 v49, v[10:11] offset:4224
	s_branch .LBB51_6
.LBB51_43:                              ;   in Loop: Header=BB51_4 Depth=1
	v_mul_lo_u32 v4, s25, v21
	v_mul_lo_u32 v5, s24, v22
	v_mad_u64_u32 v[2:3], s[8:9], s24, v21, 0
	v_cmp_gt_i32_e32 vcc, s30, v21
	v_add3_u32 v3, v3, v5, v4
	v_lshlrev_b64 v[2:3], 3, v[2:3]
	v_mov_b32_e32 v4, s51
	v_add_co_u32_e64 v2, s[8:9], s50, v2
	v_addc_co_u32_e64 v3, s[8:9], v4, v3, s[8:9]
	s_and_b64 s[8:9], s[4:5], vcc
	s_and_saveexec_b64 s[10:11], s[8:9]
	s_cbranch_execz .LBB51_45
; %bb.44:                               ;   in Loop: Header=BB51_4 Depth=1
	buffer_load_dword v4, off, s[56:59], 0  ; 4-byte Folded Reload
	buffer_load_dword v5, off, s[56:59], 0 offset:4 ; 4-byte Folded Reload
	s_waitcnt vmcnt(1)
	v_add_co_u32_e64 v4, s[8:9], v2, v4
	s_waitcnt vmcnt(0)
	v_addc_co_u32_e64 v5, s[8:9], v3, v5, s[8:9]
	global_load_dwordx2 v[6:7], v[4:5], off
	s_waitcnt vmcnt(0)
	v_fma_f64 v[6:7], s[34:35], v[43:44], v[6:7]
	global_store_dwordx2 v[4:5], v[6:7], off
.LBB51_45:                              ;   in Loop: Header=BB51_4 Depth=1
	s_or_b64 exec, exec, s[10:11]
	s_and_b64 s[10:11], s[20:21], vcc
	s_and_saveexec_b64 s[8:9], s[10:11]
	s_cbranch_execz .LBB51_47
; %bb.46:                               ;   in Loop: Header=BB51_4 Depth=1
	v_add_co_u32_e32 v2, vcc, v2, v19
	v_addc_co_u32_e32 v3, vcc, v3, v20, vcc
	global_load_dwordx2 v[4:5], v[2:3], off
	s_waitcnt vmcnt(0)
	v_fma_f64 v[4:5], s[34:35], v[41:42], v[4:5]
	global_store_dwordx2 v[2:3], v[4:5], off
.LBB51_47:                              ;   in Loop: Header=BB51_4 Depth=1
	s_or_b64 exec, exec, s[8:9]
	v_add_u32_e32 v4, 16, v21
	v_ashrrev_i32_e32 v2, 31, v4
	v_mul_lo_u32 v5, s24, v2
	v_mul_lo_u32 v6, s25, v4
	v_mad_u64_u32 v[2:3], s[8:9], s24, v4, 0
	v_cmp_gt_i32_e32 vcc, s30, v4
	v_mov_b32_e32 v4, s51
	v_add3_u32 v3, v3, v5, v6
	v_lshlrev_b64 v[2:3], 3, v[2:3]
	v_add_co_u32_e64 v2, s[8:9], s50, v2
	v_addc_co_u32_e64 v3, s[8:9], v4, v3, s[8:9]
	s_and_b64 s[8:9], s[4:5], vcc
	s_and_saveexec_b64 s[10:11], s[8:9]
	s_cbranch_execz .LBB51_49
; %bb.48:                               ;   in Loop: Header=BB51_4 Depth=1
	buffer_load_dword v4, off, s[56:59], 0  ; 4-byte Folded Reload
	buffer_load_dword v5, off, s[56:59], 0 offset:4 ; 4-byte Folded Reload
	s_waitcnt vmcnt(1)
	v_add_co_u32_e64 v4, s[8:9], v2, v4
	s_waitcnt vmcnt(0)
	v_addc_co_u32_e64 v5, s[8:9], v3, v5, s[8:9]
	global_load_dwordx2 v[6:7], v[4:5], off
	s_waitcnt vmcnt(0)
	v_fma_f64 v[6:7], s[34:35], v[39:40], v[6:7]
	global_store_dwordx2 v[4:5], v[6:7], off
.LBB51_49:                              ;   in Loop: Header=BB51_4 Depth=1
	s_or_b64 exec, exec, s[10:11]
	s_and_b64 s[10:11], s[20:21], vcc
	s_and_saveexec_b64 s[8:9], s[10:11]
	s_cbranch_execz .LBB51_3
; %bb.50:                               ;   in Loop: Header=BB51_4 Depth=1
	v_add_co_u32_e32 v2, vcc, v2, v19
	v_addc_co_u32_e32 v3, vcc, v3, v20, vcc
	global_load_dwordx2 v[4:5], v[2:3], off
	s_waitcnt vmcnt(0)
	v_fma_f64 v[4:5], s[34:35], v[37:38], v[4:5]
	global_store_dwordx2 v[2:3], v[4:5], off
	s_branch .LBB51_3
.LBB51_51:
	s_endpgm
	.section	.rodata,"a",@progbits
	.p2align	6, 0x0
	.amdhsa_kernel _ZL30rocblas_trmm_outofplace_kernelIdLi32ELi2ELb0ELb1ELb0ELb0EdKddEv17rocblas_diagonal_iiT6_lPT7_lllS4_lllPT8_llli
		.amdhsa_group_segment_fixed_size 16384
		.amdhsa_private_segment_fixed_size 24
		.amdhsa_kernarg_size 392
		.amdhsa_user_sgpr_count 6
		.amdhsa_user_sgpr_private_segment_buffer 1
		.amdhsa_user_sgpr_dispatch_ptr 0
		.amdhsa_user_sgpr_queue_ptr 0
		.amdhsa_user_sgpr_kernarg_segment_ptr 1
		.amdhsa_user_sgpr_dispatch_id 0
		.amdhsa_user_sgpr_flat_scratch_init 0
		.amdhsa_user_sgpr_private_segment_size 0
		.amdhsa_uses_dynamic_stack 0
		.amdhsa_system_sgpr_private_segment_wavefront_offset 1
		.amdhsa_system_sgpr_workgroup_id_x 1
		.amdhsa_system_sgpr_workgroup_id_y 1
		.amdhsa_system_sgpr_workgroup_id_z 1
		.amdhsa_system_sgpr_workgroup_info 0
		.amdhsa_system_vgpr_workitem_id 1
		.amdhsa_next_free_vgpr 64
		.amdhsa_next_free_sgpr 61
		.amdhsa_reserve_vcc 1
		.amdhsa_reserve_flat_scratch 0
		.amdhsa_float_round_mode_32 0
		.amdhsa_float_round_mode_16_64 0
		.amdhsa_float_denorm_mode_32 3
		.amdhsa_float_denorm_mode_16_64 3
		.amdhsa_dx10_clamp 1
		.amdhsa_ieee_mode 1
		.amdhsa_fp16_overflow 0
		.amdhsa_exception_fp_ieee_invalid_op 0
		.amdhsa_exception_fp_denorm_src 0
		.amdhsa_exception_fp_ieee_div_zero 0
		.amdhsa_exception_fp_ieee_overflow 0
		.amdhsa_exception_fp_ieee_underflow 0
		.amdhsa_exception_fp_ieee_inexact 0
		.amdhsa_exception_int_div_zero 0
	.end_amdhsa_kernel
	.section	.text._ZL30rocblas_trmm_outofplace_kernelIdLi32ELi2ELb0ELb1ELb0ELb0EdKddEv17rocblas_diagonal_iiT6_lPT7_lllS4_lllPT8_llli,"axG",@progbits,_ZL30rocblas_trmm_outofplace_kernelIdLi32ELi2ELb0ELb1ELb0ELb0EdKddEv17rocblas_diagonal_iiT6_lPT7_lllS4_lllPT8_llli,comdat
.Lfunc_end51:
	.size	_ZL30rocblas_trmm_outofplace_kernelIdLi32ELi2ELb0ELb1ELb0ELb0EdKddEv17rocblas_diagonal_iiT6_lPT7_lllS4_lllPT8_llli, .Lfunc_end51-_ZL30rocblas_trmm_outofplace_kernelIdLi32ELi2ELb0ELb1ELb0ELb0EdKddEv17rocblas_diagonal_iiT6_lPT7_lllS4_lllPT8_llli
                                        ; -- End function
	.set _ZL30rocblas_trmm_outofplace_kernelIdLi32ELi2ELb0ELb1ELb0ELb0EdKddEv17rocblas_diagonal_iiT6_lPT7_lllS4_lllPT8_llli.num_vgpr, 64
	.set _ZL30rocblas_trmm_outofplace_kernelIdLi32ELi2ELb0ELb1ELb0ELb0EdKddEv17rocblas_diagonal_iiT6_lPT7_lllS4_lllPT8_llli.num_agpr, 0
	.set _ZL30rocblas_trmm_outofplace_kernelIdLi32ELi2ELb0ELb1ELb0ELb0EdKddEv17rocblas_diagonal_iiT6_lPT7_lllS4_lllPT8_llli.numbered_sgpr, 60
	.set _ZL30rocblas_trmm_outofplace_kernelIdLi32ELi2ELb0ELb1ELb0ELb0EdKddEv17rocblas_diagonal_iiT6_lPT7_lllS4_lllPT8_llli.num_named_barrier, 0
	.set _ZL30rocblas_trmm_outofplace_kernelIdLi32ELi2ELb0ELb1ELb0ELb0EdKddEv17rocblas_diagonal_iiT6_lPT7_lllS4_lllPT8_llli.private_seg_size, 24
	.set _ZL30rocblas_trmm_outofplace_kernelIdLi32ELi2ELb0ELb1ELb0ELb0EdKddEv17rocblas_diagonal_iiT6_lPT7_lllS4_lllPT8_llli.uses_vcc, 1
	.set _ZL30rocblas_trmm_outofplace_kernelIdLi32ELi2ELb0ELb1ELb0ELb0EdKddEv17rocblas_diagonal_iiT6_lPT7_lllS4_lllPT8_llli.uses_flat_scratch, 0
	.set _ZL30rocblas_trmm_outofplace_kernelIdLi32ELi2ELb0ELb1ELb0ELb0EdKddEv17rocblas_diagonal_iiT6_lPT7_lllS4_lllPT8_llli.has_dyn_sized_stack, 0
	.set _ZL30rocblas_trmm_outofplace_kernelIdLi32ELi2ELb0ELb1ELb0ELb0EdKddEv17rocblas_diagonal_iiT6_lPT7_lllS4_lllPT8_llli.has_recursion, 0
	.set _ZL30rocblas_trmm_outofplace_kernelIdLi32ELi2ELb0ELb1ELb0ELb0EdKddEv17rocblas_diagonal_iiT6_lPT7_lllS4_lllPT8_llli.has_indirect_call, 0
	.section	.AMDGPU.csdata,"",@progbits
; Kernel info:
; codeLenInByte = 3796
; TotalNumSgprs: 64
; NumVgprs: 64
; ScratchSize: 24
; MemoryBound: 0
; FloatMode: 240
; IeeeMode: 1
; LDSByteSize: 16384 bytes/workgroup (compile time only)
; SGPRBlocks: 8
; VGPRBlocks: 15
; NumSGPRsForWavesPerEU: 65
; NumVGPRsForWavesPerEU: 64
; Occupancy: 4
; WaveLimiterHint : 0
; COMPUTE_PGM_RSRC2:SCRATCH_EN: 1
; COMPUTE_PGM_RSRC2:USER_SGPR: 6
; COMPUTE_PGM_RSRC2:TRAP_HANDLER: 0
; COMPUTE_PGM_RSRC2:TGID_X_EN: 1
; COMPUTE_PGM_RSRC2:TGID_Y_EN: 1
; COMPUTE_PGM_RSRC2:TGID_Z_EN: 1
; COMPUTE_PGM_RSRC2:TIDIG_COMP_CNT: 1
	.section	.text._ZL30rocblas_trmm_outofplace_kernelIdLi32ELi2ELb0ELb0ELb1ELb0EPKdS0_dEv17rocblas_diagonal_iiT6_lPT7_lllS5_lllPT8_llli,"axG",@progbits,_ZL30rocblas_trmm_outofplace_kernelIdLi32ELi2ELb0ELb0ELb1ELb0EPKdS0_dEv17rocblas_diagonal_iiT6_lPT7_lllS5_lllPT8_llli,comdat
	.globl	_ZL30rocblas_trmm_outofplace_kernelIdLi32ELi2ELb0ELb0ELb1ELb0EPKdS0_dEv17rocblas_diagonal_iiT6_lPT7_lllS5_lllPT8_llli ; -- Begin function _ZL30rocblas_trmm_outofplace_kernelIdLi32ELi2ELb0ELb0ELb1ELb0EPKdS0_dEv17rocblas_diagonal_iiT6_lPT7_lllS5_lllPT8_llli
	.p2align	8
	.type	_ZL30rocblas_trmm_outofplace_kernelIdLi32ELi2ELb0ELb0ELb1ELb0EPKdS0_dEv17rocblas_diagonal_iiT6_lPT7_lllS5_lllPT8_llli,@function
_ZL30rocblas_trmm_outofplace_kernelIdLi32ELi2ELb0ELb0ELb1ELb0EPKdS0_dEv17rocblas_diagonal_iiT6_lPT7_lllS5_lllPT8_llli: ; @_ZL30rocblas_trmm_outofplace_kernelIdLi32ELi2ELb0ELb0ELb1ELb0EPKdS0_dEv17rocblas_diagonal_iiT6_lPT7_lllS5_lllPT8_llli
; %bb.0:
	s_load_dwordx16 s[12:27], s[4:5], 0x10
	s_mov_b64 s[54:55], s[2:3]
	s_mov_b64 s[52:53], s[0:1]
	s_add_u32 s52, s52, s9
	s_addc_u32 s53, s53, 0
	s_waitcnt lgkmcnt(0)
	s_mul_i32 s0, s15, s8
	s_mul_hi_u32 s1, s14, s8
	s_add_i32 s1, s1, s0
	s_mul_i32 s0, s14, s8
	s_lshl_b64 s[0:1], s[0:1], 3
	s_add_u32 s0, s12, s0
	s_addc_u32 s1, s13, s1
	s_load_dwordx2 s[34:35], s[0:1], 0x0
	s_waitcnt lgkmcnt(0)
	v_cmp_eq_f64_e64 s[0:1], s[34:35], 0
	s_and_b64 vcc, exec, s[0:1]
	s_cbranch_vccnz .LBB52_51
; %bb.1:
	s_load_dwordx4 s[28:31], s[4:5], 0x0
	s_waitcnt lgkmcnt(0)
	s_add_i32 s0, s30, -1
	s_ashr_i32 s1, s0, 31
	s_lshr_b32 s1, s1, 27
	s_add_i32 s0, s0, s1
	s_ashr_i32 s33, s0, 5
	s_cmp_gt_i32 s7, s33
	s_cbranch_scc1 .LBB52_51
; %bb.2:
	s_mul_i32 s0, s23, s8
	s_mul_hi_u32 s1, s22, s8
	s_add_i32 s1, s1, s0
	s_mul_i32 s0, s22, s8
	s_load_dwordx8 s[36:43], s[4:5], 0x50
	s_load_dwordx4 s[44:47], s[4:5], 0x70
	s_lshl_b64 s[10:11], s[0:1], 3
	s_add_u32 s0, s16, s10
	s_addc_u32 s1, s17, s11
	s_lshl_b64 s[12:13], s[18:19], 3
	s_add_u32 s2, s0, s12
	s_addc_u32 s3, s1, s13
	s_waitcnt lgkmcnt(0)
	s_mul_i32 s0, s39, s8
	s_mul_hi_u32 s1, s38, s8
	s_add_i32 s1, s1, s0
	s_mul_i32 s0, s38, s8
	s_lshl_b64 s[0:1], s[0:1], 3
	s_add_u32 s9, s24, s0
	s_addc_u32 s14, s25, s1
	s_lshl_b64 s[0:1], s[26:27], 3
	s_add_u32 s9, s9, s0
	s_addc_u32 s14, s14, s1
	s_mul_i32 s0, s47, s8
	s_mul_hi_u32 s1, s46, s8
	s_add_i32 s1, s1, s0
	s_mul_i32 s0, s46, s8
	s_lshl_b64 s[0:1], s[0:1], 3
	s_load_dword s48, s[4:5], 0x8c
	s_add_u32 s4, s40, s0
	s_addc_u32 s5, s41, s1
	v_mad_u64_u32 v[2:3], s[0:1], s20, v0, 0
	s_lshl_b64 s[0:1], s[42:43], 3
	s_add_u32 s42, s4, s0
	s_addc_u32 s43, s5, s1
	v_mad_u64_u32 v[3:4], s[0:1], s21, v0, v[3:4]
	v_lshl_add_u32 v4, s6, 5, v0
	v_ashrrev_i32_e32 v5, 31, v4
	v_lshlrev_b64 v[2:3], 3, v[2:3]
	v_mov_b32_e32 v6, s3
	v_add_co_u32_e32 v2, vcc, s2, v2
	v_addc_co_u32_e32 v3, vcc, v6, v3, vcc
	v_lshlrev_b64 v[6:7], 3, v[4:5]
	buffer_store_dword v2, off, s[52:55], 0 offset:8 ; 4-byte Folded Spill
	s_nop 0
	buffer_store_dword v3, off, s[52:55], 0 offset:12 ; 4-byte Folded Spill
	v_add_co_u32_e32 v8, vcc, s9, v6
	buffer_store_dword v6, off, s[52:55], 0 ; 4-byte Folded Spill
	s_nop 0
	buffer_store_dword v7, off, s[52:55], 0 offset:4 ; 4-byte Folded Spill
	v_mov_b32_e32 v2, s14
	s_cmpk_eq_i32 s28, 0x84
	s_cselect_b64 s[24:25], -1, 0
	s_ashr_i32 s0, s29, 31
	v_mov_b32_e32 v3, s0
	s_ashr_i32 s31, s30, 31
	s_lshl_b64 s[26:27], s[20:21], 8
	s_lshl_b64 s[38:39], s[36:37], 8
	s_movk_i32 s8, 0x80
	s_add_u32 s40, s30, -16
	s_addc_u32 s41, s31, -1
	s_waitcnt lgkmcnt(0)
	s_lshl_b32 s6, s48, 5
	v_lshlrev_b32_e32 v51, 8, v1
	v_mov_b32_e32 v10, 0
	v_lshl_add_u32 v15, s7, 5, v1
	v_mov_b32_e32 v60, 0x3ff00000
	v_addc_co_u32_e32 v9, vcc, v2, v7, vcc
	v_sub_co_u32_e32 v2, vcc, s29, v4
	v_subb_co_u32_e32 v3, vcc, v3, v5, vcc
	v_cmp_gt_i64_e32 vcc, 1, v[2:3]
	v_cmp_gt_i64_e64 s[0:1], 17, v[2:3]
	v_mad_u64_u32 v[2:3], s[2:3], s36, v1, 0
	v_cmp_gt_i32_e64 s[2:3], s29, v4
	v_add_u32_e32 v4, 16, v4
	v_mad_u64_u32 v[6:7], s[4:5], s37, v1, v[3:4]
	buffer_store_dword v8, off, s[52:55], 0 offset:16 ; 4-byte Folded Spill
	s_nop 0
	buffer_store_dword v9, off, s[52:55], 0 offset:20 ; 4-byte Folded Spill
	v_lshlrev_b32_e32 v8, 3, v0
	v_mov_b32_e32 v3, v6
	v_lshlrev_b64 v[2:3], 3, v[2:3]
	v_add_u32_e32 v6, 0x80, v8
	v_add_co_u32_e64 v55, s[8:9], s8, v2
	v_addc_co_u32_e64 v56, s[8:9], 0, v3, s[8:9]
	s_add_u32 s8, s16, s12
	s_addc_u32 s9, s17, s13
	s_add_u32 s8, s8, s10
	s_addc_u32 s9, s9, s11
	v_mov_b32_e32 v2, s8
	v_mov_b32_e32 v3, s9
	v_add_u32_e32 v52, v51, v8
	v_or_b32_e32 v53, 0x2000, v8
	v_mad_u64_u32 v[8:9], s[8:9], s20, v6, v[2:3]
	v_mov_b32_e32 v2, 0x80
	v_lshl_add_u32 v7, v1, 3, v2
	v_mad_u64_u32 v[20:21], s[8:9], s36, v7, 0
	v_mov_b32_e32 v2, v9
	v_mad_u64_u32 v[2:3], s[8:9], s21, v6, v[2:3]
	v_mov_b32_e32 v3, v21
	v_mad_u64_u32 v[6:7], s[8:9], s37, v7, v[3:4]
	v_ashrrev_i32_e32 v5, 31, v4
	v_sub_co_u32_e64 v63, s[8:9], 0, v0
	v_lshlrev_b64 v[57:58], 3, v[4:5]
	v_add_u32_e32 v54, v53, v51
	v_cmp_gt_i32_e64 s[4:5], s29, v4
	v_subb_co_u32_e64 v3, s[8:9], 0, 0, s[8:9]
	v_mov_b32_e32 v9, v2
	v_mov_b32_e32 v59, v6
	buffer_store_dword v3, off, s[52:55], 0 offset:32 ; 4-byte Folded Spill
	buffer_store_dword v8, off, s[52:55], 0 offset:24 ; 4-byte Folded Spill
	s_nop 0
	buffer_store_dword v9, off, s[52:55], 0 offset:28 ; 4-byte Folded Spill
	s_branch .LBB52_4
.LBB52_3:                               ;   in Loop: Header=BB52_4 Depth=1
	s_or_b64 exec, exec, s[10:11]
	s_add_i32 s7, s48, s7
	s_cmp_le_i32 s7, s33
	v_add_u32_e32 v15, s6, v15
	s_cbranch_scc0 .LBB52_51
.LBB52_4:                               ; =>This Loop Header: Depth=1
                                        ;     Child Loop BB52_7 Depth 2
	s_lshl_b32 s46, s7, 5
	v_add_u32_e32 v25, s46, v1
	v_mov_b32_e32 v49, 0
	v_mov_b32_e32 v47, 0
	;; [unrolled: 1-line block ×5, first 2 shown]
	s_cmp_lt_i32 s7, 0
	v_mov_b32_e32 v48, 0
	v_mov_b32_e32 v46, 0
	;; [unrolled: 1-line block ×3, first 2 shown]
	v_ashrrev_i32_e32 v26, 31, v25
	s_cbranch_scc1 .LBB52_43
; %bb.5:                                ;   in Loop: Header=BB52_4 Depth=1
	buffer_load_dword v2, off, s[52:55], 0 offset:32 ; 4-byte Folded Reload
	buffer_load_dword v37, off, s[52:55], 0 offset:8 ; 4-byte Folded Reload
	;; [unrolled: 1-line block ×7, first 2 shown]
	v_ashrrev_i32_e32 v16, 31, v15
	v_add_co_u32_e64 v27, s[8:9], v63, v15
	v_add_co_u32_e64 v33, s[10:11], 16, v27
	v_lshlrev_b64 v[29:30], 3, v[15:16]
	v_mov_b32_e32 v43, 0
	v_mov_b32_e32 v45, 0
	;; [unrolled: 1-line block ×4, first 2 shown]
	v_cmp_le_i32_e64 s[20:21], s30, v25
	v_mov_b32_e32 v44, 0
	s_mov_b64 s[28:29], 0
	v_mov_b32_e32 v46, 0
	v_mov_b32_e32 v48, 0
	;; [unrolled: 1-line block ×3, first 2 shown]
	s_waitcnt vmcnt(6)
	v_addc_co_u32_e64 v28, s[8:9], v2, v16, s[8:9]
	v_add_co_u32_e64 v31, s[8:9], 16, v25
	v_addc_co_u32_e64 v32, s[8:9], 0, v26, s[8:9]
	v_addc_co_u32_e64 v34, s[10:11], 0, v28, s[10:11]
	v_cmp_le_i64_e64 s[8:9], s[30:31], v[31:32]
	v_add_co_u32_e64 v35, s[10:11], -16, v27
	v_addc_co_u32_e64 v36, s[10:11], -1, v28, s[10:11]
	s_branch .LBB52_7
.LBB52_6:                               ;   in Loop: Header=BB52_7 Depth=2
	s_or_b64 exec, exec, s[10:11]
	s_waitcnt lgkmcnt(0)
	s_barrier
	ds_read_b128 v[16:19], v51
	ds_read_b128 v[11:14], v51 offset:16
	ds_read_b128 v[6:9], v51 offset:32
	;; [unrolled: 1-line block ×3, first 2 shown]
	ds_read2_b64 v[21:24], v53 offset1:16
	v_add_co_u32_e64 v41, s[10:11], s38, v41
	s_add_u32 s28, s28, 32
	s_addc_u32 s29, s29, 0
	s_waitcnt lgkmcnt(0)
	v_fma_f64 v[61:62], v[21:22], v[16:17], v[49:50]
	v_fma_f64 v[16:17], v[23:24], v[16:17], v[47:48]
	ds_read_b128 v[47:50], v51 offset:4096
	s_sub_i32 s12, s28, 32
	s_cmp_ge_i32 s12, s46
	s_waitcnt lgkmcnt(0)
	v_fma_f64 v[45:46], v[21:22], v[47:48], v[45:46]
	v_fma_f64 v[43:44], v[23:24], v[47:48], v[43:44]
	ds_read2_b64 v[21:24], v53 offset0:32 offset1:48
	s_waitcnt lgkmcnt(0)
	v_fma_f64 v[47:48], v[21:22], v[18:19], v[61:62]
	v_fma_f64 v[61:62], v[23:24], v[18:19], v[16:17]
	v_fma_f64 v[45:46], v[21:22], v[49:50], v[45:46]
	v_fma_f64 v[43:44], v[23:24], v[49:50], v[43:44]
	ds_read2_b64 v[16:19], v53 offset0:64 offset1:80
	ds_read_b128 v[21:24], v51 offset:4112
	s_waitcnt lgkmcnt(1)
	v_fma_f64 v[47:48], v[16:17], v[11:12], v[47:48]
	v_fma_f64 v[11:12], v[18:19], v[11:12], v[61:62]
	s_waitcnt lgkmcnt(0)
	v_fma_f64 v[45:46], v[16:17], v[21:22], v[45:46]
	v_fma_f64 v[21:22], v[18:19], v[21:22], v[43:44]
	ds_read2_b64 v[16:19], v53 offset0:96 offset1:112
	s_waitcnt lgkmcnt(0)
	v_fma_f64 v[43:44], v[16:17], v[13:14], v[47:48]
	v_fma_f64 v[47:48], v[18:19], v[13:14], v[11:12]
	v_fma_f64 v[45:46], v[16:17], v[23:24], v[45:46]
	v_fma_f64 v[21:22], v[18:19], v[23:24], v[21:22]
	ds_read2_b64 v[11:14], v53 offset0:128 offset1:144
	ds_read_b128 v[16:19], v51 offset:4128
	s_waitcnt lgkmcnt(1)
	v_fma_f64 v[23:24], v[11:12], v[6:7], v[43:44]
	v_fma_f64 v[6:7], v[13:14], v[6:7], v[47:48]
	;; [unrolled: 14-line block ×3, first 2 shown]
	s_waitcnt lgkmcnt(0)
	v_fma_f64 v[21:22], v[6:7], v[11:12], v[43:44]
	v_fma_f64 v[11:12], v[8:9], v[11:12], v[16:17]
	ds_read2_b64 v[6:9], v53 offset0:224 offset1:240
	s_waitcnt lgkmcnt(0)
	v_fma_f64 v[16:17], v[6:7], v[4:5], v[18:19]
	v_fma_f64 v[18:19], v[8:9], v[4:5], v[2:3]
	v_add_u32_e32 v2, 0x800, v53
	v_fma_f64 v[21:22], v[6:7], v[13:14], v[21:22]
	v_fma_f64 v[7:8], v[8:9], v[13:14], v[11:12]
	ds_read_b128 v[3:6], v51 offset:64
	ds_read2_b64 v[11:14], v2 offset1:16
	s_waitcnt lgkmcnt(0)
	v_fma_f64 v[23:24], v[11:12], v[3:4], v[16:17]
	v_fma_f64 v[3:4], v[13:14], v[3:4], v[18:19]
	ds_read_b128 v[16:19], v51 offset:4160
	s_waitcnt lgkmcnt(0)
	v_fma_f64 v[21:22], v[11:12], v[16:17], v[21:22]
	v_fma_f64 v[7:8], v[13:14], v[16:17], v[7:8]
	ds_read2_b64 v[11:14], v2 offset0:32 offset1:48
	s_waitcnt lgkmcnt(0)
	v_fma_f64 v[16:17], v[11:12], v[5:6], v[23:24]
	v_fma_f64 v[23:24], v[13:14], v[5:6], v[3:4]
	v_fma_f64 v[21:22], v[11:12], v[18:19], v[21:22]
	v_fma_f64 v[7:8], v[13:14], v[18:19], v[7:8]
	ds_read_b128 v[3:6], v51 offset:80
	ds_read2_b64 v[11:14], v2 offset0:64 offset1:80
	s_waitcnt lgkmcnt(0)
	v_fma_f64 v[43:44], v[11:12], v[3:4], v[16:17]
	ds_read_b128 v[16:19], v51 offset:4176
	v_fma_f64 v[3:4], v[13:14], v[3:4], v[23:24]
	s_waitcnt lgkmcnt(0)
	v_fma_f64 v[21:22], v[11:12], v[16:17], v[21:22]
	v_fma_f64 v[7:8], v[13:14], v[16:17], v[7:8]
	ds_read2_b64 v[11:14], v2 offset0:96 offset1:112
	s_waitcnt lgkmcnt(0)
	v_fma_f64 v[16:17], v[11:12], v[5:6], v[43:44]
	v_fma_f64 v[23:24], v[13:14], v[5:6], v[3:4]
	v_fma_f64 v[21:22], v[11:12], v[18:19], v[21:22]
	v_fma_f64 v[7:8], v[13:14], v[18:19], v[7:8]
	ds_read_b128 v[3:6], v51 offset:96
	ds_read2_b64 v[11:14], v2 offset0:128 offset1:144
	s_waitcnt lgkmcnt(0)
	v_fma_f64 v[43:44], v[11:12], v[3:4], v[16:17]
	ds_read_b128 v[16:19], v51 offset:4192
	v_fma_f64 v[3:4], v[13:14], v[3:4], v[23:24]
	s_waitcnt lgkmcnt(0)
	v_fma_f64 v[21:22], v[11:12], v[16:17], v[21:22]
	v_fma_f64 v[7:8], v[13:14], v[16:17], v[7:8]
	ds_read2_b64 v[11:14], v2 offset0:160 offset1:176
	s_waitcnt lgkmcnt(0)
	v_fma_f64 v[16:17], v[11:12], v[5:6], v[43:44]
	v_fma_f64 v[23:24], v[13:14], v[5:6], v[3:4]
	v_fma_f64 v[21:22], v[11:12], v[18:19], v[21:22]
	v_fma_f64 v[7:8], v[13:14], v[18:19], v[7:8]
	ds_read_b128 v[3:6], v51 offset:112
	ds_read2_b64 v[11:14], v2 offset0:192 offset1:208
	s_waitcnt lgkmcnt(0)
	v_fma_f64 v[43:44], v[11:12], v[3:4], v[16:17]
	ds_read_b128 v[16:19], v51 offset:4208
	v_fma_f64 v[3:4], v[13:14], v[3:4], v[23:24]
	s_waitcnt lgkmcnt(0)
	v_fma_f64 v[21:22], v[11:12], v[16:17], v[21:22]
	v_fma_f64 v[7:8], v[13:14], v[16:17], v[7:8]
	ds_read2_b64 v[11:14], v2 offset0:224 offset1:240
	v_add_u32_e32 v2, 0x1000, v53
	s_waitcnt lgkmcnt(0)
	v_fma_f64 v[16:17], v[11:12], v[5:6], v[43:44]
	v_fma_f64 v[23:24], v[13:14], v[5:6], v[3:4]
	;; [unrolled: 1-line block ×4, first 2 shown]
	ds_read_b128 v[3:6], v51 offset:128
	ds_read2_b64 v[11:14], v2 offset1:16
	s_waitcnt lgkmcnt(0)
	v_fma_f64 v[43:44], v[11:12], v[3:4], v[16:17]
	ds_read_b128 v[16:19], v51 offset:4224
	v_fma_f64 v[3:4], v[13:14], v[3:4], v[23:24]
	s_waitcnt lgkmcnt(0)
	v_fma_f64 v[21:22], v[11:12], v[16:17], v[21:22]
	v_fma_f64 v[7:8], v[13:14], v[16:17], v[7:8]
	ds_read2_b64 v[11:14], v2 offset0:32 offset1:48
	s_waitcnt lgkmcnt(0)
	v_fma_f64 v[16:17], v[11:12], v[5:6], v[43:44]
	v_fma_f64 v[23:24], v[13:14], v[5:6], v[3:4]
	v_fma_f64 v[21:22], v[11:12], v[18:19], v[21:22]
	v_fma_f64 v[7:8], v[13:14], v[18:19], v[7:8]
	ds_read_b128 v[3:6], v51 offset:144
	ds_read2_b64 v[11:14], v2 offset0:64 offset1:80
	s_waitcnt lgkmcnt(0)
	v_fma_f64 v[43:44], v[11:12], v[3:4], v[16:17]
	ds_read_b128 v[16:19], v51 offset:4240
	v_fma_f64 v[3:4], v[13:14], v[3:4], v[23:24]
	s_waitcnt lgkmcnt(0)
	v_fma_f64 v[21:22], v[11:12], v[16:17], v[21:22]
	v_fma_f64 v[7:8], v[13:14], v[16:17], v[7:8]
	ds_read2_b64 v[11:14], v2 offset0:96 offset1:112
	s_waitcnt lgkmcnt(0)
	v_fma_f64 v[16:17], v[11:12], v[5:6], v[43:44]
	v_fma_f64 v[23:24], v[13:14], v[5:6], v[3:4]
	v_fma_f64 v[21:22], v[11:12], v[18:19], v[21:22]
	v_fma_f64 v[7:8], v[13:14], v[18:19], v[7:8]
	ds_read_b128 v[3:6], v51 offset:160
	ds_read2_b64 v[11:14], v2 offset0:128 offset1:144
	;; [unrolled: 15-line block ×3, first 2 shown]
	s_waitcnt lgkmcnt(0)
	v_fma_f64 v[43:44], v[11:12], v[3:4], v[16:17]
	ds_read_b128 v[16:19], v51 offset:4272
	v_fma_f64 v[3:4], v[13:14], v[3:4], v[23:24]
	s_waitcnt lgkmcnt(0)
	v_fma_f64 v[21:22], v[11:12], v[16:17], v[21:22]
	v_fma_f64 v[7:8], v[13:14], v[16:17], v[7:8]
	ds_read2_b64 v[11:14], v2 offset0:224 offset1:240
	v_add_u32_e32 v2, 0x1800, v53
	s_waitcnt lgkmcnt(0)
	v_fma_f64 v[16:17], v[11:12], v[5:6], v[43:44]
	v_fma_f64 v[23:24], v[13:14], v[5:6], v[3:4]
	;; [unrolled: 1-line block ×4, first 2 shown]
	ds_read_b128 v[3:6], v51 offset:192
	ds_read2_b64 v[11:14], v2 offset1:16
	s_waitcnt lgkmcnt(0)
	v_fma_f64 v[43:44], v[11:12], v[3:4], v[16:17]
	ds_read_b128 v[16:19], v51 offset:4288
	v_fma_f64 v[3:4], v[13:14], v[3:4], v[23:24]
	s_waitcnt lgkmcnt(0)
	v_fma_f64 v[21:22], v[11:12], v[16:17], v[21:22]
	v_fma_f64 v[7:8], v[13:14], v[16:17], v[7:8]
	ds_read2_b64 v[11:14], v2 offset0:32 offset1:48
	s_waitcnt lgkmcnt(0)
	v_fma_f64 v[16:17], v[11:12], v[5:6], v[43:44]
	v_fma_f64 v[23:24], v[13:14], v[5:6], v[3:4]
	v_fma_f64 v[21:22], v[11:12], v[18:19], v[21:22]
	v_fma_f64 v[7:8], v[13:14], v[18:19], v[7:8]
	ds_read_b128 v[3:6], v51 offset:208
	ds_read2_b64 v[11:14], v2 offset0:64 offset1:80
	s_waitcnt lgkmcnt(0)
	v_fma_f64 v[43:44], v[11:12], v[3:4], v[16:17]
	ds_read_b128 v[16:19], v51 offset:4304
	v_fma_f64 v[3:4], v[13:14], v[3:4], v[23:24]
	s_waitcnt lgkmcnt(0)
	v_fma_f64 v[21:22], v[11:12], v[16:17], v[21:22]
	v_fma_f64 v[7:8], v[13:14], v[16:17], v[7:8]
	ds_read2_b64 v[11:14], v2 offset0:96 offset1:112
	s_waitcnt lgkmcnt(0)
	v_fma_f64 v[16:17], v[11:12], v[5:6], v[43:44]
	v_fma_f64 v[23:24], v[13:14], v[5:6], v[3:4]
	v_fma_f64 v[21:22], v[11:12], v[18:19], v[21:22]
	v_fma_f64 v[7:8], v[13:14], v[18:19], v[7:8]
	ds_read_b128 v[3:6], v51 offset:224
	ds_read2_b64 v[11:14], v2 offset0:128 offset1:144
	s_waitcnt lgkmcnt(0)
	v_fma_f64 v[43:44], v[11:12], v[3:4], v[16:17]
	ds_read_b128 v[16:19], v51 offset:4320
	v_fma_f64 v[3:4], v[13:14], v[3:4], v[23:24]
	s_waitcnt lgkmcnt(0)
	v_fma_f64 v[21:22], v[11:12], v[16:17], v[21:22]
	v_fma_f64 v[7:8], v[13:14], v[16:17], v[7:8]
	ds_read2_b64 v[11:14], v2 offset0:160 offset1:176
	s_waitcnt lgkmcnt(0)
	v_fma_f64 v[16:17], v[11:12], v[5:6], v[43:44]
	v_fma_f64 v[23:24], v[13:14], v[5:6], v[3:4]
	v_fma_f64 v[21:22], v[11:12], v[18:19], v[21:22]
	v_fma_f64 v[7:8], v[13:14], v[18:19], v[7:8]
	ds_read_b128 v[3:6], v51 offset:240
	ds_read2_b64 v[11:14], v2 offset0:192 offset1:208
	s_waitcnt lgkmcnt(0)
	v_fma_f64 v[43:44], v[11:12], v[3:4], v[16:17]
	ds_read_b128 v[16:19], v51 offset:4336
	v_fma_f64 v[3:4], v[13:14], v[3:4], v[23:24]
	s_waitcnt lgkmcnt(0)
	v_fma_f64 v[21:22], v[11:12], v[16:17], v[21:22]
	v_fma_f64 v[7:8], v[13:14], v[16:17], v[7:8]
	ds_read2_b64 v[11:14], v2 offset0:224 offset1:240
	v_mov_b32_e32 v2, s39
	v_addc_co_u32_e64 v42, s[10:11], v42, v2, s[10:11]
	v_add_co_u32_e64 v39, s[10:11], s26, v39
	s_waitcnt lgkmcnt(0)
	v_fma_f64 v[49:50], v[11:12], v[5:6], v[43:44]
	v_fma_f64 v[47:48], v[13:14], v[5:6], v[3:4]
	;; [unrolled: 1-line block ×4, first 2 shown]
	v_mov_b32_e32 v2, s27
	v_addc_co_u32_e64 v40, s[10:11], v40, v2, s[10:11]
	v_add_co_u32_e64 v37, s[10:11], s26, v37
	v_addc_co_u32_e64 v38, s[10:11], v38, v2, s[10:11]
	s_barrier
	s_cbranch_scc1 .LBB52_43
.LBB52_7:                               ;   Parent Loop BB52_4 Depth=1
                                        ; =>  This Inner Loop Header: Depth=2
	v_mov_b32_e32 v2, s29
	v_add_co_u32_e64 v4, s[10:11], s28, v0
	v_addc_co_u32_e64 v5, s[10:11], 0, v2, s[10:11]
	s_waitcnt vmcnt(5)
	v_add_co_u32_e64 v2, s[12:13], v37, v29
	s_waitcnt vmcnt(4)
	v_addc_co_u32_e64 v3, s[12:13], v38, v30, s[12:13]
	v_cmp_eq_u64_e64 s[10:11], s[28:29], v[27:28]
	v_cmp_gt_i64_e64 s[12:13], v[4:5], v[25:26]
	s_and_b64 s[10:11], s[24:25], s[10:11]
	v_cmp_le_i64_e64 s[14:15], s[30:31], v[4:5]
	s_or_b64 s[16:17], s[20:21], s[12:13]
	s_or_b64 s[16:17], s[16:17], s[10:11]
	s_nor_b64 s[16:17], s[14:15], s[16:17]
                                        ; implicit-def: $vgpr6_vgpr7
	s_and_saveexec_b64 s[18:19], s[16:17]
	s_xor_b64 s[16:17], exec, s[18:19]
	s_cbranch_execz .LBB52_9
; %bb.8:                                ;   in Loop: Header=BB52_7 Depth=2
	global_load_dwordx2 v[6:7], v[2:3], off
.LBB52_9:                               ;   in Loop: Header=BB52_7 Depth=2
	s_andn2_saveexec_b64 s[16:17], s[16:17]
	s_cbranch_execz .LBB52_11
; %bb.10:                               ;   in Loop: Header=BB52_7 Depth=2
	v_cndmask_b32_e64 v11, 0, v60, s[10:11]
	s_waitcnt vmcnt(0)
	v_mov_b32_e32 v6, v10
	v_mov_b32_e32 v7, v11
.LBB52_11:                              ;   in Loop: Header=BB52_7 Depth=2
	s_or_b64 exec, exec, s[16:17]
	s_waitcnt vmcnt(0)
	ds_write_b64 v52, v[6:7]
	v_add_co_u32_e64 v6, s[18:19], 16, v4
	v_addc_co_u32_e64 v7, s[18:19], 0, v5, s[18:19]
	v_cmp_eq_u64_e64 s[16:17], s[28:29], v[35:36]
	v_cmp_gt_i64_e64 s[18:19], v[6:7], v[25:26]
	s_and_b64 s[22:23], s[24:25], s[16:17]
	v_cmp_le_i64_e64 s[16:17], s[30:31], v[6:7]
	s_or_b64 s[18:19], s[20:21], s[18:19]
	s_or_b64 s[18:19], s[18:19], s[22:23]
	s_nor_b64 s[18:19], s[16:17], s[18:19]
	s_and_saveexec_b64 s[36:37], s[18:19]
	s_xor_b64 s[36:37], exec, s[36:37]
	s_cbranch_execz .LBB52_13
; %bb.12:                               ;   in Loop: Header=BB52_7 Depth=2
	v_add_co_u32_e64 v6, s[18:19], v39, v29
	v_addc_co_u32_e64 v7, s[18:19], v40, v30, s[18:19]
	global_load_dwordx2 v[6:7], v[6:7], off
	s_waitcnt vmcnt(0)
	ds_write_b64 v52, v[6:7] offset:128
.LBB52_13:                              ;   in Loop: Header=BB52_7 Depth=2
	s_andn2_saveexec_b64 s[18:19], s[36:37]
	s_cbranch_execz .LBB52_19
; %bb.14:                               ;   in Loop: Header=BB52_7 Depth=2
	s_xor_b64 s[22:23], s[22:23], -1
	s_and_saveexec_b64 s[36:37], s[22:23]
	s_xor_b64 s[22:23], exec, s[36:37]
; %bb.15:                               ;   in Loop: Header=BB52_7 Depth=2
	v_mov_b32_e32 v11, v10
	ds_write_b64 v52, v[10:11] offset:128
; %bb.16:                               ;   in Loop: Header=BB52_7 Depth=2
	s_andn2_saveexec_b64 s[22:23], s[22:23]
; %bb.17:                               ;   in Loop: Header=BB52_7 Depth=2
	v_mov_b32_e32 v11, v60
	ds_write_b64 v52, v[10:11] offset:128
; %bb.18:                               ;   in Loop: Header=BB52_7 Depth=2
	s_or_b64 exec, exec, s[22:23]
.LBB52_19:                              ;   in Loop: Header=BB52_7 Depth=2
	s_or_b64 exec, exec, s[18:19]
	v_cmp_eq_u64_e64 s[18:19], s[28:29], v[33:34]
	v_cmp_gt_i64_e64 s[22:23], v[4:5], v[31:32]
	s_and_b64 s[18:19], s[24:25], s[18:19]
	s_or_b64 s[22:23], s[8:9], s[22:23]
	s_or_b64 s[22:23], s[22:23], s[18:19]
	s_nor_b64 s[14:15], s[14:15], s[22:23]
                                        ; implicit-def: $vgpr4_vgpr5
	s_and_saveexec_b64 s[22:23], s[14:15]
	s_xor_b64 s[14:15], exec, s[22:23]
	s_cbranch_execz .LBB52_21
; %bb.20:                               ;   in Loop: Header=BB52_7 Depth=2
	global_load_dwordx2 v[4:5], v[2:3], off offset:128
.LBB52_21:                              ;   in Loop: Header=BB52_7 Depth=2
	s_andn2_saveexec_b64 s[14:15], s[14:15]
	s_cbranch_execz .LBB52_23
; %bb.22:                               ;   in Loop: Header=BB52_7 Depth=2
	v_cndmask_b32_e64 v11, 0, v60, s[18:19]
	s_waitcnt vmcnt(0)
	v_mov_b32_e32 v4, v10
	v_mov_b32_e32 v5, v11
.LBB52_23:                              ;   in Loop: Header=BB52_7 Depth=2
	s_or_b64 exec, exec, s[14:15]
	s_or_b64 s[12:13], s[8:9], s[12:13]
	s_or_b64 s[12:13], s[12:13], s[10:11]
	s_nor_b64 s[12:13], s[16:17], s[12:13]
	s_waitcnt vmcnt(0)
	ds_write_b64 v52, v[4:5] offset:4096
	s_and_saveexec_b64 s[14:15], s[12:13]
	s_xor_b64 s[14:15], exec, s[14:15]
	s_cbranch_execz .LBB52_25
; %bb.24:                               ;   in Loop: Header=BB52_7 Depth=2
	v_add_co_u32_e64 v2, s[12:13], v39, v29
	v_addc_co_u32_e64 v3, s[12:13], v40, v30, s[12:13]
	global_load_dwordx2 v[2:3], v[2:3], off offset:128
	s_waitcnt vmcnt(0)
	ds_write_b64 v52, v[2:3] offset:4224
.LBB52_25:                              ;   in Loop: Header=BB52_7 Depth=2
	s_andn2_saveexec_b64 s[12:13], s[14:15]
	s_cbranch_execz .LBB52_31
; %bb.26:                               ;   in Loop: Header=BB52_7 Depth=2
	s_xor_b64 s[10:11], s[10:11], -1
	s_and_saveexec_b64 s[14:15], s[10:11]
	s_xor_b64 s[10:11], exec, s[14:15]
; %bb.27:                               ;   in Loop: Header=BB52_7 Depth=2
	v_mov_b32_e32 v11, v10
	ds_write_b64 v52, v[10:11] offset:4224
; %bb.28:                               ;   in Loop: Header=BB52_7 Depth=2
	s_andn2_saveexec_b64 s[10:11], s[10:11]
; %bb.29:                               ;   in Loop: Header=BB52_7 Depth=2
	v_mov_b32_e32 v11, v60
	ds_write_b64 v52, v[10:11] offset:4224
; %bb.30:                               ;   in Loop: Header=BB52_7 Depth=2
	s_or_b64 exec, exec, s[10:11]
.LBB52_31:                              ;   in Loop: Header=BB52_7 Depth=2
	s_or_b64 exec, exec, s[12:13]
	v_mov_b32_e32 v3, s29
	v_add_co_u32_e64 v2, s[10:11], s28, v1
	v_addc_co_u32_e64 v3, s[10:11], 0, v3, s[10:11]
	v_add_co_u32_e64 v4, s[10:11], v41, v55
	v_addc_co_u32_e64 v5, s[10:11], v42, v56, s[10:11]
	v_cmp_le_i64_e64 s[10:11], s[30:31], v[2:3]
	v_mov_b32_e32 v6, 0
	v_mov_b32_e32 v7, 0
	s_nor_b64 s[14:15], s[10:11], vcc
	s_and_saveexec_b64 s[12:13], s[14:15]
	s_cbranch_execz .LBB52_33
; %bb.32:                               ;   in Loop: Header=BB52_7 Depth=2
	global_load_dwordx2 v[6:7], v[4:5], off offset:-128
.LBB52_33:                              ;   in Loop: Header=BB52_7 Depth=2
	s_or_b64 exec, exec, s[12:13]
	s_nor_b64 s[10:11], s[10:11], s[0:1]
	s_waitcnt vmcnt(0)
	ds_write_b64 v54, v[6:7]
	s_and_saveexec_b64 s[12:13], s[10:11]
	s_xor_b64 s[10:11], exec, s[12:13]
	s_cbranch_execz .LBB52_35
; %bb.34:                               ;   in Loop: Header=BB52_7 Depth=2
	global_load_dwordx2 v[4:5], v[4:5], off
	s_waitcnt vmcnt(0)
	ds_write_b64 v54, v[4:5] offset:128
.LBB52_35:                              ;   in Loop: Header=BB52_7 Depth=2
	s_andn2_saveexec_b64 s[10:11], s[10:11]
; %bb.36:                               ;   in Loop: Header=BB52_7 Depth=2
	v_mov_b32_e32 v11, v10
	ds_write_b64 v54, v[10:11] offset:128
; %bb.37:                               ;   in Loop: Header=BB52_7 Depth=2
	s_or_b64 exec, exec, s[10:11]
	v_cmp_le_i64_e64 s[10:11], s[40:41], v[2:3]
	v_add_co_u32_e64 v2, s[12:13], v41, v20
	v_mov_b32_e32 v4, 0
	v_addc_co_u32_e64 v3, s[12:13], v42, v59, s[12:13]
	v_mov_b32_e32 v5, 0
	s_nor_b64 s[14:15], s[10:11], vcc
	s_and_saveexec_b64 s[12:13], s[14:15]
	s_cbranch_execz .LBB52_39
; %bb.38:                               ;   in Loop: Header=BB52_7 Depth=2
	global_load_dwordx2 v[4:5], v[2:3], off
.LBB52_39:                              ;   in Loop: Header=BB52_7 Depth=2
	s_or_b64 exec, exec, s[12:13]
	s_nor_b64 s[10:11], s[10:11], s[0:1]
	s_waitcnt vmcnt(0)
	ds_write_b64 v54, v[4:5] offset:4096
	s_and_saveexec_b64 s[12:13], s[10:11]
	s_xor_b64 s[10:11], exec, s[12:13]
	s_cbranch_execz .LBB52_41
; %bb.40:                               ;   in Loop: Header=BB52_7 Depth=2
	global_load_dwordx2 v[2:3], v[2:3], off offset:128
	s_waitcnt vmcnt(0)
	ds_write_b64 v54, v[2:3] offset:4224
.LBB52_41:                              ;   in Loop: Header=BB52_7 Depth=2
	s_andn2_saveexec_b64 s[10:11], s[10:11]
	s_cbranch_execz .LBB52_6
; %bb.42:                               ;   in Loop: Header=BB52_7 Depth=2
	v_mov_b32_e32 v11, v10
	ds_write_b64 v54, v[10:11] offset:4224
	s_branch .LBB52_6
.LBB52_43:                              ;   in Loop: Header=BB52_4 Depth=1
	v_mul_lo_u32 v4, s45, v25
	v_mul_lo_u32 v5, s44, v26
	v_mad_u64_u32 v[2:3], s[8:9], s44, v25, 0
	v_cmp_gt_i32_e64 s[8:9], s30, v25
	v_add3_u32 v3, v3, v5, v4
	v_lshlrev_b64 v[2:3], 3, v[2:3]
	v_mov_b32_e32 v4, s43
	v_add_co_u32_e64 v2, s[10:11], s42, v2
	v_addc_co_u32_e64 v3, s[10:11], v4, v3, s[10:11]
	s_and_b64 s[10:11], s[2:3], s[8:9]
	s_and_saveexec_b64 s[12:13], s[10:11]
	s_cbranch_execz .LBB52_45
; %bb.44:                               ;   in Loop: Header=BB52_4 Depth=1
	buffer_load_dword v4, off, s[52:55], 0  ; 4-byte Folded Reload
	buffer_load_dword v5, off, s[52:55], 0 offset:4 ; 4-byte Folded Reload
	s_waitcnt vmcnt(1)
	v_add_co_u32_e64 v4, s[10:11], v2, v4
	s_waitcnt vmcnt(0)
	v_addc_co_u32_e64 v5, s[10:11], v3, v5, s[10:11]
	global_load_dwordx2 v[6:7], v[4:5], off
	s_waitcnt vmcnt(0)
	v_fma_f64 v[6:7], s[34:35], v[49:50], v[6:7]
	global_store_dwordx2 v[4:5], v[6:7], off
.LBB52_45:                              ;   in Loop: Header=BB52_4 Depth=1
	s_or_b64 exec, exec, s[12:13]
	s_and_b64 s[8:9], s[4:5], s[8:9]
	s_and_saveexec_b64 s[10:11], s[8:9]
	s_cbranch_execz .LBB52_47
; %bb.46:                               ;   in Loop: Header=BB52_4 Depth=1
	v_add_co_u32_e64 v2, s[8:9], v2, v57
	v_addc_co_u32_e64 v3, s[8:9], v3, v58, s[8:9]
	global_load_dwordx2 v[4:5], v[2:3], off
	s_waitcnt vmcnt(0)
	v_fma_f64 v[4:5], s[34:35], v[47:48], v[4:5]
	global_store_dwordx2 v[2:3], v[4:5], off
.LBB52_47:                              ;   in Loop: Header=BB52_4 Depth=1
	s_or_b64 exec, exec, s[10:11]
	v_add_u32_e32 v4, 16, v25
	v_ashrrev_i32_e32 v2, 31, v4
	v_mul_lo_u32 v5, s44, v2
	v_mul_lo_u32 v6, s45, v4
	v_mad_u64_u32 v[2:3], s[8:9], s44, v4, 0
	v_cmp_gt_i32_e64 s[8:9], s30, v4
	v_mov_b32_e32 v4, s43
	v_add3_u32 v3, v3, v5, v6
	v_lshlrev_b64 v[2:3], 3, v[2:3]
	v_add_co_u32_e64 v2, s[10:11], s42, v2
	v_addc_co_u32_e64 v3, s[10:11], v4, v3, s[10:11]
	s_and_b64 s[10:11], s[2:3], s[8:9]
	s_and_saveexec_b64 s[12:13], s[10:11]
	s_cbranch_execz .LBB52_49
; %bb.48:                               ;   in Loop: Header=BB52_4 Depth=1
	buffer_load_dword v4, off, s[52:55], 0  ; 4-byte Folded Reload
	buffer_load_dword v5, off, s[52:55], 0 offset:4 ; 4-byte Folded Reload
	s_waitcnt vmcnt(1)
	v_add_co_u32_e64 v4, s[10:11], v2, v4
	s_waitcnt vmcnt(0)
	v_addc_co_u32_e64 v5, s[10:11], v3, v5, s[10:11]
	global_load_dwordx2 v[6:7], v[4:5], off
	s_waitcnt vmcnt(0)
	v_fma_f64 v[6:7], s[34:35], v[45:46], v[6:7]
	global_store_dwordx2 v[4:5], v[6:7], off
.LBB52_49:                              ;   in Loop: Header=BB52_4 Depth=1
	s_or_b64 exec, exec, s[12:13]
	s_and_b64 s[8:9], s[4:5], s[8:9]
	s_and_saveexec_b64 s[10:11], s[8:9]
	s_cbranch_execz .LBB52_3
; %bb.50:                               ;   in Loop: Header=BB52_4 Depth=1
	v_add_co_u32_e64 v2, s[8:9], v2, v57
	v_addc_co_u32_e64 v3, s[8:9], v3, v58, s[8:9]
	global_load_dwordx2 v[4:5], v[2:3], off
	s_waitcnt vmcnt(0)
	v_fma_f64 v[4:5], s[34:35], v[43:44], v[4:5]
	global_store_dwordx2 v[2:3], v[4:5], off
	s_branch .LBB52_3
.LBB52_51:
	s_endpgm
	.section	.rodata,"a",@progbits
	.p2align	6, 0x0
	.amdhsa_kernel _ZL30rocblas_trmm_outofplace_kernelIdLi32ELi2ELb0ELb0ELb1ELb0EPKdS0_dEv17rocblas_diagonal_iiT6_lPT7_lllS5_lllPT8_llli
		.amdhsa_group_segment_fixed_size 16384
		.amdhsa_private_segment_fixed_size 40
		.amdhsa_kernarg_size 392
		.amdhsa_user_sgpr_count 6
		.amdhsa_user_sgpr_private_segment_buffer 1
		.amdhsa_user_sgpr_dispatch_ptr 0
		.amdhsa_user_sgpr_queue_ptr 0
		.amdhsa_user_sgpr_kernarg_segment_ptr 1
		.amdhsa_user_sgpr_dispatch_id 0
		.amdhsa_user_sgpr_flat_scratch_init 0
		.amdhsa_user_sgpr_private_segment_size 0
		.amdhsa_uses_dynamic_stack 0
		.amdhsa_system_sgpr_private_segment_wavefront_offset 1
		.amdhsa_system_sgpr_workgroup_id_x 1
		.amdhsa_system_sgpr_workgroup_id_y 1
		.amdhsa_system_sgpr_workgroup_id_z 1
		.amdhsa_system_sgpr_workgroup_info 0
		.amdhsa_system_vgpr_workitem_id 1
		.amdhsa_next_free_vgpr 64
		.amdhsa_next_free_sgpr 61
		.amdhsa_reserve_vcc 1
		.amdhsa_reserve_flat_scratch 0
		.amdhsa_float_round_mode_32 0
		.amdhsa_float_round_mode_16_64 0
		.amdhsa_float_denorm_mode_32 3
		.amdhsa_float_denorm_mode_16_64 3
		.amdhsa_dx10_clamp 1
		.amdhsa_ieee_mode 1
		.amdhsa_fp16_overflow 0
		.amdhsa_exception_fp_ieee_invalid_op 0
		.amdhsa_exception_fp_denorm_src 0
		.amdhsa_exception_fp_ieee_div_zero 0
		.amdhsa_exception_fp_ieee_overflow 0
		.amdhsa_exception_fp_ieee_underflow 0
		.amdhsa_exception_fp_ieee_inexact 0
		.amdhsa_exception_int_div_zero 0
	.end_amdhsa_kernel
	.section	.text._ZL30rocblas_trmm_outofplace_kernelIdLi32ELi2ELb0ELb0ELb1ELb0EPKdS0_dEv17rocblas_diagonal_iiT6_lPT7_lllS5_lllPT8_llli,"axG",@progbits,_ZL30rocblas_trmm_outofplace_kernelIdLi32ELi2ELb0ELb0ELb1ELb0EPKdS0_dEv17rocblas_diagonal_iiT6_lPT7_lllS5_lllPT8_llli,comdat
.Lfunc_end52:
	.size	_ZL30rocblas_trmm_outofplace_kernelIdLi32ELi2ELb0ELb0ELb1ELb0EPKdS0_dEv17rocblas_diagonal_iiT6_lPT7_lllS5_lllPT8_llli, .Lfunc_end52-_ZL30rocblas_trmm_outofplace_kernelIdLi32ELi2ELb0ELb0ELb1ELb0EPKdS0_dEv17rocblas_diagonal_iiT6_lPT7_lllS5_lllPT8_llli
                                        ; -- End function
	.set _ZL30rocblas_trmm_outofplace_kernelIdLi32ELi2ELb0ELb0ELb1ELb0EPKdS0_dEv17rocblas_diagonal_iiT6_lPT7_lllS5_lllPT8_llli.num_vgpr, 64
	.set _ZL30rocblas_trmm_outofplace_kernelIdLi32ELi2ELb0ELb0ELb1ELb0EPKdS0_dEv17rocblas_diagonal_iiT6_lPT7_lllS5_lllPT8_llli.num_agpr, 0
	.set _ZL30rocblas_trmm_outofplace_kernelIdLi32ELi2ELb0ELb0ELb1ELb0EPKdS0_dEv17rocblas_diagonal_iiT6_lPT7_lllS5_lllPT8_llli.numbered_sgpr, 56
	.set _ZL30rocblas_trmm_outofplace_kernelIdLi32ELi2ELb0ELb0ELb1ELb0EPKdS0_dEv17rocblas_diagonal_iiT6_lPT7_lllS5_lllPT8_llli.num_named_barrier, 0
	.set _ZL30rocblas_trmm_outofplace_kernelIdLi32ELi2ELb0ELb0ELb1ELb0EPKdS0_dEv17rocblas_diagonal_iiT6_lPT7_lllS5_lllPT8_llli.private_seg_size, 40
	.set _ZL30rocblas_trmm_outofplace_kernelIdLi32ELi2ELb0ELb0ELb1ELb0EPKdS0_dEv17rocblas_diagonal_iiT6_lPT7_lllS5_lllPT8_llli.uses_vcc, 1
	.set _ZL30rocblas_trmm_outofplace_kernelIdLi32ELi2ELb0ELb0ELb1ELb0EPKdS0_dEv17rocblas_diagonal_iiT6_lPT7_lllS5_lllPT8_llli.uses_flat_scratch, 0
	.set _ZL30rocblas_trmm_outofplace_kernelIdLi32ELi2ELb0ELb0ELb1ELb0EPKdS0_dEv17rocblas_diagonal_iiT6_lPT7_lllS5_lllPT8_llli.has_dyn_sized_stack, 0
	.set _ZL30rocblas_trmm_outofplace_kernelIdLi32ELi2ELb0ELb0ELb1ELb0EPKdS0_dEv17rocblas_diagonal_iiT6_lPT7_lllS5_lllPT8_llli.has_recursion, 0
	.set _ZL30rocblas_trmm_outofplace_kernelIdLi32ELi2ELb0ELb0ELb1ELb0EPKdS0_dEv17rocblas_diagonal_iiT6_lPT7_lllS5_lllPT8_llli.has_indirect_call, 0
	.section	.AMDGPU.csdata,"",@progbits
; Kernel info:
; codeLenInByte = 4068
; TotalNumSgprs: 60
; NumVgprs: 64
; ScratchSize: 40
; MemoryBound: 0
; FloatMode: 240
; IeeeMode: 1
; LDSByteSize: 16384 bytes/workgroup (compile time only)
; SGPRBlocks: 8
; VGPRBlocks: 15
; NumSGPRsForWavesPerEU: 65
; NumVGPRsForWavesPerEU: 64
; Occupancy: 4
; WaveLimiterHint : 0
; COMPUTE_PGM_RSRC2:SCRATCH_EN: 1
; COMPUTE_PGM_RSRC2:USER_SGPR: 6
; COMPUTE_PGM_RSRC2:TRAP_HANDLER: 0
; COMPUTE_PGM_RSRC2:TGID_X_EN: 1
; COMPUTE_PGM_RSRC2:TGID_Y_EN: 1
; COMPUTE_PGM_RSRC2:TGID_Z_EN: 1
; COMPUTE_PGM_RSRC2:TIDIG_COMP_CNT: 1
	.section	.text._ZL30rocblas_trmm_outofplace_kernelIdLi32ELi2ELb0ELb0ELb1ELb0EdKddEv17rocblas_diagonal_iiT6_lPT7_lllS4_lllPT8_llli,"axG",@progbits,_ZL30rocblas_trmm_outofplace_kernelIdLi32ELi2ELb0ELb0ELb1ELb0EdKddEv17rocblas_diagonal_iiT6_lPT7_lllS4_lllPT8_llli,comdat
	.globl	_ZL30rocblas_trmm_outofplace_kernelIdLi32ELi2ELb0ELb0ELb1ELb0EdKddEv17rocblas_diagonal_iiT6_lPT7_lllS4_lllPT8_llli ; -- Begin function _ZL30rocblas_trmm_outofplace_kernelIdLi32ELi2ELb0ELb0ELb1ELb0EdKddEv17rocblas_diagonal_iiT6_lPT7_lllS4_lllPT8_llli
	.p2align	8
	.type	_ZL30rocblas_trmm_outofplace_kernelIdLi32ELi2ELb0ELb0ELb1ELb0EdKddEv17rocblas_diagonal_iiT6_lPT7_lllS4_lllPT8_llli,@function
_ZL30rocblas_trmm_outofplace_kernelIdLi32ELi2ELb0ELb0ELb1ELb0EdKddEv17rocblas_diagonal_iiT6_lPT7_lllS4_lllPT8_llli: ; @_ZL30rocblas_trmm_outofplace_kernelIdLi32ELi2ELb0ELb0ELb1ELb0EdKddEv17rocblas_diagonal_iiT6_lPT7_lllS4_lllPT8_llli
; %bb.0:
	s_load_dwordx2 s[34:35], s[4:5], 0x10
	s_mov_b64 s[50:51], s[2:3]
	s_mov_b64 s[48:49], s[0:1]
	s_add_u32 s48, s48, s9
	s_addc_u32 s49, s49, 0
	s_waitcnt lgkmcnt(0)
	v_cmp_eq_f64_e64 s[0:1], s[34:35], 0
	s_and_b64 vcc, exec, s[0:1]
	s_cbranch_vccnz .LBB53_51
; %bb.1:
	s_load_dwordx4 s[28:31], s[4:5], 0x0
	s_waitcnt lgkmcnt(0)
	s_add_i32 s0, s30, -1
	s_ashr_i32 s1, s0, 31
	s_lshr_b32 s1, s1, 27
	s_add_i32 s0, s0, s1
	s_ashr_i32 s33, s0, 5
	s_cmp_gt_i32 s7, s33
	s_cbranch_scc1 .LBB53_51
; %bb.2:
	s_load_dwordx16 s[12:27], s[4:5], 0x20
	s_load_dwordx8 s[36:43], s[4:5], 0x60
	v_lshlrev_b32_e32 v51, 8, v1
	v_mov_b32_e32 v10, 0
	v_lshl_add_u32 v15, s7, 5, v1
	s_waitcnt lgkmcnt(0)
	s_mul_i32 s1, s19, s8
	s_mul_hi_u32 s2, s18, s8
	s_mul_i32 s0, s18, s8
	s_add_i32 s1, s2, s1
	s_lshl_b64 s[10:11], s[0:1], 3
	s_add_u32 s0, s12, s10
	s_addc_u32 s1, s13, s11
	s_lshl_b64 s[14:15], s[14:15], 3
	s_add_u32 s2, s0, s14
	s_addc_u32 s3, s1, s15
	s_mul_i32 s0, s27, s8
	s_mul_hi_u32 s1, s26, s8
	s_add_i32 s1, s1, s0
	s_mul_i32 s0, s26, s8
	s_lshl_b64 s[0:1], s[0:1], 3
	s_add_u32 s9, s20, s0
	s_addc_u32 s18, s21, s1
	s_lshl_b64 s[0:1], s[22:23], 3
	s_add_u32 s9, s9, s0
	s_addc_u32 s18, s18, s1
	s_mul_i32 s0, s43, s8
	s_mul_hi_u32 s1, s42, s8
	s_add_i32 s1, s1, s0
	s_mul_i32 s0, s42, s8
	s_lshl_b64 s[0:1], s[0:1], 3
	s_add_u32 s8, s36, s0
	s_addc_u32 s19, s37, s1
	v_mad_u64_u32 v[2:3], s[0:1], s16, v0, 0
	s_lshl_b64 s[0:1], s[38:39], 3
	s_add_u32 s44, s8, s0
	s_addc_u32 s45, s19, s1
	v_mad_u64_u32 v[3:4], s[0:1], s17, v0, v[3:4]
	v_lshl_add_u32 v4, s6, 5, v0
	v_ashrrev_i32_e32 v5, 31, v4
	v_lshlrev_b64 v[2:3], 3, v[2:3]
	v_mov_b32_e32 v6, s3
	v_add_co_u32_e32 v2, vcc, s2, v2
	v_addc_co_u32_e32 v3, vcc, v6, v3, vcc
	v_lshlrev_b64 v[6:7], 3, v[4:5]
	buffer_store_dword v2, off, s[48:51], 0 offset:8 ; 4-byte Folded Spill
	s_nop 0
	buffer_store_dword v3, off, s[48:51], 0 offset:12 ; 4-byte Folded Spill
	v_add_co_u32_e32 v8, vcc, s9, v6
	buffer_store_dword v6, off, s[48:51], 0 ; 4-byte Folded Spill
	s_nop 0
	buffer_store_dword v7, off, s[48:51], 0 offset:4 ; 4-byte Folded Spill
	v_mov_b32_e32 v2, s18
	s_cmpk_eq_i32 s28, 0x84
	s_cselect_b64 s[26:27], -1, 0
	s_ashr_i32 s0, s29, 31
	v_mov_b32_e32 v3, s0
	s_ashr_i32 s31, s30, 31
	s_lshl_b64 s[36:37], s[16:17], 8
	s_lshl_b64 s[38:39], s[24:25], 8
	s_movk_i32 s8, 0x80
	s_add_u32 s42, s30, -16
	s_addc_u32 s43, s31, -1
	v_mov_b32_e32 v60, 0x3ff00000
	v_addc_co_u32_e32 v9, vcc, v2, v7, vcc
	v_sub_co_u32_e32 v2, vcc, s29, v4
	v_subb_co_u32_e32 v3, vcc, v3, v5, vcc
	v_cmp_gt_i64_e32 vcc, 1, v[2:3]
	v_cmp_gt_i64_e64 s[0:1], 17, v[2:3]
	v_mad_u64_u32 v[2:3], s[2:3], s24, v1, 0
	buffer_store_dword v8, off, s[48:51], 0 offset:16 ; 4-byte Folded Spill
	s_nop 0
	buffer_store_dword v9, off, s[48:51], 0 offset:20 ; 4-byte Folded Spill
	v_cmp_gt_i32_e64 s[2:3], s29, v4
	v_add_u32_e32 v4, 16, v4
	s_load_dword s6, s[4:5], 0x8c
	v_mad_u64_u32 v[6:7], s[4:5], s25, v1, v[3:4]
	v_lshlrev_b32_e32 v8, 3, v0
	v_add_u32_e32 v52, v51, v8
	v_mov_b32_e32 v3, v6
	v_lshlrev_b64 v[2:3], 3, v[2:3]
	s_waitcnt lgkmcnt(0)
	s_lshl_b32 s46, s6, 5
	v_add_co_u32_e64 v55, s[8:9], s8, v2
	v_addc_co_u32_e64 v56, s[8:9], 0, v3, s[8:9]
	s_add_u32 s8, s12, s14
	s_addc_u32 s9, s13, s15
	s_add_u32 s8, s8, s10
	s_addc_u32 s9, s9, s11
	v_mov_b32_e32 v2, s8
	v_add_u32_e32 v6, 0x80, v8
	v_mov_b32_e32 v3, s9
	v_or_b32_e32 v53, 0x2000, v8
	v_mad_u64_u32 v[8:9], s[8:9], s16, v6, v[2:3]
	v_mov_b32_e32 v2, 0x80
	v_lshl_add_u32 v7, v1, 3, v2
	v_mad_u64_u32 v[20:21], s[8:9], s24, v7, 0
	v_mov_b32_e32 v2, v9
	v_mad_u64_u32 v[2:3], s[8:9], s17, v6, v[2:3]
	v_mov_b32_e32 v3, v21
	v_mad_u64_u32 v[6:7], s[8:9], s25, v7, v[3:4]
	v_ashrrev_i32_e32 v5, 31, v4
	v_sub_co_u32_e64 v63, s[8:9], 0, v0
	v_lshlrev_b64 v[57:58], 3, v[4:5]
	v_add_u32_e32 v54, v53, v51
	v_cmp_gt_i32_e64 s[4:5], s29, v4
	v_subb_co_u32_e64 v3, s[8:9], 0, 0, s[8:9]
	v_mov_b32_e32 v9, v2
	v_mov_b32_e32 v59, v6
	buffer_store_dword v3, off, s[48:51], 0 offset:32 ; 4-byte Folded Spill
	buffer_store_dword v8, off, s[48:51], 0 offset:24 ; 4-byte Folded Spill
	s_nop 0
	buffer_store_dword v9, off, s[48:51], 0 offset:28 ; 4-byte Folded Spill
	s_branch .LBB53_4
.LBB53_3:                               ;   in Loop: Header=BB53_4 Depth=1
	s_or_b64 exec, exec, s[10:11]
	s_add_i32 s7, s6, s7
	s_cmp_le_i32 s7, s33
	v_add_u32_e32 v15, s46, v15
	s_cbranch_scc0 .LBB53_51
.LBB53_4:                               ; =>This Loop Header: Depth=1
                                        ;     Child Loop BB53_7 Depth 2
	s_lshl_b32 s47, s7, 5
	v_add_u32_e32 v25, s47, v1
	v_mov_b32_e32 v49, 0
	v_mov_b32_e32 v47, 0
	;; [unrolled: 1-line block ×5, first 2 shown]
	s_cmp_lt_i32 s7, 0
	v_mov_b32_e32 v48, 0
	v_mov_b32_e32 v46, 0
	;; [unrolled: 1-line block ×3, first 2 shown]
	v_ashrrev_i32_e32 v26, 31, v25
	s_cbranch_scc1 .LBB53_43
; %bb.5:                                ;   in Loop: Header=BB53_4 Depth=1
	buffer_load_dword v2, off, s[48:51], 0 offset:32 ; 4-byte Folded Reload
	buffer_load_dword v37, off, s[48:51], 0 offset:8 ; 4-byte Folded Reload
	buffer_load_dword v38, off, s[48:51], 0 offset:12 ; 4-byte Folded Reload
	buffer_load_dword v39, off, s[48:51], 0 offset:24 ; 4-byte Folded Reload
	buffer_load_dword v40, off, s[48:51], 0 offset:28 ; 4-byte Folded Reload
	buffer_load_dword v41, off, s[48:51], 0 offset:16 ; 4-byte Folded Reload
	buffer_load_dword v42, off, s[48:51], 0 offset:20 ; 4-byte Folded Reload
	v_ashrrev_i32_e32 v16, 31, v15
	v_add_co_u32_e64 v27, s[8:9], v63, v15
	v_add_co_u32_e64 v33, s[10:11], 16, v27
	v_lshlrev_b64 v[29:30], 3, v[15:16]
	v_mov_b32_e32 v43, 0
	v_mov_b32_e32 v45, 0
	;; [unrolled: 1-line block ×4, first 2 shown]
	v_cmp_le_i32_e64 s[20:21], s30, v25
	v_mov_b32_e32 v44, 0
	s_mov_b64 s[24:25], 0
	v_mov_b32_e32 v46, 0
	v_mov_b32_e32 v48, 0
	;; [unrolled: 1-line block ×3, first 2 shown]
	s_waitcnt vmcnt(6)
	v_addc_co_u32_e64 v28, s[8:9], v2, v16, s[8:9]
	v_add_co_u32_e64 v31, s[8:9], 16, v25
	v_addc_co_u32_e64 v32, s[8:9], 0, v26, s[8:9]
	v_addc_co_u32_e64 v34, s[10:11], 0, v28, s[10:11]
	v_cmp_le_i64_e64 s[8:9], s[30:31], v[31:32]
	v_add_co_u32_e64 v35, s[10:11], -16, v27
	v_addc_co_u32_e64 v36, s[10:11], -1, v28, s[10:11]
	s_branch .LBB53_7
.LBB53_6:                               ;   in Loop: Header=BB53_7 Depth=2
	s_or_b64 exec, exec, s[10:11]
	s_waitcnt lgkmcnt(0)
	s_barrier
	ds_read_b128 v[16:19], v51
	ds_read_b128 v[11:14], v51 offset:16
	ds_read_b128 v[6:9], v51 offset:32
	;; [unrolled: 1-line block ×3, first 2 shown]
	ds_read2_b64 v[21:24], v53 offset1:16
	v_add_co_u32_e64 v41, s[10:11], s38, v41
	s_add_u32 s24, s24, 32
	s_addc_u32 s25, s25, 0
	s_waitcnt lgkmcnt(0)
	v_fma_f64 v[61:62], v[21:22], v[16:17], v[49:50]
	v_fma_f64 v[16:17], v[23:24], v[16:17], v[47:48]
	ds_read_b128 v[47:50], v51 offset:4096
	s_sub_i32 s12, s24, 32
	s_cmp_ge_i32 s12, s47
	s_waitcnt lgkmcnt(0)
	v_fma_f64 v[45:46], v[21:22], v[47:48], v[45:46]
	v_fma_f64 v[43:44], v[23:24], v[47:48], v[43:44]
	ds_read2_b64 v[21:24], v53 offset0:32 offset1:48
	s_waitcnt lgkmcnt(0)
	v_fma_f64 v[47:48], v[21:22], v[18:19], v[61:62]
	v_fma_f64 v[61:62], v[23:24], v[18:19], v[16:17]
	v_fma_f64 v[45:46], v[21:22], v[49:50], v[45:46]
	v_fma_f64 v[43:44], v[23:24], v[49:50], v[43:44]
	ds_read2_b64 v[16:19], v53 offset0:64 offset1:80
	ds_read_b128 v[21:24], v51 offset:4112
	s_waitcnt lgkmcnt(1)
	v_fma_f64 v[47:48], v[16:17], v[11:12], v[47:48]
	v_fma_f64 v[11:12], v[18:19], v[11:12], v[61:62]
	s_waitcnt lgkmcnt(0)
	v_fma_f64 v[45:46], v[16:17], v[21:22], v[45:46]
	v_fma_f64 v[21:22], v[18:19], v[21:22], v[43:44]
	ds_read2_b64 v[16:19], v53 offset0:96 offset1:112
	s_waitcnt lgkmcnt(0)
	v_fma_f64 v[43:44], v[16:17], v[13:14], v[47:48]
	v_fma_f64 v[47:48], v[18:19], v[13:14], v[11:12]
	v_fma_f64 v[45:46], v[16:17], v[23:24], v[45:46]
	v_fma_f64 v[21:22], v[18:19], v[23:24], v[21:22]
	ds_read2_b64 v[11:14], v53 offset0:128 offset1:144
	ds_read_b128 v[16:19], v51 offset:4128
	s_waitcnt lgkmcnt(1)
	v_fma_f64 v[23:24], v[11:12], v[6:7], v[43:44]
	v_fma_f64 v[6:7], v[13:14], v[6:7], v[47:48]
	;; [unrolled: 14-line block ×3, first 2 shown]
	s_waitcnt lgkmcnt(0)
	v_fma_f64 v[21:22], v[6:7], v[11:12], v[43:44]
	v_fma_f64 v[11:12], v[8:9], v[11:12], v[16:17]
	ds_read2_b64 v[6:9], v53 offset0:224 offset1:240
	s_waitcnt lgkmcnt(0)
	v_fma_f64 v[16:17], v[6:7], v[4:5], v[18:19]
	v_fma_f64 v[18:19], v[8:9], v[4:5], v[2:3]
	v_add_u32_e32 v2, 0x800, v53
	v_fma_f64 v[21:22], v[6:7], v[13:14], v[21:22]
	v_fma_f64 v[7:8], v[8:9], v[13:14], v[11:12]
	ds_read_b128 v[3:6], v51 offset:64
	ds_read2_b64 v[11:14], v2 offset1:16
	s_waitcnt lgkmcnt(0)
	v_fma_f64 v[23:24], v[11:12], v[3:4], v[16:17]
	v_fma_f64 v[3:4], v[13:14], v[3:4], v[18:19]
	ds_read_b128 v[16:19], v51 offset:4160
	s_waitcnt lgkmcnt(0)
	v_fma_f64 v[21:22], v[11:12], v[16:17], v[21:22]
	v_fma_f64 v[7:8], v[13:14], v[16:17], v[7:8]
	ds_read2_b64 v[11:14], v2 offset0:32 offset1:48
	s_waitcnt lgkmcnt(0)
	v_fma_f64 v[16:17], v[11:12], v[5:6], v[23:24]
	v_fma_f64 v[23:24], v[13:14], v[5:6], v[3:4]
	v_fma_f64 v[21:22], v[11:12], v[18:19], v[21:22]
	v_fma_f64 v[7:8], v[13:14], v[18:19], v[7:8]
	ds_read_b128 v[3:6], v51 offset:80
	ds_read2_b64 v[11:14], v2 offset0:64 offset1:80
	s_waitcnt lgkmcnt(0)
	v_fma_f64 v[43:44], v[11:12], v[3:4], v[16:17]
	ds_read_b128 v[16:19], v51 offset:4176
	v_fma_f64 v[3:4], v[13:14], v[3:4], v[23:24]
	s_waitcnt lgkmcnt(0)
	v_fma_f64 v[21:22], v[11:12], v[16:17], v[21:22]
	v_fma_f64 v[7:8], v[13:14], v[16:17], v[7:8]
	ds_read2_b64 v[11:14], v2 offset0:96 offset1:112
	s_waitcnt lgkmcnt(0)
	v_fma_f64 v[16:17], v[11:12], v[5:6], v[43:44]
	v_fma_f64 v[23:24], v[13:14], v[5:6], v[3:4]
	v_fma_f64 v[21:22], v[11:12], v[18:19], v[21:22]
	v_fma_f64 v[7:8], v[13:14], v[18:19], v[7:8]
	ds_read_b128 v[3:6], v51 offset:96
	ds_read2_b64 v[11:14], v2 offset0:128 offset1:144
	s_waitcnt lgkmcnt(0)
	v_fma_f64 v[43:44], v[11:12], v[3:4], v[16:17]
	ds_read_b128 v[16:19], v51 offset:4192
	v_fma_f64 v[3:4], v[13:14], v[3:4], v[23:24]
	;; [unrolled: 15-line block ×3, first 2 shown]
	s_waitcnt lgkmcnt(0)
	v_fma_f64 v[21:22], v[11:12], v[16:17], v[21:22]
	v_fma_f64 v[7:8], v[13:14], v[16:17], v[7:8]
	ds_read2_b64 v[11:14], v2 offset0:224 offset1:240
	v_add_u32_e32 v2, 0x1000, v53
	s_waitcnt lgkmcnt(0)
	v_fma_f64 v[16:17], v[11:12], v[5:6], v[43:44]
	v_fma_f64 v[23:24], v[13:14], v[5:6], v[3:4]
	;; [unrolled: 1-line block ×4, first 2 shown]
	ds_read_b128 v[3:6], v51 offset:128
	ds_read2_b64 v[11:14], v2 offset1:16
	s_waitcnt lgkmcnt(0)
	v_fma_f64 v[43:44], v[11:12], v[3:4], v[16:17]
	ds_read_b128 v[16:19], v51 offset:4224
	v_fma_f64 v[3:4], v[13:14], v[3:4], v[23:24]
	s_waitcnt lgkmcnt(0)
	v_fma_f64 v[21:22], v[11:12], v[16:17], v[21:22]
	v_fma_f64 v[7:8], v[13:14], v[16:17], v[7:8]
	ds_read2_b64 v[11:14], v2 offset0:32 offset1:48
	s_waitcnt lgkmcnt(0)
	v_fma_f64 v[16:17], v[11:12], v[5:6], v[43:44]
	v_fma_f64 v[23:24], v[13:14], v[5:6], v[3:4]
	v_fma_f64 v[21:22], v[11:12], v[18:19], v[21:22]
	v_fma_f64 v[7:8], v[13:14], v[18:19], v[7:8]
	ds_read_b128 v[3:6], v51 offset:144
	ds_read2_b64 v[11:14], v2 offset0:64 offset1:80
	s_waitcnt lgkmcnt(0)
	v_fma_f64 v[43:44], v[11:12], v[3:4], v[16:17]
	ds_read_b128 v[16:19], v51 offset:4240
	v_fma_f64 v[3:4], v[13:14], v[3:4], v[23:24]
	s_waitcnt lgkmcnt(0)
	v_fma_f64 v[21:22], v[11:12], v[16:17], v[21:22]
	v_fma_f64 v[7:8], v[13:14], v[16:17], v[7:8]
	ds_read2_b64 v[11:14], v2 offset0:96 offset1:112
	s_waitcnt lgkmcnt(0)
	v_fma_f64 v[16:17], v[11:12], v[5:6], v[43:44]
	v_fma_f64 v[23:24], v[13:14], v[5:6], v[3:4]
	v_fma_f64 v[21:22], v[11:12], v[18:19], v[21:22]
	v_fma_f64 v[7:8], v[13:14], v[18:19], v[7:8]
	ds_read_b128 v[3:6], v51 offset:160
	ds_read2_b64 v[11:14], v2 offset0:128 offset1:144
	;; [unrolled: 15-line block ×3, first 2 shown]
	s_waitcnt lgkmcnt(0)
	v_fma_f64 v[43:44], v[11:12], v[3:4], v[16:17]
	ds_read_b128 v[16:19], v51 offset:4272
	v_fma_f64 v[3:4], v[13:14], v[3:4], v[23:24]
	s_waitcnt lgkmcnt(0)
	v_fma_f64 v[21:22], v[11:12], v[16:17], v[21:22]
	v_fma_f64 v[7:8], v[13:14], v[16:17], v[7:8]
	ds_read2_b64 v[11:14], v2 offset0:224 offset1:240
	v_add_u32_e32 v2, 0x1800, v53
	s_waitcnt lgkmcnt(0)
	v_fma_f64 v[16:17], v[11:12], v[5:6], v[43:44]
	v_fma_f64 v[23:24], v[13:14], v[5:6], v[3:4]
	;; [unrolled: 1-line block ×4, first 2 shown]
	ds_read_b128 v[3:6], v51 offset:192
	ds_read2_b64 v[11:14], v2 offset1:16
	s_waitcnt lgkmcnt(0)
	v_fma_f64 v[43:44], v[11:12], v[3:4], v[16:17]
	ds_read_b128 v[16:19], v51 offset:4288
	v_fma_f64 v[3:4], v[13:14], v[3:4], v[23:24]
	s_waitcnt lgkmcnt(0)
	v_fma_f64 v[21:22], v[11:12], v[16:17], v[21:22]
	v_fma_f64 v[7:8], v[13:14], v[16:17], v[7:8]
	ds_read2_b64 v[11:14], v2 offset0:32 offset1:48
	s_waitcnt lgkmcnt(0)
	v_fma_f64 v[16:17], v[11:12], v[5:6], v[43:44]
	v_fma_f64 v[23:24], v[13:14], v[5:6], v[3:4]
	v_fma_f64 v[21:22], v[11:12], v[18:19], v[21:22]
	v_fma_f64 v[7:8], v[13:14], v[18:19], v[7:8]
	ds_read_b128 v[3:6], v51 offset:208
	ds_read2_b64 v[11:14], v2 offset0:64 offset1:80
	s_waitcnt lgkmcnt(0)
	v_fma_f64 v[43:44], v[11:12], v[3:4], v[16:17]
	ds_read_b128 v[16:19], v51 offset:4304
	v_fma_f64 v[3:4], v[13:14], v[3:4], v[23:24]
	s_waitcnt lgkmcnt(0)
	v_fma_f64 v[21:22], v[11:12], v[16:17], v[21:22]
	v_fma_f64 v[7:8], v[13:14], v[16:17], v[7:8]
	ds_read2_b64 v[11:14], v2 offset0:96 offset1:112
	s_waitcnt lgkmcnt(0)
	v_fma_f64 v[16:17], v[11:12], v[5:6], v[43:44]
	v_fma_f64 v[23:24], v[13:14], v[5:6], v[3:4]
	v_fma_f64 v[21:22], v[11:12], v[18:19], v[21:22]
	v_fma_f64 v[7:8], v[13:14], v[18:19], v[7:8]
	ds_read_b128 v[3:6], v51 offset:224
	ds_read2_b64 v[11:14], v2 offset0:128 offset1:144
	;; [unrolled: 15-line block ×3, first 2 shown]
	s_waitcnt lgkmcnt(0)
	v_fma_f64 v[43:44], v[11:12], v[3:4], v[16:17]
	ds_read_b128 v[16:19], v51 offset:4336
	v_fma_f64 v[3:4], v[13:14], v[3:4], v[23:24]
	s_waitcnt lgkmcnt(0)
	v_fma_f64 v[21:22], v[11:12], v[16:17], v[21:22]
	v_fma_f64 v[7:8], v[13:14], v[16:17], v[7:8]
	ds_read2_b64 v[11:14], v2 offset0:224 offset1:240
	v_mov_b32_e32 v2, s39
	v_addc_co_u32_e64 v42, s[10:11], v42, v2, s[10:11]
	v_add_co_u32_e64 v39, s[10:11], s36, v39
	s_waitcnt lgkmcnt(0)
	v_fma_f64 v[49:50], v[11:12], v[5:6], v[43:44]
	v_fma_f64 v[47:48], v[13:14], v[5:6], v[3:4]
	;; [unrolled: 1-line block ×4, first 2 shown]
	v_mov_b32_e32 v2, s37
	v_addc_co_u32_e64 v40, s[10:11], v40, v2, s[10:11]
	v_add_co_u32_e64 v37, s[10:11], s36, v37
	v_addc_co_u32_e64 v38, s[10:11], v38, v2, s[10:11]
	s_barrier
	s_cbranch_scc1 .LBB53_43
.LBB53_7:                               ;   Parent Loop BB53_4 Depth=1
                                        ; =>  This Inner Loop Header: Depth=2
	v_mov_b32_e32 v2, s25
	v_add_co_u32_e64 v4, s[10:11], s24, v0
	v_addc_co_u32_e64 v5, s[10:11], 0, v2, s[10:11]
	s_waitcnt vmcnt(5)
	v_add_co_u32_e64 v2, s[12:13], v37, v29
	s_waitcnt vmcnt(4)
	v_addc_co_u32_e64 v3, s[12:13], v38, v30, s[12:13]
	v_cmp_eq_u64_e64 s[10:11], s[24:25], v[27:28]
	v_cmp_gt_i64_e64 s[12:13], v[4:5], v[25:26]
	s_and_b64 s[10:11], s[26:27], s[10:11]
	v_cmp_le_i64_e64 s[14:15], s[30:31], v[4:5]
	s_or_b64 s[16:17], s[20:21], s[12:13]
	s_or_b64 s[16:17], s[16:17], s[10:11]
	s_nor_b64 s[16:17], s[14:15], s[16:17]
                                        ; implicit-def: $vgpr6_vgpr7
	s_and_saveexec_b64 s[18:19], s[16:17]
	s_xor_b64 s[16:17], exec, s[18:19]
	s_cbranch_execz .LBB53_9
; %bb.8:                                ;   in Loop: Header=BB53_7 Depth=2
	global_load_dwordx2 v[6:7], v[2:3], off
.LBB53_9:                               ;   in Loop: Header=BB53_7 Depth=2
	s_andn2_saveexec_b64 s[16:17], s[16:17]
	s_cbranch_execz .LBB53_11
; %bb.10:                               ;   in Loop: Header=BB53_7 Depth=2
	v_cndmask_b32_e64 v11, 0, v60, s[10:11]
	s_waitcnt vmcnt(0)
	v_mov_b32_e32 v6, v10
	v_mov_b32_e32 v7, v11
.LBB53_11:                              ;   in Loop: Header=BB53_7 Depth=2
	s_or_b64 exec, exec, s[16:17]
	s_waitcnt vmcnt(0)
	ds_write_b64 v52, v[6:7]
	v_add_co_u32_e64 v6, s[18:19], 16, v4
	v_addc_co_u32_e64 v7, s[18:19], 0, v5, s[18:19]
	v_cmp_eq_u64_e64 s[16:17], s[24:25], v[35:36]
	v_cmp_gt_i64_e64 s[18:19], v[6:7], v[25:26]
	s_and_b64 s[22:23], s[26:27], s[16:17]
	v_cmp_le_i64_e64 s[16:17], s[30:31], v[6:7]
	s_or_b64 s[18:19], s[20:21], s[18:19]
	s_or_b64 s[18:19], s[18:19], s[22:23]
	s_nor_b64 s[18:19], s[16:17], s[18:19]
	s_and_saveexec_b64 s[28:29], s[18:19]
	s_xor_b64 s[28:29], exec, s[28:29]
	s_cbranch_execz .LBB53_13
; %bb.12:                               ;   in Loop: Header=BB53_7 Depth=2
	v_add_co_u32_e64 v6, s[18:19], v39, v29
	v_addc_co_u32_e64 v7, s[18:19], v40, v30, s[18:19]
	global_load_dwordx2 v[6:7], v[6:7], off
	s_waitcnt vmcnt(0)
	ds_write_b64 v52, v[6:7] offset:128
.LBB53_13:                              ;   in Loop: Header=BB53_7 Depth=2
	s_andn2_saveexec_b64 s[18:19], s[28:29]
	s_cbranch_execz .LBB53_19
; %bb.14:                               ;   in Loop: Header=BB53_7 Depth=2
	s_xor_b64 s[22:23], s[22:23], -1
	s_and_saveexec_b64 s[28:29], s[22:23]
	s_xor_b64 s[22:23], exec, s[28:29]
; %bb.15:                               ;   in Loop: Header=BB53_7 Depth=2
	v_mov_b32_e32 v11, v10
	ds_write_b64 v52, v[10:11] offset:128
; %bb.16:                               ;   in Loop: Header=BB53_7 Depth=2
	s_andn2_saveexec_b64 s[22:23], s[22:23]
; %bb.17:                               ;   in Loop: Header=BB53_7 Depth=2
	v_mov_b32_e32 v11, v60
	ds_write_b64 v52, v[10:11] offset:128
; %bb.18:                               ;   in Loop: Header=BB53_7 Depth=2
	s_or_b64 exec, exec, s[22:23]
.LBB53_19:                              ;   in Loop: Header=BB53_7 Depth=2
	s_or_b64 exec, exec, s[18:19]
	v_cmp_eq_u64_e64 s[18:19], s[24:25], v[33:34]
	v_cmp_gt_i64_e64 s[22:23], v[4:5], v[31:32]
	s_and_b64 s[18:19], s[26:27], s[18:19]
	s_or_b64 s[22:23], s[8:9], s[22:23]
	s_or_b64 s[22:23], s[22:23], s[18:19]
	s_nor_b64 s[14:15], s[14:15], s[22:23]
                                        ; implicit-def: $vgpr4_vgpr5
	s_and_saveexec_b64 s[22:23], s[14:15]
	s_xor_b64 s[14:15], exec, s[22:23]
	s_cbranch_execz .LBB53_21
; %bb.20:                               ;   in Loop: Header=BB53_7 Depth=2
	global_load_dwordx2 v[4:5], v[2:3], off offset:128
.LBB53_21:                              ;   in Loop: Header=BB53_7 Depth=2
	s_andn2_saveexec_b64 s[14:15], s[14:15]
	s_cbranch_execz .LBB53_23
; %bb.22:                               ;   in Loop: Header=BB53_7 Depth=2
	v_cndmask_b32_e64 v11, 0, v60, s[18:19]
	s_waitcnt vmcnt(0)
	v_mov_b32_e32 v4, v10
	v_mov_b32_e32 v5, v11
.LBB53_23:                              ;   in Loop: Header=BB53_7 Depth=2
	s_or_b64 exec, exec, s[14:15]
	s_or_b64 s[12:13], s[8:9], s[12:13]
	s_or_b64 s[12:13], s[12:13], s[10:11]
	s_nor_b64 s[12:13], s[16:17], s[12:13]
	s_waitcnt vmcnt(0)
	ds_write_b64 v52, v[4:5] offset:4096
	s_and_saveexec_b64 s[14:15], s[12:13]
	s_xor_b64 s[14:15], exec, s[14:15]
	s_cbranch_execz .LBB53_25
; %bb.24:                               ;   in Loop: Header=BB53_7 Depth=2
	v_add_co_u32_e64 v2, s[12:13], v39, v29
	v_addc_co_u32_e64 v3, s[12:13], v40, v30, s[12:13]
	global_load_dwordx2 v[2:3], v[2:3], off offset:128
	s_waitcnt vmcnt(0)
	ds_write_b64 v52, v[2:3] offset:4224
.LBB53_25:                              ;   in Loop: Header=BB53_7 Depth=2
	s_andn2_saveexec_b64 s[12:13], s[14:15]
	s_cbranch_execz .LBB53_31
; %bb.26:                               ;   in Loop: Header=BB53_7 Depth=2
	s_xor_b64 s[10:11], s[10:11], -1
	s_and_saveexec_b64 s[14:15], s[10:11]
	s_xor_b64 s[10:11], exec, s[14:15]
; %bb.27:                               ;   in Loop: Header=BB53_7 Depth=2
	v_mov_b32_e32 v11, v10
	ds_write_b64 v52, v[10:11] offset:4224
; %bb.28:                               ;   in Loop: Header=BB53_7 Depth=2
	s_andn2_saveexec_b64 s[10:11], s[10:11]
; %bb.29:                               ;   in Loop: Header=BB53_7 Depth=2
	v_mov_b32_e32 v11, v60
	ds_write_b64 v52, v[10:11] offset:4224
; %bb.30:                               ;   in Loop: Header=BB53_7 Depth=2
	s_or_b64 exec, exec, s[10:11]
.LBB53_31:                              ;   in Loop: Header=BB53_7 Depth=2
	s_or_b64 exec, exec, s[12:13]
	v_mov_b32_e32 v3, s25
	v_add_co_u32_e64 v2, s[10:11], s24, v1
	v_addc_co_u32_e64 v3, s[10:11], 0, v3, s[10:11]
	v_add_co_u32_e64 v4, s[10:11], v41, v55
	v_addc_co_u32_e64 v5, s[10:11], v42, v56, s[10:11]
	v_cmp_le_i64_e64 s[10:11], s[30:31], v[2:3]
	v_mov_b32_e32 v6, 0
	v_mov_b32_e32 v7, 0
	s_nor_b64 s[14:15], s[10:11], vcc
	s_and_saveexec_b64 s[12:13], s[14:15]
	s_cbranch_execz .LBB53_33
; %bb.32:                               ;   in Loop: Header=BB53_7 Depth=2
	global_load_dwordx2 v[6:7], v[4:5], off offset:-128
.LBB53_33:                              ;   in Loop: Header=BB53_7 Depth=2
	s_or_b64 exec, exec, s[12:13]
	s_nor_b64 s[10:11], s[10:11], s[0:1]
	s_waitcnt vmcnt(0)
	ds_write_b64 v54, v[6:7]
	s_and_saveexec_b64 s[12:13], s[10:11]
	s_xor_b64 s[10:11], exec, s[12:13]
	s_cbranch_execz .LBB53_35
; %bb.34:                               ;   in Loop: Header=BB53_7 Depth=2
	global_load_dwordx2 v[4:5], v[4:5], off
	s_waitcnt vmcnt(0)
	ds_write_b64 v54, v[4:5] offset:128
.LBB53_35:                              ;   in Loop: Header=BB53_7 Depth=2
	s_andn2_saveexec_b64 s[10:11], s[10:11]
; %bb.36:                               ;   in Loop: Header=BB53_7 Depth=2
	v_mov_b32_e32 v11, v10
	ds_write_b64 v54, v[10:11] offset:128
; %bb.37:                               ;   in Loop: Header=BB53_7 Depth=2
	s_or_b64 exec, exec, s[10:11]
	v_cmp_le_i64_e64 s[10:11], s[42:43], v[2:3]
	v_add_co_u32_e64 v2, s[12:13], v41, v20
	v_mov_b32_e32 v4, 0
	v_addc_co_u32_e64 v3, s[12:13], v42, v59, s[12:13]
	v_mov_b32_e32 v5, 0
	s_nor_b64 s[14:15], s[10:11], vcc
	s_and_saveexec_b64 s[12:13], s[14:15]
	s_cbranch_execz .LBB53_39
; %bb.38:                               ;   in Loop: Header=BB53_7 Depth=2
	global_load_dwordx2 v[4:5], v[2:3], off
.LBB53_39:                              ;   in Loop: Header=BB53_7 Depth=2
	s_or_b64 exec, exec, s[12:13]
	s_nor_b64 s[10:11], s[10:11], s[0:1]
	s_waitcnt vmcnt(0)
	ds_write_b64 v54, v[4:5] offset:4096
	s_and_saveexec_b64 s[12:13], s[10:11]
	s_xor_b64 s[10:11], exec, s[12:13]
	s_cbranch_execz .LBB53_41
; %bb.40:                               ;   in Loop: Header=BB53_7 Depth=2
	global_load_dwordx2 v[2:3], v[2:3], off offset:128
	s_waitcnt vmcnt(0)
	ds_write_b64 v54, v[2:3] offset:4224
.LBB53_41:                              ;   in Loop: Header=BB53_7 Depth=2
	s_andn2_saveexec_b64 s[10:11], s[10:11]
	s_cbranch_execz .LBB53_6
; %bb.42:                               ;   in Loop: Header=BB53_7 Depth=2
	v_mov_b32_e32 v11, v10
	ds_write_b64 v54, v[10:11] offset:4224
	s_branch .LBB53_6
.LBB53_43:                              ;   in Loop: Header=BB53_4 Depth=1
	v_mul_lo_u32 v4, s41, v25
	v_mul_lo_u32 v5, s40, v26
	v_mad_u64_u32 v[2:3], s[8:9], s40, v25, 0
	v_cmp_gt_i32_e64 s[8:9], s30, v25
	v_add3_u32 v3, v3, v5, v4
	v_lshlrev_b64 v[2:3], 3, v[2:3]
	v_mov_b32_e32 v4, s45
	v_add_co_u32_e64 v2, s[10:11], s44, v2
	v_addc_co_u32_e64 v3, s[10:11], v4, v3, s[10:11]
	s_and_b64 s[10:11], s[2:3], s[8:9]
	s_and_saveexec_b64 s[12:13], s[10:11]
	s_cbranch_execz .LBB53_45
; %bb.44:                               ;   in Loop: Header=BB53_4 Depth=1
	buffer_load_dword v4, off, s[48:51], 0  ; 4-byte Folded Reload
	buffer_load_dword v5, off, s[48:51], 0 offset:4 ; 4-byte Folded Reload
	s_waitcnt vmcnt(1)
	v_add_co_u32_e64 v4, s[10:11], v2, v4
	s_waitcnt vmcnt(0)
	v_addc_co_u32_e64 v5, s[10:11], v3, v5, s[10:11]
	global_load_dwordx2 v[6:7], v[4:5], off
	s_waitcnt vmcnt(0)
	v_fma_f64 v[6:7], s[34:35], v[49:50], v[6:7]
	global_store_dwordx2 v[4:5], v[6:7], off
.LBB53_45:                              ;   in Loop: Header=BB53_4 Depth=1
	s_or_b64 exec, exec, s[12:13]
	s_and_b64 s[8:9], s[4:5], s[8:9]
	s_and_saveexec_b64 s[10:11], s[8:9]
	s_cbranch_execz .LBB53_47
; %bb.46:                               ;   in Loop: Header=BB53_4 Depth=1
	v_add_co_u32_e64 v2, s[8:9], v2, v57
	v_addc_co_u32_e64 v3, s[8:9], v3, v58, s[8:9]
	global_load_dwordx2 v[4:5], v[2:3], off
	s_waitcnt vmcnt(0)
	v_fma_f64 v[4:5], s[34:35], v[47:48], v[4:5]
	global_store_dwordx2 v[2:3], v[4:5], off
.LBB53_47:                              ;   in Loop: Header=BB53_4 Depth=1
	s_or_b64 exec, exec, s[10:11]
	v_add_u32_e32 v4, 16, v25
	v_ashrrev_i32_e32 v2, 31, v4
	v_mul_lo_u32 v5, s40, v2
	v_mul_lo_u32 v6, s41, v4
	v_mad_u64_u32 v[2:3], s[8:9], s40, v4, 0
	v_cmp_gt_i32_e64 s[8:9], s30, v4
	v_mov_b32_e32 v4, s45
	v_add3_u32 v3, v3, v5, v6
	v_lshlrev_b64 v[2:3], 3, v[2:3]
	v_add_co_u32_e64 v2, s[10:11], s44, v2
	v_addc_co_u32_e64 v3, s[10:11], v4, v3, s[10:11]
	s_and_b64 s[10:11], s[2:3], s[8:9]
	s_and_saveexec_b64 s[12:13], s[10:11]
	s_cbranch_execz .LBB53_49
; %bb.48:                               ;   in Loop: Header=BB53_4 Depth=1
	buffer_load_dword v4, off, s[48:51], 0  ; 4-byte Folded Reload
	buffer_load_dword v5, off, s[48:51], 0 offset:4 ; 4-byte Folded Reload
	s_waitcnt vmcnt(1)
	v_add_co_u32_e64 v4, s[10:11], v2, v4
	s_waitcnt vmcnt(0)
	v_addc_co_u32_e64 v5, s[10:11], v3, v5, s[10:11]
	global_load_dwordx2 v[6:7], v[4:5], off
	s_waitcnt vmcnt(0)
	v_fma_f64 v[6:7], s[34:35], v[45:46], v[6:7]
	global_store_dwordx2 v[4:5], v[6:7], off
.LBB53_49:                              ;   in Loop: Header=BB53_4 Depth=1
	s_or_b64 exec, exec, s[12:13]
	s_and_b64 s[8:9], s[4:5], s[8:9]
	s_and_saveexec_b64 s[10:11], s[8:9]
	s_cbranch_execz .LBB53_3
; %bb.50:                               ;   in Loop: Header=BB53_4 Depth=1
	v_add_co_u32_e64 v2, s[8:9], v2, v57
	v_addc_co_u32_e64 v3, s[8:9], v3, v58, s[8:9]
	global_load_dwordx2 v[4:5], v[2:3], off
	s_waitcnt vmcnt(0)
	v_fma_f64 v[4:5], s[34:35], v[43:44], v[4:5]
	global_store_dwordx2 v[2:3], v[4:5], off
	s_branch .LBB53_3
.LBB53_51:
	s_endpgm
	.section	.rodata,"a",@progbits
	.p2align	6, 0x0
	.amdhsa_kernel _ZL30rocblas_trmm_outofplace_kernelIdLi32ELi2ELb0ELb0ELb1ELb0EdKddEv17rocblas_diagonal_iiT6_lPT7_lllS4_lllPT8_llli
		.amdhsa_group_segment_fixed_size 16384
		.amdhsa_private_segment_fixed_size 40
		.amdhsa_kernarg_size 392
		.amdhsa_user_sgpr_count 6
		.amdhsa_user_sgpr_private_segment_buffer 1
		.amdhsa_user_sgpr_dispatch_ptr 0
		.amdhsa_user_sgpr_queue_ptr 0
		.amdhsa_user_sgpr_kernarg_segment_ptr 1
		.amdhsa_user_sgpr_dispatch_id 0
		.amdhsa_user_sgpr_flat_scratch_init 0
		.amdhsa_user_sgpr_private_segment_size 0
		.amdhsa_uses_dynamic_stack 0
		.amdhsa_system_sgpr_private_segment_wavefront_offset 1
		.amdhsa_system_sgpr_workgroup_id_x 1
		.amdhsa_system_sgpr_workgroup_id_y 1
		.amdhsa_system_sgpr_workgroup_id_z 1
		.amdhsa_system_sgpr_workgroup_info 0
		.amdhsa_system_vgpr_workitem_id 1
		.amdhsa_next_free_vgpr 64
		.amdhsa_next_free_sgpr 61
		.amdhsa_reserve_vcc 1
		.amdhsa_reserve_flat_scratch 0
		.amdhsa_float_round_mode_32 0
		.amdhsa_float_round_mode_16_64 0
		.amdhsa_float_denorm_mode_32 3
		.amdhsa_float_denorm_mode_16_64 3
		.amdhsa_dx10_clamp 1
		.amdhsa_ieee_mode 1
		.amdhsa_fp16_overflow 0
		.amdhsa_exception_fp_ieee_invalid_op 0
		.amdhsa_exception_fp_denorm_src 0
		.amdhsa_exception_fp_ieee_div_zero 0
		.amdhsa_exception_fp_ieee_overflow 0
		.amdhsa_exception_fp_ieee_underflow 0
		.amdhsa_exception_fp_ieee_inexact 0
		.amdhsa_exception_int_div_zero 0
	.end_amdhsa_kernel
	.section	.text._ZL30rocblas_trmm_outofplace_kernelIdLi32ELi2ELb0ELb0ELb1ELb0EdKddEv17rocblas_diagonal_iiT6_lPT7_lllS4_lllPT8_llli,"axG",@progbits,_ZL30rocblas_trmm_outofplace_kernelIdLi32ELi2ELb0ELb0ELb1ELb0EdKddEv17rocblas_diagonal_iiT6_lPT7_lllS4_lllPT8_llli,comdat
.Lfunc_end53:
	.size	_ZL30rocblas_trmm_outofplace_kernelIdLi32ELi2ELb0ELb0ELb1ELb0EdKddEv17rocblas_diagonal_iiT6_lPT7_lllS4_lllPT8_llli, .Lfunc_end53-_ZL30rocblas_trmm_outofplace_kernelIdLi32ELi2ELb0ELb0ELb1ELb0EdKddEv17rocblas_diagonal_iiT6_lPT7_lllS4_lllPT8_llli
                                        ; -- End function
	.set _ZL30rocblas_trmm_outofplace_kernelIdLi32ELi2ELb0ELb0ELb1ELb0EdKddEv17rocblas_diagonal_iiT6_lPT7_lllS4_lllPT8_llli.num_vgpr, 64
	.set _ZL30rocblas_trmm_outofplace_kernelIdLi32ELi2ELb0ELb0ELb1ELb0EdKddEv17rocblas_diagonal_iiT6_lPT7_lllS4_lllPT8_llli.num_agpr, 0
	.set _ZL30rocblas_trmm_outofplace_kernelIdLi32ELi2ELb0ELb0ELb1ELb0EdKddEv17rocblas_diagonal_iiT6_lPT7_lllS4_lllPT8_llli.numbered_sgpr, 52
	.set _ZL30rocblas_trmm_outofplace_kernelIdLi32ELi2ELb0ELb0ELb1ELb0EdKddEv17rocblas_diagonal_iiT6_lPT7_lllS4_lllPT8_llli.num_named_barrier, 0
	.set _ZL30rocblas_trmm_outofplace_kernelIdLi32ELi2ELb0ELb0ELb1ELb0EdKddEv17rocblas_diagonal_iiT6_lPT7_lllS4_lllPT8_llli.private_seg_size, 40
	.set _ZL30rocblas_trmm_outofplace_kernelIdLi32ELi2ELb0ELb0ELb1ELb0EdKddEv17rocblas_diagonal_iiT6_lPT7_lllS4_lllPT8_llli.uses_vcc, 1
	.set _ZL30rocblas_trmm_outofplace_kernelIdLi32ELi2ELb0ELb0ELb1ELb0EdKddEv17rocblas_diagonal_iiT6_lPT7_lllS4_lllPT8_llli.uses_flat_scratch, 0
	.set _ZL30rocblas_trmm_outofplace_kernelIdLi32ELi2ELb0ELb0ELb1ELb0EdKddEv17rocblas_diagonal_iiT6_lPT7_lllS4_lllPT8_llli.has_dyn_sized_stack, 0
	.set _ZL30rocblas_trmm_outofplace_kernelIdLi32ELi2ELb0ELb0ELb1ELb0EdKddEv17rocblas_diagonal_iiT6_lPT7_lllS4_lllPT8_llli.has_recursion, 0
	.set _ZL30rocblas_trmm_outofplace_kernelIdLi32ELi2ELb0ELb0ELb1ELb0EdKddEv17rocblas_diagonal_iiT6_lPT7_lllS4_lllPT8_llli.has_indirect_call, 0
	.section	.AMDGPU.csdata,"",@progbits
; Kernel info:
; codeLenInByte = 4028
; TotalNumSgprs: 56
; NumVgprs: 64
; ScratchSize: 40
; MemoryBound: 0
; FloatMode: 240
; IeeeMode: 1
; LDSByteSize: 16384 bytes/workgroup (compile time only)
; SGPRBlocks: 8
; VGPRBlocks: 15
; NumSGPRsForWavesPerEU: 65
; NumVGPRsForWavesPerEU: 64
; Occupancy: 4
; WaveLimiterHint : 0
; COMPUTE_PGM_RSRC2:SCRATCH_EN: 1
; COMPUTE_PGM_RSRC2:USER_SGPR: 6
; COMPUTE_PGM_RSRC2:TRAP_HANDLER: 0
; COMPUTE_PGM_RSRC2:TGID_X_EN: 1
; COMPUTE_PGM_RSRC2:TGID_Y_EN: 1
; COMPUTE_PGM_RSRC2:TGID_Z_EN: 1
; COMPUTE_PGM_RSRC2:TIDIG_COMP_CNT: 1
	.section	.text._ZL30rocblas_trmm_outofplace_kernelIdLi32ELi2ELb0ELb1ELb1ELb0EPKdS0_dEv17rocblas_diagonal_iiT6_lPT7_lllS5_lllPT8_llli,"axG",@progbits,_ZL30rocblas_trmm_outofplace_kernelIdLi32ELi2ELb0ELb1ELb1ELb0EPKdS0_dEv17rocblas_diagonal_iiT6_lPT7_lllS5_lllPT8_llli,comdat
	.globl	_ZL30rocblas_trmm_outofplace_kernelIdLi32ELi2ELb0ELb1ELb1ELb0EPKdS0_dEv17rocblas_diagonal_iiT6_lPT7_lllS5_lllPT8_llli ; -- Begin function _ZL30rocblas_trmm_outofplace_kernelIdLi32ELi2ELb0ELb1ELb1ELb0EPKdS0_dEv17rocblas_diagonal_iiT6_lPT7_lllS5_lllPT8_llli
	.p2align	8
	.type	_ZL30rocblas_trmm_outofplace_kernelIdLi32ELi2ELb0ELb1ELb1ELb0EPKdS0_dEv17rocblas_diagonal_iiT6_lPT7_lllS5_lllPT8_llli,@function
_ZL30rocblas_trmm_outofplace_kernelIdLi32ELi2ELb0ELb1ELb1ELb0EPKdS0_dEv17rocblas_diagonal_iiT6_lPT7_lllS5_lllPT8_llli: ; @_ZL30rocblas_trmm_outofplace_kernelIdLi32ELi2ELb0ELb1ELb1ELb0EPKdS0_dEv17rocblas_diagonal_iiT6_lPT7_lllS5_lllPT8_llli
; %bb.0:
	s_load_dwordx16 s[36:51], s[4:5], 0x10
	s_mov_b64 s[66:67], s[2:3]
	s_mov_b64 s[64:65], s[0:1]
	s_add_u32 s64, s64, s9
	s_addc_u32 s65, s65, 0
	s_waitcnt lgkmcnt(0)
	s_mul_i32 s0, s39, s8
	s_mul_hi_u32 s1, s38, s8
	s_add_i32 s1, s1, s0
	s_mul_i32 s0, s38, s8
	s_lshl_b64 s[0:1], s[0:1], 3
	s_add_u32 s0, s36, s0
	s_addc_u32 s1, s37, s1
	s_load_dwordx2 s[34:35], s[0:1], 0x0
	s_waitcnt lgkmcnt(0)
	v_cmp_eq_f64_e64 s[0:1], s[34:35], 0
	s_and_b64 vcc, exec, s[0:1]
	s_cbranch_vccnz .LBB54_52
; %bb.1:
	s_load_dwordx4 s[36:39], s[4:5], 0x0
	s_waitcnt lgkmcnt(0)
	s_add_i32 s0, s38, -1
	s_ashr_i32 s1, s0, 31
	s_lshr_b32 s1, s1, 27
	s_add_i32 s0, s0, s1
	s_ashr_i32 s33, s0, 5
	s_cmp_gt_i32 s7, s33
	s_cbranch_scc1 .LBB54_52
; %bb.2:
	s_load_dwordx4 s[52:55], s[4:5], 0x70
	s_load_dwordx8 s[24:31], s[4:5], 0x50
	s_load_dword s60, s[4:5], 0x8c
	v_lshl_add_u32 v2, s6, 5, v0
	v_ashrrev_i32_e32 v3, 31, v2
	s_waitcnt lgkmcnt(0)
	s_mul_i32 s1, s55, s8
	s_mul_hi_u32 s2, s54, s8
	s_mul_i32 s0, s54, s8
	s_add_i32 s1, s2, s1
	s_lshl_b64 s[0:1], s[0:1], 3
	s_add_u32 s2, s28, s0
	s_addc_u32 s3, s29, s1
	s_lshl_b64 s[0:1], s[30:31], 3
	s_add_u32 s61, s2, s0
	s_addc_u32 s62, s3, s1
	s_cmpk_eq_i32 s36, 0x84
	s_cselect_b64 s[28:29], -1, 0
	s_ashr_i32 s39, s38, 31
	s_ashr_i32 s0, s37, 31
	s_lshl_b64 s[30:31], s[44:45], 8
	s_lshl_b64 s[54:55], s[24:25], 8
	v_mov_b32_e32 v5, s0
	v_sub_co_u32_e32 v4, vcc, s37, v2
	s_add_u32 s56, s38, -16
	v_subb_co_u32_e32 v5, vcc, v5, v3, vcc
	s_addc_u32 s57, s39, -1
	s_lshl_b32 s9, s7, 5
	s_lshl_b32 s6, s60, 5
	v_cmp_gt_i64_e64 s[0:1], 1, v[4:5]
	v_cmp_gt_i64_e64 s[2:3], 17, v[4:5]
	v_add_u32_e32 v4, 16, v2
	v_add_u32_e32 v12, s9, v0
	;; [unrolled: 1-line block ×3, first 2 shown]
	s_add_u32 s36, s48, 0x80
	s_mul_i32 s9, s27, s8
	s_mul_hi_u32 s10, s26, s8
	v_cmp_gt_i32_e64 s[4:5], s37, v2
	v_cmp_gt_i32_e64 s[20:21], s37, v4
	s_addc_u32 s37, s49, 0
	s_add_i32 s11, s10, s9
	s_mul_i32 s10, s26, s8
	v_ashrrev_i32_e32 v5, 31, v4
	s_lshl_b64 s[58:59], s[24:25], 3
	s_lshl_b64 s[10:11], s[10:11], 3
	s_lshl_b64 s[12:13], s[50:51], 3
	v_lshlrev_b64 v[2:3], 3, v[2:3]
	buffer_store_dword v4, off, s[64:67], 0 ; 4-byte Folded Spill
	s_nop 0
	buffer_store_dword v5, off, s[64:67], 0 offset:4 ; 4-byte Folded Spill
	s_add_u32 s9, s10, s12
	v_add_co_u32_e32 v4, vcc, s9, v2
	buffer_store_dword v2, off, s[64:67], 0 offset:8 ; 4-byte Folded Spill
	s_nop 0
	buffer_store_dword v3, off, s[64:67], 0 offset:12 ; 4-byte Folded Spill
	s_addc_u32 s10, s11, s13
	v_lshlrev_b32_e32 v6, 3, v0
	v_mov_b32_e32 v0, s10
	s_mul_i32 s9, s47, s8
	s_mul_hi_u32 s10, s46, s8
	s_add_i32 s9, s10, s9
	s_mul_i32 s8, s46, s8
	s_lshl_b64 s[8:9], s[8:9], 3
	s_lshl_b64 s[10:11], s[42:43], 3
	s_add_u32 s8, s8, s10
	s_addc_u32 s9, s9, s11
	v_lshlrev_b32_e32 v52, 8, v1
	v_or_b32_e32 v54, 0x2000, v6
	s_add_u32 s26, s40, s8
	v_add_u32_e32 v53, v52, v6
	v_add_u32_e32 v55, v54, v52
	s_addc_u32 s27, s41, s9
	s_lshl_b64 s[40:41], s[44:45], 3
	v_mov_b32_e32 v20, 0
	s_movk_i32 s50, 0x80
	v_addc_co_u32_e32 v5, vcc, v0, v3, vcc
	v_mov_b32_e32 v0, 0x3ff00000
	buffer_store_dword v4, off, s[64:67], 0 offset:16 ; 4-byte Folded Spill
	s_nop 0
	buffer_store_dword v5, off, s[64:67], 0 offset:20 ; 4-byte Folded Spill
	s_branch .LBB54_4
.LBB54_3:                               ;   in Loop: Header=BB54_4 Depth=1
	s_or_b64 exec, exec, s[8:9]
	s_add_i32 s7, s60, s7
	v_add_u32_e32 v12, s6, v12
	s_cmp_le_i32 s7, s33
	v_add_u32_e32 v14, s6, v14
	s_cbranch_scc0 .LBB54_52
.LBB54_4:                               ; =>This Loop Header: Depth=1
                                        ;     Child Loop BB54_7 Depth 2
	s_lshl_b32 s8, s7, 5
	v_add_u32_e32 v22, s8, v1
	s_sub_i32 s51, s38, s8
	v_ashrrev_i32_e32 v13, 31, v12
	v_ashrrev_i32_e32 v15, 31, v14
	s_cmp_lt_i32 s51, 1
	v_ashrrev_i32_e32 v23, 31, v22
	s_cbranch_scc1 .LBB54_43
; %bb.5:                                ;   in Loop: Header=BB54_4 Depth=1
	buffer_load_dword v42, off, s[64:67], 0 offset:16 ; 4-byte Folded Reload
	buffer_load_dword v43, off, s[64:67], 0 offset:20 ; 4-byte Folded Reload
	v_mov_b32_e32 v2, s36
	v_mov_b32_e32 v3, s37
	v_sub_co_u32_e32 v24, vcc, v14, v12
	v_mad_u64_u32 v[26:27], s[8:9], s58, v14, v[2:3]
	v_lshlrev_b64 v[2:3], 3, v[12:13]
	v_subb_co_u32_e32 v25, vcc, v15, v13, vcc
	v_add_co_u32_e32 v6, vcc, 0x80, v2
	v_lshlrev_b64 v[28:29], 3, v[14:15]
	v_addc_co_u32_e32 v2, vcc, 0, v3, vcc
	v_mul_lo_u32 v7, s44, v2
	v_mov_b32_e32 v2, s26
	v_mov_b32_e32 v3, s27
	v_add_co_u32_e32 v10, vcc, s50, v28
	v_mad_u64_u32 v[30:31], s[8:9], s44, v6, v[2:3]
	v_mad_u64_u32 v[32:33], s[8:9], s40, v12, v[2:3]
	v_addc_co_u32_e32 v2, vcc, 0, v29, vcc
	v_mul_lo_u32 v11, s24, v2
	v_mov_b32_e32 v2, s48
	v_mov_b32_e32 v3, s49
	v_mul_lo_u32 v4, s58, v15
	v_mul_lo_u32 v5, s59, v14
	;; [unrolled: 1-line block ×5, first 2 shown]
	v_mad_u64_u32 v[34:35], s[8:9], s24, v10, v[2:3]
	v_mul_lo_u32 v2, s25, v10
	v_add_co_u32_e64 v36, s[8:9], 16, v22
	v_add_co_u32_e64 v38, s[10:11], 16, v24
	v_addc_co_u32_e64 v37, s[8:9], 0, v23, s[8:9]
	v_addc_co_u32_e64 v39, s[10:11], 0, v25, s[10:11]
	v_cmp_le_i64_e64 s[8:9], s[38:39], v[36:37]
	v_add_co_u32_e64 v40, s[10:11], -16, v24
	v_mov_b32_e32 v44, 0
	v_mov_b32_e32 v46, 0
	;; [unrolled: 1-line block ×4, first 2 shown]
	v_add3_u32 v27, v5, v27, v4
	v_add3_u32 v31, v8, v31, v7
	;; [unrolled: 1-line block ×4, first 2 shown]
	v_cmp_le_i32_e32 vcc, s38, v22
	v_addc_co_u32_e64 v41, s[10:11], -1, v25, s[10:11]
	v_mov_b32_e32 v45, 0
	s_mov_b64 s[42:43], 0
	v_mov_b32_e32 v47, 0
	v_mov_b32_e32 v49, 0
	;; [unrolled: 1-line block ×3, first 2 shown]
	s_branch .LBB54_7
.LBB54_6:                               ;   in Loop: Header=BB54_7 Depth=2
	s_or_b64 exec, exec, s[10:11]
	s_waitcnt lgkmcnt(0)
	s_barrier
	ds_read_b128 v[56:59], v52
	ds_read_b128 v[60:63], v52 offset:16
	ds_read_b128 v[6:9], v52 offset:32
	;; [unrolled: 1-line block ×3, first 2 shown]
	ds_read2_b64 v[16:19], v54 offset1:16
	v_add_co_u32_e64 v42, s[10:11], s54, v42
	s_add_u32 s42, s42, 32
	s_addc_u32 s43, s43, 0
	s_waitcnt lgkmcnt(0)
	v_fma_f64 v[10:11], v[16:17], v[56:57], v[50:51]
	v_fma_f64 v[56:57], v[18:19], v[56:57], v[48:49]
	ds_read_b128 v[48:51], v52 offset:4096
	s_cmp_ge_i32 s42, s51
	s_waitcnt lgkmcnt(0)
	v_fma_f64 v[46:47], v[16:17], v[48:49], v[46:47]
	v_fma_f64 v[44:45], v[18:19], v[48:49], v[44:45]
	ds_read2_b64 v[16:19], v54 offset0:32 offset1:48
	s_waitcnt lgkmcnt(0)
	v_fma_f64 v[10:11], v[16:17], v[58:59], v[10:11]
	v_fma_f64 v[48:49], v[18:19], v[58:59], v[56:57]
	v_fma_f64 v[56:57], v[16:17], v[50:51], v[46:47]
	v_fma_f64 v[50:51], v[18:19], v[50:51], v[44:45]
	ds_read2_b64 v[16:19], v54 offset0:64 offset1:80
	ds_read_b128 v[44:47], v52 offset:4112
	s_waitcnt lgkmcnt(1)
	v_fma_f64 v[10:11], v[16:17], v[60:61], v[10:11]
	v_fma_f64 v[48:49], v[18:19], v[60:61], v[48:49]
	s_waitcnt lgkmcnt(0)
	v_fma_f64 v[56:57], v[16:17], v[44:45], v[56:57]
	v_fma_f64 v[44:45], v[18:19], v[44:45], v[50:51]
	ds_read2_b64 v[16:19], v54 offset0:96 offset1:112
	s_waitcnt lgkmcnt(0)
	v_fma_f64 v[10:11], v[16:17], v[62:63], v[10:11]
	v_fma_f64 v[48:49], v[18:19], v[62:63], v[48:49]
	v_fma_f64 v[50:51], v[16:17], v[46:47], v[56:57]
	v_fma_f64 v[56:57], v[18:19], v[46:47], v[44:45]
	ds_read2_b64 v[16:19], v54 offset0:128 offset1:144
	ds_read_b128 v[44:47], v52 offset:4128
	s_waitcnt lgkmcnt(1)
	v_fma_f64 v[10:11], v[16:17], v[6:7], v[10:11]
	v_fma_f64 v[6:7], v[18:19], v[6:7], v[48:49]
	;; [unrolled: 14-line block ×3, first 2 shown]
	s_waitcnt lgkmcnt(0)
	v_fma_f64 v[46:47], v[6:7], v[16:17], v[48:49]
	v_fma_f64 v[16:17], v[8:9], v[16:17], v[44:45]
	ds_read2_b64 v[6:9], v54 offset0:224 offset1:240
	s_waitcnt lgkmcnt(0)
	v_fma_f64 v[10:11], v[6:7], v[4:5], v[10:11]
	v_fma_f64 v[44:45], v[8:9], v[4:5], v[2:3]
	v_add_u32_e32 v2, 0x800, v54
	v_fma_f64 v[48:49], v[6:7], v[18:19], v[46:47]
	v_fma_f64 v[7:8], v[8:9], v[18:19], v[16:17]
	ds_read_b128 v[3:6], v52 offset:64
	ds_read2_b64 v[16:19], v2 offset1:16
	s_waitcnt lgkmcnt(0)
	v_fma_f64 v[9:10], v[16:17], v[3:4], v[10:11]
	v_fma_f64 v[3:4], v[18:19], v[3:4], v[44:45]
	ds_read_b128 v[44:47], v52 offset:4160
	s_waitcnt lgkmcnt(0)
	v_fma_f64 v[48:49], v[16:17], v[44:45], v[48:49]
	v_fma_f64 v[7:8], v[18:19], v[44:45], v[7:8]
	ds_read2_b64 v[16:19], v2 offset0:32 offset1:48
	s_waitcnt lgkmcnt(0)
	v_fma_f64 v[9:10], v[16:17], v[5:6], v[9:10]
	v_fma_f64 v[44:45], v[18:19], v[5:6], v[3:4]
	v_fma_f64 v[48:49], v[16:17], v[46:47], v[48:49]
	v_fma_f64 v[7:8], v[18:19], v[46:47], v[7:8]
	ds_read_b128 v[3:6], v52 offset:80
	ds_read2_b64 v[16:19], v2 offset0:64 offset1:80
	s_waitcnt lgkmcnt(0)
	v_fma_f64 v[9:10], v[16:17], v[3:4], v[9:10]
	v_fma_f64 v[3:4], v[18:19], v[3:4], v[44:45]
	ds_read_b128 v[44:47], v52 offset:4176
	s_waitcnt lgkmcnt(0)
	v_fma_f64 v[48:49], v[16:17], v[44:45], v[48:49]
	v_fma_f64 v[7:8], v[18:19], v[44:45], v[7:8]
	ds_read2_b64 v[16:19], v2 offset0:96 offset1:112
	s_waitcnt lgkmcnt(0)
	v_fma_f64 v[9:10], v[16:17], v[5:6], v[9:10]
	v_fma_f64 v[44:45], v[18:19], v[5:6], v[3:4]
	v_fma_f64 v[48:49], v[16:17], v[46:47], v[48:49]
	v_fma_f64 v[7:8], v[18:19], v[46:47], v[7:8]
	ds_read_b128 v[3:6], v52 offset:96
	ds_read2_b64 v[16:19], v2 offset0:128 offset1:144
	;; [unrolled: 15-line block ×3, first 2 shown]
	s_waitcnt lgkmcnt(0)
	v_fma_f64 v[9:10], v[16:17], v[3:4], v[9:10]
	v_fma_f64 v[3:4], v[18:19], v[3:4], v[44:45]
	ds_read_b128 v[44:47], v52 offset:4208
	s_waitcnt lgkmcnt(0)
	v_fma_f64 v[48:49], v[16:17], v[44:45], v[48:49]
	v_fma_f64 v[7:8], v[18:19], v[44:45], v[7:8]
	ds_read2_b64 v[16:19], v2 offset0:224 offset1:240
	v_add_u32_e32 v2, 0x1000, v54
	s_waitcnt lgkmcnt(0)
	v_fma_f64 v[9:10], v[16:17], v[5:6], v[9:10]
	v_fma_f64 v[44:45], v[18:19], v[5:6], v[3:4]
	;; [unrolled: 1-line block ×4, first 2 shown]
	ds_read_b128 v[3:6], v52 offset:128
	ds_read2_b64 v[16:19], v2 offset1:16
	s_waitcnt lgkmcnt(0)
	v_fma_f64 v[9:10], v[16:17], v[3:4], v[9:10]
	v_fma_f64 v[3:4], v[18:19], v[3:4], v[44:45]
	ds_read_b128 v[44:47], v52 offset:4224
	s_waitcnt lgkmcnt(0)
	v_fma_f64 v[48:49], v[16:17], v[44:45], v[48:49]
	v_fma_f64 v[7:8], v[18:19], v[44:45], v[7:8]
	ds_read2_b64 v[16:19], v2 offset0:32 offset1:48
	s_waitcnt lgkmcnt(0)
	v_fma_f64 v[9:10], v[16:17], v[5:6], v[9:10]
	v_fma_f64 v[44:45], v[18:19], v[5:6], v[3:4]
	v_fma_f64 v[48:49], v[16:17], v[46:47], v[48:49]
	v_fma_f64 v[7:8], v[18:19], v[46:47], v[7:8]
	ds_read_b128 v[3:6], v52 offset:144
	ds_read2_b64 v[16:19], v2 offset0:64 offset1:80
	s_waitcnt lgkmcnt(0)
	v_fma_f64 v[9:10], v[16:17], v[3:4], v[9:10]
	v_fma_f64 v[3:4], v[18:19], v[3:4], v[44:45]
	ds_read_b128 v[44:47], v52 offset:4240
	s_waitcnt lgkmcnt(0)
	v_fma_f64 v[48:49], v[16:17], v[44:45], v[48:49]
	v_fma_f64 v[7:8], v[18:19], v[44:45], v[7:8]
	ds_read2_b64 v[16:19], v2 offset0:96 offset1:112
	s_waitcnt lgkmcnt(0)
	v_fma_f64 v[9:10], v[16:17], v[5:6], v[9:10]
	v_fma_f64 v[44:45], v[18:19], v[5:6], v[3:4]
	v_fma_f64 v[48:49], v[16:17], v[46:47], v[48:49]
	v_fma_f64 v[7:8], v[18:19], v[46:47], v[7:8]
	ds_read_b128 v[3:6], v52 offset:160
	ds_read2_b64 v[16:19], v2 offset0:128 offset1:144
	;; [unrolled: 15-line block ×3, first 2 shown]
	s_waitcnt lgkmcnt(0)
	v_fma_f64 v[9:10], v[16:17], v[3:4], v[9:10]
	v_fma_f64 v[3:4], v[18:19], v[3:4], v[44:45]
	ds_read_b128 v[44:47], v52 offset:4272
	s_waitcnt lgkmcnt(0)
	v_fma_f64 v[48:49], v[16:17], v[44:45], v[48:49]
	v_fma_f64 v[7:8], v[18:19], v[44:45], v[7:8]
	ds_read2_b64 v[16:19], v2 offset0:224 offset1:240
	v_add_u32_e32 v2, 0x1800, v54
	s_waitcnt lgkmcnt(0)
	v_fma_f64 v[9:10], v[16:17], v[5:6], v[9:10]
	v_fma_f64 v[44:45], v[18:19], v[5:6], v[3:4]
	;; [unrolled: 1-line block ×4, first 2 shown]
	ds_read_b128 v[3:6], v52 offset:192
	ds_read2_b64 v[16:19], v2 offset1:16
	s_waitcnt lgkmcnt(0)
	v_fma_f64 v[9:10], v[16:17], v[3:4], v[9:10]
	v_fma_f64 v[3:4], v[18:19], v[3:4], v[44:45]
	ds_read_b128 v[44:47], v52 offset:4288
	s_waitcnt lgkmcnt(0)
	v_fma_f64 v[48:49], v[16:17], v[44:45], v[48:49]
	v_fma_f64 v[7:8], v[18:19], v[44:45], v[7:8]
	ds_read2_b64 v[16:19], v2 offset0:32 offset1:48
	s_waitcnt lgkmcnt(0)
	v_fma_f64 v[9:10], v[16:17], v[5:6], v[9:10]
	v_fma_f64 v[44:45], v[18:19], v[5:6], v[3:4]
	v_fma_f64 v[48:49], v[16:17], v[46:47], v[48:49]
	v_fma_f64 v[7:8], v[18:19], v[46:47], v[7:8]
	ds_read_b128 v[3:6], v52 offset:208
	ds_read2_b64 v[16:19], v2 offset0:64 offset1:80
	s_waitcnt lgkmcnt(0)
	v_fma_f64 v[9:10], v[16:17], v[3:4], v[9:10]
	v_fma_f64 v[3:4], v[18:19], v[3:4], v[44:45]
	ds_read_b128 v[44:47], v52 offset:4304
	s_waitcnt lgkmcnt(0)
	v_fma_f64 v[48:49], v[16:17], v[44:45], v[48:49]
	v_fma_f64 v[7:8], v[18:19], v[44:45], v[7:8]
	ds_read2_b64 v[16:19], v2 offset0:96 offset1:112
	s_waitcnt lgkmcnt(0)
	v_fma_f64 v[9:10], v[16:17], v[5:6], v[9:10]
	v_fma_f64 v[44:45], v[18:19], v[5:6], v[3:4]
	v_fma_f64 v[48:49], v[16:17], v[46:47], v[48:49]
	v_fma_f64 v[7:8], v[18:19], v[46:47], v[7:8]
	ds_read_b128 v[3:6], v52 offset:224
	ds_read2_b64 v[16:19], v2 offset0:128 offset1:144
	;; [unrolled: 15-line block ×3, first 2 shown]
	ds_read_b128 v[56:59], v52 offset:4336
	s_waitcnt lgkmcnt(1)
	v_fma_f64 v[9:10], v[16:17], v[3:4], v[9:10]
	v_fma_f64 v[3:4], v[18:19], v[3:4], v[44:45]
	s_waitcnt lgkmcnt(0)
	v_fma_f64 v[44:45], v[16:17], v[56:57], v[48:49]
	v_fma_f64 v[7:8], v[18:19], v[56:57], v[7:8]
	ds_read2_b64 v[16:19], v2 offset0:224 offset1:240
	v_mov_b32_e32 v2, s55
	v_addc_co_u32_e64 v43, s[10:11], v43, v2, s[10:11]
	v_add_co_u32_e64 v30, s[10:11], s30, v30
	s_waitcnt lgkmcnt(0)
	v_fma_f64 v[50:51], v[16:17], v[5:6], v[9:10]
	v_fma_f64 v[48:49], v[18:19], v[5:6], v[3:4]
	;; [unrolled: 1-line block ×4, first 2 shown]
	v_mov_b32_e32 v2, s31
	v_addc_co_u32_e64 v31, s[10:11], v31, v2, s[10:11]
	v_add_co_u32_e64 v32, s[10:11], s30, v32
	v_addc_co_u32_e64 v33, s[10:11], v33, v2, s[10:11]
	s_barrier
	s_cbranch_scc1 .LBB54_44
.LBB54_7:                               ;   Parent Loop BB54_4 Depth=1
                                        ; =>  This Inner Loop Header: Depth=2
	v_mov_b32_e32 v2, s43
	v_add_co_u32_e64 v4, s[10:11], s42, v12
	v_addc_co_u32_e64 v5, s[10:11], v13, v2, s[10:11]
	v_add_co_u32_e64 v2, s[12:13], v32, v28
	v_addc_co_u32_e64 v3, s[12:13], v33, v29, s[12:13]
	v_cmp_lt_i64_e64 s[12:13], v[4:5], v[22:23]
	v_cmp_eq_u64_e64 s[10:11], s[42:43], v[24:25]
	v_cmp_le_i64_e64 s[14:15], s[38:39], v[4:5]
	s_or_b64 s[16:17], vcc, s[12:13]
	s_and_b64 s[10:11], s[28:29], s[10:11]
	s_or_b64 s[16:17], s[14:15], s[16:17]
	s_nor_b64 s[16:17], s[16:17], s[10:11]
                                        ; implicit-def: $vgpr6_vgpr7
	s_and_saveexec_b64 s[18:19], s[16:17]
	s_xor_b64 s[16:17], exec, s[18:19]
	s_cbranch_execz .LBB54_9
; %bb.8:                                ;   in Loop: Header=BB54_7 Depth=2
	global_load_dwordx2 v[6:7], v[2:3], off
.LBB54_9:                               ;   in Loop: Header=BB54_7 Depth=2
	s_andn2_saveexec_b64 s[16:17], s[16:17]
	s_cbranch_execz .LBB54_11
; %bb.10:                               ;   in Loop: Header=BB54_7 Depth=2
	v_cndmask_b32_e64 v21, 0, v0, s[10:11]
	s_waitcnt vmcnt(0)
	v_mov_b32_e32 v6, v20
	v_mov_b32_e32 v7, v21
.LBB54_11:                              ;   in Loop: Header=BB54_7 Depth=2
	s_or_b64 exec, exec, s[16:17]
	s_waitcnt vmcnt(0)
	ds_write_b64 v53, v[6:7]
	v_add_co_u32_e64 v6, s[18:19], 16, v4
	v_cmp_eq_u64_e64 s[16:17], s[42:43], v[40:41]
	v_addc_co_u32_e64 v7, s[18:19], 0, v5, s[18:19]
	v_cmp_lt_i64_e64 s[18:19], v[6:7], v[22:23]
	s_and_b64 s[22:23], s[28:29], s[16:17]
	v_cmp_le_i64_e64 s[16:17], s[38:39], v[6:7]
	s_or_b64 s[18:19], vcc, s[18:19]
	s_or_b64 s[18:19], s[16:17], s[18:19]
	s_nor_b64 s[18:19], s[18:19], s[22:23]
	s_and_saveexec_b64 s[46:47], s[18:19]
	s_xor_b64 s[46:47], exec, s[46:47]
	s_cbranch_execz .LBB54_13
; %bb.12:                               ;   in Loop: Header=BB54_7 Depth=2
	v_add_co_u32_e64 v6, s[18:19], v30, v28
	v_addc_co_u32_e64 v7, s[18:19], v31, v29, s[18:19]
	global_load_dwordx2 v[6:7], v[6:7], off
	s_waitcnt vmcnt(0)
	ds_write_b64 v53, v[6:7] offset:128
.LBB54_13:                              ;   in Loop: Header=BB54_7 Depth=2
	s_andn2_saveexec_b64 s[18:19], s[46:47]
	s_cbranch_execz .LBB54_19
; %bb.14:                               ;   in Loop: Header=BB54_7 Depth=2
	s_xor_b64 s[22:23], s[22:23], -1
	s_and_saveexec_b64 s[46:47], s[22:23]
	s_xor_b64 s[22:23], exec, s[46:47]
; %bb.15:                               ;   in Loop: Header=BB54_7 Depth=2
	v_mov_b32_e32 v21, v20
	ds_write_b64 v53, v[20:21] offset:128
; %bb.16:                               ;   in Loop: Header=BB54_7 Depth=2
	s_andn2_saveexec_b64 s[22:23], s[22:23]
; %bb.17:                               ;   in Loop: Header=BB54_7 Depth=2
	v_mov_b32_e32 v21, v0
	ds_write_b64 v53, v[20:21] offset:128
; %bb.18:                               ;   in Loop: Header=BB54_7 Depth=2
	s_or_b64 exec, exec, s[22:23]
.LBB54_19:                              ;   in Loop: Header=BB54_7 Depth=2
	s_or_b64 exec, exec, s[18:19]
	v_cmp_eq_u64_e64 s[18:19], s[42:43], v[38:39]
	v_cmp_lt_i64_e64 s[22:23], v[4:5], v[36:37]
	s_and_b64 s[18:19], s[28:29], s[18:19]
	s_or_b64 s[22:23], s[8:9], s[22:23]
	s_or_b64 s[22:23], s[22:23], s[18:19]
	s_nor_b64 s[14:15], s[14:15], s[22:23]
                                        ; implicit-def: $vgpr4_vgpr5
	s_and_saveexec_b64 s[22:23], s[14:15]
	s_xor_b64 s[14:15], exec, s[22:23]
	s_cbranch_execz .LBB54_21
; %bb.20:                               ;   in Loop: Header=BB54_7 Depth=2
	global_load_dwordx2 v[4:5], v[2:3], off offset:128
.LBB54_21:                              ;   in Loop: Header=BB54_7 Depth=2
	s_andn2_saveexec_b64 s[14:15], s[14:15]
	s_cbranch_execz .LBB54_23
; %bb.22:                               ;   in Loop: Header=BB54_7 Depth=2
	v_cndmask_b32_e64 v21, 0, v0, s[18:19]
	s_waitcnt vmcnt(0)
	v_mov_b32_e32 v4, v20
	v_mov_b32_e32 v5, v21
.LBB54_23:                              ;   in Loop: Header=BB54_7 Depth=2
	s_or_b64 exec, exec, s[14:15]
	s_or_b64 s[12:13], s[8:9], s[12:13]
	s_or_b64 s[12:13], s[16:17], s[12:13]
	s_nor_b64 s[12:13], s[12:13], s[10:11]
	s_waitcnt vmcnt(0)
	ds_write_b64 v53, v[4:5] offset:4096
	s_and_saveexec_b64 s[14:15], s[12:13]
	s_xor_b64 s[14:15], exec, s[14:15]
	s_cbranch_execz .LBB54_25
; %bb.24:                               ;   in Loop: Header=BB54_7 Depth=2
	v_add_co_u32_e64 v2, s[12:13], v30, v28
	v_addc_co_u32_e64 v3, s[12:13], v31, v29, s[12:13]
	global_load_dwordx2 v[2:3], v[2:3], off offset:128
	s_waitcnt vmcnt(0)
	ds_write_b64 v53, v[2:3] offset:4224
.LBB54_25:                              ;   in Loop: Header=BB54_7 Depth=2
	s_andn2_saveexec_b64 s[12:13], s[14:15]
	s_cbranch_execz .LBB54_31
; %bb.26:                               ;   in Loop: Header=BB54_7 Depth=2
	s_xor_b64 s[10:11], s[10:11], -1
	s_and_saveexec_b64 s[14:15], s[10:11]
	s_xor_b64 s[10:11], exec, s[14:15]
; %bb.27:                               ;   in Loop: Header=BB54_7 Depth=2
	v_mov_b32_e32 v21, v20
	ds_write_b64 v53, v[20:21] offset:4224
; %bb.28:                               ;   in Loop: Header=BB54_7 Depth=2
	s_andn2_saveexec_b64 s[10:11], s[10:11]
; %bb.29:                               ;   in Loop: Header=BB54_7 Depth=2
	v_mov_b32_e32 v21, v0
	ds_write_b64 v53, v[20:21] offset:4224
; %bb.30:                               ;   in Loop: Header=BB54_7 Depth=2
	s_or_b64 exec, exec, s[10:11]
.LBB54_31:                              ;   in Loop: Header=BB54_7 Depth=2
	s_or_b64 exec, exec, s[12:13]
	v_mov_b32_e32 v3, s43
	v_add_co_u32_e64 v2, s[10:11], s42, v14
	v_addc_co_u32_e64 v3, s[10:11], v15, v3, s[10:11]
	v_add_co_u32_e64 v4, s[10:11], v26, v42
	v_addc_co_u32_e64 v5, s[10:11], v27, v43, s[10:11]
	v_cmp_le_i64_e64 s[10:11], s[38:39], v[2:3]
	v_mov_b32_e32 v6, 0
	v_mov_b32_e32 v7, 0
	s_nor_b64 s[14:15], s[10:11], s[0:1]
	s_and_saveexec_b64 s[12:13], s[14:15]
	s_cbranch_execz .LBB54_33
; %bb.32:                               ;   in Loop: Header=BB54_7 Depth=2
	global_load_dwordx2 v[6:7], v[4:5], off offset:-128
.LBB54_33:                              ;   in Loop: Header=BB54_7 Depth=2
	s_or_b64 exec, exec, s[12:13]
	s_nor_b64 s[10:11], s[10:11], s[2:3]
	s_waitcnt vmcnt(0)
	ds_write_b64 v55, v[6:7]
	s_and_saveexec_b64 s[12:13], s[10:11]
	s_xor_b64 s[10:11], exec, s[12:13]
	s_cbranch_execz .LBB54_35
; %bb.34:                               ;   in Loop: Header=BB54_7 Depth=2
	global_load_dwordx2 v[4:5], v[4:5], off
	s_waitcnt vmcnt(0)
	ds_write_b64 v55, v[4:5] offset:128
.LBB54_35:                              ;   in Loop: Header=BB54_7 Depth=2
	s_andn2_saveexec_b64 s[10:11], s[10:11]
; %bb.36:                               ;   in Loop: Header=BB54_7 Depth=2
	v_mov_b32_e32 v21, v20
	ds_write_b64 v55, v[20:21] offset:128
; %bb.37:                               ;   in Loop: Header=BB54_7 Depth=2
	s_or_b64 exec, exec, s[10:11]
	v_cmp_le_i64_e64 s[10:11], s[56:57], v[2:3]
	v_add_co_u32_e64 v2, s[12:13], v34, v42
	v_mov_b32_e32 v4, 0
	v_addc_co_u32_e64 v3, s[12:13], v35, v43, s[12:13]
	v_mov_b32_e32 v5, 0
	s_nor_b64 s[14:15], s[10:11], s[0:1]
	s_and_saveexec_b64 s[12:13], s[14:15]
	s_cbranch_execz .LBB54_39
; %bb.38:                               ;   in Loop: Header=BB54_7 Depth=2
	global_load_dwordx2 v[4:5], v[2:3], off
.LBB54_39:                              ;   in Loop: Header=BB54_7 Depth=2
	s_or_b64 exec, exec, s[12:13]
	s_nor_b64 s[10:11], s[10:11], s[2:3]
	s_waitcnt vmcnt(0)
	ds_write_b64 v55, v[4:5] offset:4096
	s_and_saveexec_b64 s[12:13], s[10:11]
	s_xor_b64 s[10:11], exec, s[12:13]
	s_cbranch_execz .LBB54_41
; %bb.40:                               ;   in Loop: Header=BB54_7 Depth=2
	global_load_dwordx2 v[2:3], v[2:3], off offset:128
	s_waitcnt vmcnt(0)
	ds_write_b64 v55, v[2:3] offset:4224
.LBB54_41:                              ;   in Loop: Header=BB54_7 Depth=2
	s_andn2_saveexec_b64 s[10:11], s[10:11]
	s_cbranch_execz .LBB54_6
; %bb.42:                               ;   in Loop: Header=BB54_7 Depth=2
	v_mov_b32_e32 v21, v20
	ds_write_b64 v55, v[20:21] offset:4224
	s_branch .LBB54_6
.LBB54_43:                              ;   in Loop: Header=BB54_4 Depth=1
	v_mov_b32_e32 v50, 0
	v_mov_b32_e32 v48, 0
	;; [unrolled: 1-line block ×8, first 2 shown]
.LBB54_44:                              ;   in Loop: Header=BB54_4 Depth=1
	v_mul_lo_u32 v4, s53, v22
	v_mul_lo_u32 v5, s52, v23
	v_mad_u64_u32 v[2:3], s[8:9], s52, v22, 0
	v_cmp_gt_i32_e32 vcc, s38, v22
	v_add3_u32 v3, v3, v5, v4
	v_lshlrev_b64 v[2:3], 3, v[2:3]
	v_mov_b32_e32 v4, s62
	v_add_co_u32_e64 v2, s[8:9], s61, v2
	v_addc_co_u32_e64 v3, s[8:9], v4, v3, s[8:9]
	s_and_b64 s[8:9], s[4:5], vcc
	s_and_saveexec_b64 s[10:11], s[8:9]
	s_cbranch_execz .LBB54_46
; %bb.45:                               ;   in Loop: Header=BB54_4 Depth=1
	buffer_load_dword v4, off, s[64:67], 0 offset:8 ; 4-byte Folded Reload
	buffer_load_dword v5, off, s[64:67], 0 offset:12 ; 4-byte Folded Reload
	s_waitcnt vmcnt(1)
	v_add_co_u32_e64 v4, s[8:9], v2, v4
	s_waitcnt vmcnt(0)
	v_addc_co_u32_e64 v5, s[8:9], v3, v5, s[8:9]
	global_load_dwordx2 v[6:7], v[4:5], off
	s_waitcnt vmcnt(0)
	v_fma_f64 v[6:7], s[34:35], v[50:51], v[6:7]
	global_store_dwordx2 v[4:5], v[6:7], off
.LBB54_46:                              ;   in Loop: Header=BB54_4 Depth=1
	s_or_b64 exec, exec, s[10:11]
	s_and_b64 s[10:11], s[20:21], vcc
	s_and_saveexec_b64 s[8:9], s[10:11]
	s_cbranch_execz .LBB54_48
; %bb.47:                               ;   in Loop: Header=BB54_4 Depth=1
	buffer_load_dword v4, off, s[64:67], 0  ; 4-byte Folded Reload
	buffer_load_dword v5, off, s[64:67], 0 offset:4 ; 4-byte Folded Reload
	s_waitcnt vmcnt(0)
	v_lshlrev_b64 v[4:5], 3, v[4:5]
	v_add_co_u32_e32 v2, vcc, v2, v4
	v_addc_co_u32_e32 v3, vcc, v3, v5, vcc
	global_load_dwordx2 v[4:5], v[2:3], off
	s_waitcnt vmcnt(0)
	v_fma_f64 v[4:5], s[34:35], v[48:49], v[4:5]
	global_store_dwordx2 v[2:3], v[4:5], off
.LBB54_48:                              ;   in Loop: Header=BB54_4 Depth=1
	s_or_b64 exec, exec, s[8:9]
	v_add_u32_e32 v4, 16, v22
	v_ashrrev_i32_e32 v2, 31, v4
	v_mul_lo_u32 v5, s52, v2
	v_mul_lo_u32 v6, s53, v4
	v_mad_u64_u32 v[2:3], s[8:9], s52, v4, 0
	v_cmp_gt_i32_e32 vcc, s38, v4
	v_mov_b32_e32 v4, s62
	v_add3_u32 v3, v3, v5, v6
	v_lshlrev_b64 v[2:3], 3, v[2:3]
	v_add_co_u32_e64 v2, s[8:9], s61, v2
	v_addc_co_u32_e64 v3, s[8:9], v4, v3, s[8:9]
	s_and_b64 s[8:9], s[4:5], vcc
	s_and_saveexec_b64 s[10:11], s[8:9]
	s_cbranch_execz .LBB54_50
; %bb.49:                               ;   in Loop: Header=BB54_4 Depth=1
	buffer_load_dword v4, off, s[64:67], 0 offset:8 ; 4-byte Folded Reload
	buffer_load_dword v5, off, s[64:67], 0 offset:12 ; 4-byte Folded Reload
	s_waitcnt vmcnt(1)
	v_add_co_u32_e64 v4, s[8:9], v2, v4
	s_waitcnt vmcnt(0)
	v_addc_co_u32_e64 v5, s[8:9], v3, v5, s[8:9]
	global_load_dwordx2 v[6:7], v[4:5], off
	s_waitcnt vmcnt(0)
	v_fma_f64 v[6:7], s[34:35], v[46:47], v[6:7]
	global_store_dwordx2 v[4:5], v[6:7], off
.LBB54_50:                              ;   in Loop: Header=BB54_4 Depth=1
	s_or_b64 exec, exec, s[10:11]
	s_and_b64 s[10:11], s[20:21], vcc
	s_and_saveexec_b64 s[8:9], s[10:11]
	s_cbranch_execz .LBB54_3
; %bb.51:                               ;   in Loop: Header=BB54_4 Depth=1
	buffer_load_dword v4, off, s[64:67], 0  ; 4-byte Folded Reload
	buffer_load_dword v5, off, s[64:67], 0 offset:4 ; 4-byte Folded Reload
	s_waitcnt vmcnt(0)
	v_lshlrev_b64 v[4:5], 3, v[4:5]
	v_add_co_u32_e32 v2, vcc, v2, v4
	v_addc_co_u32_e32 v3, vcc, v3, v5, vcc
	global_load_dwordx2 v[4:5], v[2:3], off
	s_waitcnt vmcnt(0)
	v_fma_f64 v[4:5], s[34:35], v[44:45], v[4:5]
	global_store_dwordx2 v[2:3], v[4:5], off
	s_branch .LBB54_3
.LBB54_52:
	s_endpgm
	.section	.rodata,"a",@progbits
	.p2align	6, 0x0
	.amdhsa_kernel _ZL30rocblas_trmm_outofplace_kernelIdLi32ELi2ELb0ELb1ELb1ELb0EPKdS0_dEv17rocblas_diagonal_iiT6_lPT7_lllS5_lllPT8_llli
		.amdhsa_group_segment_fixed_size 16384
		.amdhsa_private_segment_fixed_size 28
		.amdhsa_kernarg_size 392
		.amdhsa_user_sgpr_count 6
		.amdhsa_user_sgpr_private_segment_buffer 1
		.amdhsa_user_sgpr_dispatch_ptr 0
		.amdhsa_user_sgpr_queue_ptr 0
		.amdhsa_user_sgpr_kernarg_segment_ptr 1
		.amdhsa_user_sgpr_dispatch_id 0
		.amdhsa_user_sgpr_flat_scratch_init 0
		.amdhsa_user_sgpr_private_segment_size 0
		.amdhsa_uses_dynamic_stack 0
		.amdhsa_system_sgpr_private_segment_wavefront_offset 1
		.amdhsa_system_sgpr_workgroup_id_x 1
		.amdhsa_system_sgpr_workgroup_id_y 1
		.amdhsa_system_sgpr_workgroup_id_z 1
		.amdhsa_system_sgpr_workgroup_info 0
		.amdhsa_system_vgpr_workitem_id 1
		.amdhsa_next_free_vgpr 64
		.amdhsa_next_free_sgpr 68
		.amdhsa_reserve_vcc 1
		.amdhsa_reserve_flat_scratch 0
		.amdhsa_float_round_mode_32 0
		.amdhsa_float_round_mode_16_64 0
		.amdhsa_float_denorm_mode_32 3
		.amdhsa_float_denorm_mode_16_64 3
		.amdhsa_dx10_clamp 1
		.amdhsa_ieee_mode 1
		.amdhsa_fp16_overflow 0
		.amdhsa_exception_fp_ieee_invalid_op 0
		.amdhsa_exception_fp_denorm_src 0
		.amdhsa_exception_fp_ieee_div_zero 0
		.amdhsa_exception_fp_ieee_overflow 0
		.amdhsa_exception_fp_ieee_underflow 0
		.amdhsa_exception_fp_ieee_inexact 0
		.amdhsa_exception_int_div_zero 0
	.end_amdhsa_kernel
	.section	.text._ZL30rocblas_trmm_outofplace_kernelIdLi32ELi2ELb0ELb1ELb1ELb0EPKdS0_dEv17rocblas_diagonal_iiT6_lPT7_lllS5_lllPT8_llli,"axG",@progbits,_ZL30rocblas_trmm_outofplace_kernelIdLi32ELi2ELb0ELb1ELb1ELb0EPKdS0_dEv17rocblas_diagonal_iiT6_lPT7_lllS5_lllPT8_llli,comdat
.Lfunc_end54:
	.size	_ZL30rocblas_trmm_outofplace_kernelIdLi32ELi2ELb0ELb1ELb1ELb0EPKdS0_dEv17rocblas_diagonal_iiT6_lPT7_lllS5_lllPT8_llli, .Lfunc_end54-_ZL30rocblas_trmm_outofplace_kernelIdLi32ELi2ELb0ELb1ELb1ELb0EPKdS0_dEv17rocblas_diagonal_iiT6_lPT7_lllS5_lllPT8_llli
                                        ; -- End function
	.set _ZL30rocblas_trmm_outofplace_kernelIdLi32ELi2ELb0ELb1ELb1ELb0EPKdS0_dEv17rocblas_diagonal_iiT6_lPT7_lllS5_lllPT8_llli.num_vgpr, 64
	.set _ZL30rocblas_trmm_outofplace_kernelIdLi32ELi2ELb0ELb1ELb1ELb0EPKdS0_dEv17rocblas_diagonal_iiT6_lPT7_lllS5_lllPT8_llli.num_agpr, 0
	.set _ZL30rocblas_trmm_outofplace_kernelIdLi32ELi2ELb0ELb1ELb1ELb0EPKdS0_dEv17rocblas_diagonal_iiT6_lPT7_lllS5_lllPT8_llli.numbered_sgpr, 68
	.set _ZL30rocblas_trmm_outofplace_kernelIdLi32ELi2ELb0ELb1ELb1ELb0EPKdS0_dEv17rocblas_diagonal_iiT6_lPT7_lllS5_lllPT8_llli.num_named_barrier, 0
	.set _ZL30rocblas_trmm_outofplace_kernelIdLi32ELi2ELb0ELb1ELb1ELb0EPKdS0_dEv17rocblas_diagonal_iiT6_lPT7_lllS5_lllPT8_llli.private_seg_size, 28
	.set _ZL30rocblas_trmm_outofplace_kernelIdLi32ELi2ELb0ELb1ELb1ELb0EPKdS0_dEv17rocblas_diagonal_iiT6_lPT7_lllS5_lllPT8_llli.uses_vcc, 1
	.set _ZL30rocblas_trmm_outofplace_kernelIdLi32ELi2ELb0ELb1ELb1ELb0EPKdS0_dEv17rocblas_diagonal_iiT6_lPT7_lllS5_lllPT8_llli.uses_flat_scratch, 0
	.set _ZL30rocblas_trmm_outofplace_kernelIdLi32ELi2ELb0ELb1ELb1ELb0EPKdS0_dEv17rocblas_diagonal_iiT6_lPT7_lllS5_lllPT8_llli.has_dyn_sized_stack, 0
	.set _ZL30rocblas_trmm_outofplace_kernelIdLi32ELi2ELb0ELb1ELb1ELb0EPKdS0_dEv17rocblas_diagonal_iiT6_lPT7_lllS5_lllPT8_llli.has_recursion, 0
	.set _ZL30rocblas_trmm_outofplace_kernelIdLi32ELi2ELb0ELb1ELb1ELb0EPKdS0_dEv17rocblas_diagonal_iiT6_lPT7_lllS5_lllPT8_llli.has_indirect_call, 0
	.section	.AMDGPU.csdata,"",@progbits
; Kernel info:
; codeLenInByte = 4012
; TotalNumSgprs: 72
; NumVgprs: 64
; ScratchSize: 28
; MemoryBound: 0
; FloatMode: 240
; IeeeMode: 1
; LDSByteSize: 16384 bytes/workgroup (compile time only)
; SGPRBlocks: 8
; VGPRBlocks: 15
; NumSGPRsForWavesPerEU: 72
; NumVGPRsForWavesPerEU: 64
; Occupancy: 4
; WaveLimiterHint : 0
; COMPUTE_PGM_RSRC2:SCRATCH_EN: 1
; COMPUTE_PGM_RSRC2:USER_SGPR: 6
; COMPUTE_PGM_RSRC2:TRAP_HANDLER: 0
; COMPUTE_PGM_RSRC2:TGID_X_EN: 1
; COMPUTE_PGM_RSRC2:TGID_Y_EN: 1
; COMPUTE_PGM_RSRC2:TGID_Z_EN: 1
; COMPUTE_PGM_RSRC2:TIDIG_COMP_CNT: 1
	.section	.text._ZL30rocblas_trmm_outofplace_kernelIdLi32ELi2ELb0ELb1ELb1ELb0EdKddEv17rocblas_diagonal_iiT6_lPT7_lllS4_lllPT8_llli,"axG",@progbits,_ZL30rocblas_trmm_outofplace_kernelIdLi32ELi2ELb0ELb1ELb1ELb0EdKddEv17rocblas_diagonal_iiT6_lPT7_lllS4_lllPT8_llli,comdat
	.globl	_ZL30rocblas_trmm_outofplace_kernelIdLi32ELi2ELb0ELb1ELb1ELb0EdKddEv17rocblas_diagonal_iiT6_lPT7_lllS4_lllPT8_llli ; -- Begin function _ZL30rocblas_trmm_outofplace_kernelIdLi32ELi2ELb0ELb1ELb1ELb0EdKddEv17rocblas_diagonal_iiT6_lPT7_lllS4_lllPT8_llli
	.p2align	8
	.type	_ZL30rocblas_trmm_outofplace_kernelIdLi32ELi2ELb0ELb1ELb1ELb0EdKddEv17rocblas_diagonal_iiT6_lPT7_lllS4_lllPT8_llli,@function
_ZL30rocblas_trmm_outofplace_kernelIdLi32ELi2ELb0ELb1ELb1ELb0EdKddEv17rocblas_diagonal_iiT6_lPT7_lllS4_lllPT8_llli: ; @_ZL30rocblas_trmm_outofplace_kernelIdLi32ELi2ELb0ELb1ELb1ELb0EdKddEv17rocblas_diagonal_iiT6_lPT7_lllS4_lllPT8_llli
; %bb.0:
	s_load_dwordx2 s[34:35], s[4:5], 0x10
	s_mov_b64 s[66:67], s[2:3]
	s_mov_b64 s[64:65], s[0:1]
	s_add_u32 s64, s64, s9
	s_addc_u32 s65, s65, 0
	s_waitcnt lgkmcnt(0)
	v_cmp_eq_f64_e64 s[0:1], s[34:35], 0
	s_and_b64 vcc, exec, s[0:1]
	s_cbranch_vccnz .LBB55_52
; %bb.1:
	s_load_dwordx4 s[28:31], s[4:5], 0x0
	s_waitcnt lgkmcnt(0)
	s_add_i32 s0, s30, -1
	s_ashr_i32 s1, s0, 31
	s_lshr_b32 s1, s1, 27
	s_add_i32 s0, s0, s1
	s_ashr_i32 s33, s0, 5
	s_cmp_gt_i32 s7, s33
	s_cbranch_scc1 .LBB55_52
; %bb.2:
	s_load_dwordx8 s[20:27], s[4:5], 0x60
	s_load_dwordx16 s[36:51], s[4:5], 0x20
	v_lshl_add_u32 v2, s6, 5, v0
	s_load_dword s6, s[4:5], 0x8c
	v_ashrrev_i32_e32 v3, 31, v2
	s_waitcnt lgkmcnt(0)
	s_mul_i32 s1, s27, s8
	s_mul_hi_u32 s2, s26, s8
	s_mul_i32 s0, s26, s8
	s_add_i32 s1, s2, s1
	s_lshl_b64 s[0:1], s[0:1], 3
	s_add_u32 s2, s20, s0
	s_addc_u32 s3, s21, s1
	s_lshl_b64 s[0:1], s[22:23], 3
	s_add_u32 s60, s2, s0
	s_addc_u32 s61, s3, s1
	s_cmpk_eq_i32 s28, 0x84
	s_cselect_b64 s[26:27], -1, 0
	s_ashr_i32 s31, s30, 31
	s_ashr_i32 s0, s29, 31
	s_lshl_b64 s[52:53], s[40:41], 8
	s_lshl_b64 s[54:55], s[48:49], 8
	v_mov_b32_e32 v5, s0
	v_sub_co_u32_e32 v4, vcc, s29, v2
	s_add_u32 s56, s30, -16
	v_subb_co_u32_e32 v5, vcc, v5, v3, vcc
	s_addc_u32 s57, s31, -1
	s_lshl_b32 s9, s7, 5
	s_lshl_b32 s62, s6, 5
	v_cmp_gt_i64_e64 s[0:1], 1, v[4:5]
	v_cmp_gt_i64_e64 s[2:3], 17, v[4:5]
	v_add_u32_e32 v4, 16, v2
	v_add_u32_e32 v12, s9, v0
	;; [unrolled: 1-line block ×3, first 2 shown]
	s_add_u32 s28, s44, 0x80
	s_mul_i32 s9, s51, s8
	s_mul_hi_u32 s10, s50, s8
	v_cmp_gt_i32_e64 s[4:5], s29, v2
	v_cmp_gt_i32_e64 s[20:21], s29, v4
	s_addc_u32 s29, s45, 0
	s_add_i32 s11, s10, s9
	s_mul_i32 s10, s50, s8
	v_ashrrev_i32_e32 v5, 31, v4
	s_lshl_b64 s[58:59], s[48:49], 3
	s_lshl_b64 s[10:11], s[10:11], 3
	;; [unrolled: 1-line block ×3, first 2 shown]
	v_lshlrev_b64 v[2:3], 3, v[2:3]
	buffer_store_dword v4, off, s[64:67], 0 ; 4-byte Folded Spill
	s_nop 0
	buffer_store_dword v5, off, s[64:67], 0 offset:4 ; 4-byte Folded Spill
	s_add_u32 s9, s10, s12
	v_add_co_u32_e32 v4, vcc, s9, v2
	buffer_store_dword v2, off, s[64:67], 0 offset:8 ; 4-byte Folded Spill
	s_nop 0
	buffer_store_dword v3, off, s[64:67], 0 offset:12 ; 4-byte Folded Spill
	s_addc_u32 s10, s11, s13
	v_lshlrev_b32_e32 v6, 3, v0
	v_mov_b32_e32 v0, s10
	s_mul_i32 s9, s43, s8
	s_mul_hi_u32 s10, s42, s8
	s_add_i32 s9, s10, s9
	s_mul_i32 s8, s42, s8
	s_lshl_b64 s[8:9], s[8:9], 3
	s_lshl_b64 s[10:11], s[38:39], 3
	s_add_u32 s8, s8, s10
	s_addc_u32 s9, s9, s11
	v_lshlrev_b32_e32 v52, 8, v1
	v_or_b32_e32 v54, 0x2000, v6
	s_add_u32 s36, s36, s8
	v_add_u32_e32 v53, v52, v6
	v_add_u32_e32 v55, v54, v52
	s_addc_u32 s37, s37, s9
	s_lshl_b64 s[38:39], s[40:41], 3
	v_mov_b32_e32 v20, 0
	s_movk_i32 s50, 0x80
	v_addc_co_u32_e32 v5, vcc, v0, v3, vcc
	v_mov_b32_e32 v0, 0x3ff00000
	buffer_store_dword v4, off, s[64:67], 0 offset:16 ; 4-byte Folded Spill
	s_nop 0
	buffer_store_dword v5, off, s[64:67], 0 offset:20 ; 4-byte Folded Spill
	s_branch .LBB55_4
.LBB55_3:                               ;   in Loop: Header=BB55_4 Depth=1
	s_or_b64 exec, exec, s[8:9]
	s_add_i32 s7, s6, s7
	v_add_u32_e32 v12, s62, v12
	s_cmp_le_i32 s7, s33
	v_add_u32_e32 v14, s62, v14
	s_cbranch_scc0 .LBB55_52
.LBB55_4:                               ; =>This Loop Header: Depth=1
                                        ;     Child Loop BB55_7 Depth 2
	s_lshl_b32 s8, s7, 5
	v_add_u32_e32 v22, s8, v1
	s_sub_i32 s51, s30, s8
	v_ashrrev_i32_e32 v13, 31, v12
	v_ashrrev_i32_e32 v15, 31, v14
	s_cmp_lt_i32 s51, 1
	v_ashrrev_i32_e32 v23, 31, v22
	s_cbranch_scc1 .LBB55_43
; %bb.5:                                ;   in Loop: Header=BB55_4 Depth=1
	buffer_load_dword v42, off, s[64:67], 0 offset:16 ; 4-byte Folded Reload
	buffer_load_dword v43, off, s[64:67], 0 offset:20 ; 4-byte Folded Reload
	v_mov_b32_e32 v2, s28
	v_mov_b32_e32 v3, s29
	v_sub_co_u32_e32 v24, vcc, v14, v12
	v_mad_u64_u32 v[26:27], s[8:9], s58, v14, v[2:3]
	v_lshlrev_b64 v[2:3], 3, v[12:13]
	v_subb_co_u32_e32 v25, vcc, v15, v13, vcc
	v_add_co_u32_e32 v6, vcc, 0x80, v2
	v_lshlrev_b64 v[28:29], 3, v[14:15]
	v_addc_co_u32_e32 v2, vcc, 0, v3, vcc
	v_mul_lo_u32 v7, s40, v2
	v_mov_b32_e32 v2, s36
	v_mov_b32_e32 v3, s37
	v_add_co_u32_e32 v10, vcc, s50, v28
	v_mad_u64_u32 v[30:31], s[8:9], s40, v6, v[2:3]
	v_mad_u64_u32 v[32:33], s[8:9], s38, v12, v[2:3]
	v_addc_co_u32_e32 v2, vcc, 0, v29, vcc
	v_mul_lo_u32 v11, s48, v2
	v_mov_b32_e32 v2, s44
	v_mov_b32_e32 v3, s45
	v_mul_lo_u32 v4, s58, v15
	v_mul_lo_u32 v5, s59, v14
	;; [unrolled: 1-line block ×5, first 2 shown]
	v_mad_u64_u32 v[34:35], s[8:9], s48, v10, v[2:3]
	v_mul_lo_u32 v2, s49, v10
	v_add_co_u32_e64 v36, s[8:9], 16, v22
	v_add_co_u32_e64 v38, s[10:11], 16, v24
	v_addc_co_u32_e64 v37, s[8:9], 0, v23, s[8:9]
	v_addc_co_u32_e64 v39, s[10:11], 0, v25, s[10:11]
	v_cmp_le_i64_e64 s[8:9], s[30:31], v[36:37]
	v_add_co_u32_e64 v40, s[10:11], -16, v24
	v_mov_b32_e32 v44, 0
	v_mov_b32_e32 v46, 0
	;; [unrolled: 1-line block ×4, first 2 shown]
	v_add3_u32 v27, v5, v27, v4
	v_add3_u32 v31, v8, v31, v7
	;; [unrolled: 1-line block ×4, first 2 shown]
	v_cmp_le_i32_e32 vcc, s30, v22
	v_addc_co_u32_e64 v41, s[10:11], -1, v25, s[10:11]
	v_mov_b32_e32 v45, 0
	s_mov_b64 s[42:43], 0
	v_mov_b32_e32 v47, 0
	v_mov_b32_e32 v49, 0
	;; [unrolled: 1-line block ×3, first 2 shown]
	s_branch .LBB55_7
.LBB55_6:                               ;   in Loop: Header=BB55_7 Depth=2
	s_or_b64 exec, exec, s[10:11]
	s_waitcnt lgkmcnt(0)
	s_barrier
	ds_read_b128 v[56:59], v52
	ds_read_b128 v[60:63], v52 offset:16
	ds_read_b128 v[6:9], v52 offset:32
	;; [unrolled: 1-line block ×3, first 2 shown]
	ds_read2_b64 v[16:19], v54 offset1:16
	v_add_co_u32_e64 v42, s[10:11], s54, v42
	s_add_u32 s42, s42, 32
	s_addc_u32 s43, s43, 0
	s_waitcnt lgkmcnt(0)
	v_fma_f64 v[10:11], v[16:17], v[56:57], v[50:51]
	v_fma_f64 v[56:57], v[18:19], v[56:57], v[48:49]
	ds_read_b128 v[48:51], v52 offset:4096
	s_cmp_ge_i32 s42, s51
	s_waitcnt lgkmcnt(0)
	v_fma_f64 v[46:47], v[16:17], v[48:49], v[46:47]
	v_fma_f64 v[44:45], v[18:19], v[48:49], v[44:45]
	ds_read2_b64 v[16:19], v54 offset0:32 offset1:48
	s_waitcnt lgkmcnt(0)
	v_fma_f64 v[10:11], v[16:17], v[58:59], v[10:11]
	v_fma_f64 v[48:49], v[18:19], v[58:59], v[56:57]
	v_fma_f64 v[56:57], v[16:17], v[50:51], v[46:47]
	v_fma_f64 v[50:51], v[18:19], v[50:51], v[44:45]
	ds_read2_b64 v[16:19], v54 offset0:64 offset1:80
	ds_read_b128 v[44:47], v52 offset:4112
	s_waitcnt lgkmcnt(1)
	v_fma_f64 v[10:11], v[16:17], v[60:61], v[10:11]
	v_fma_f64 v[48:49], v[18:19], v[60:61], v[48:49]
	s_waitcnt lgkmcnt(0)
	v_fma_f64 v[56:57], v[16:17], v[44:45], v[56:57]
	v_fma_f64 v[44:45], v[18:19], v[44:45], v[50:51]
	ds_read2_b64 v[16:19], v54 offset0:96 offset1:112
	s_waitcnt lgkmcnt(0)
	v_fma_f64 v[10:11], v[16:17], v[62:63], v[10:11]
	v_fma_f64 v[48:49], v[18:19], v[62:63], v[48:49]
	v_fma_f64 v[50:51], v[16:17], v[46:47], v[56:57]
	v_fma_f64 v[56:57], v[18:19], v[46:47], v[44:45]
	ds_read2_b64 v[16:19], v54 offset0:128 offset1:144
	ds_read_b128 v[44:47], v52 offset:4128
	s_waitcnt lgkmcnt(1)
	v_fma_f64 v[10:11], v[16:17], v[6:7], v[10:11]
	v_fma_f64 v[6:7], v[18:19], v[6:7], v[48:49]
	;; [unrolled: 14-line block ×3, first 2 shown]
	s_waitcnt lgkmcnt(0)
	v_fma_f64 v[46:47], v[6:7], v[16:17], v[48:49]
	v_fma_f64 v[16:17], v[8:9], v[16:17], v[44:45]
	ds_read2_b64 v[6:9], v54 offset0:224 offset1:240
	s_waitcnt lgkmcnt(0)
	v_fma_f64 v[10:11], v[6:7], v[4:5], v[10:11]
	v_fma_f64 v[44:45], v[8:9], v[4:5], v[2:3]
	v_add_u32_e32 v2, 0x800, v54
	v_fma_f64 v[48:49], v[6:7], v[18:19], v[46:47]
	v_fma_f64 v[7:8], v[8:9], v[18:19], v[16:17]
	ds_read_b128 v[3:6], v52 offset:64
	ds_read2_b64 v[16:19], v2 offset1:16
	s_waitcnt lgkmcnt(0)
	v_fma_f64 v[9:10], v[16:17], v[3:4], v[10:11]
	v_fma_f64 v[3:4], v[18:19], v[3:4], v[44:45]
	ds_read_b128 v[44:47], v52 offset:4160
	s_waitcnt lgkmcnt(0)
	v_fma_f64 v[48:49], v[16:17], v[44:45], v[48:49]
	v_fma_f64 v[7:8], v[18:19], v[44:45], v[7:8]
	ds_read2_b64 v[16:19], v2 offset0:32 offset1:48
	s_waitcnt lgkmcnt(0)
	v_fma_f64 v[9:10], v[16:17], v[5:6], v[9:10]
	v_fma_f64 v[44:45], v[18:19], v[5:6], v[3:4]
	v_fma_f64 v[48:49], v[16:17], v[46:47], v[48:49]
	v_fma_f64 v[7:8], v[18:19], v[46:47], v[7:8]
	ds_read_b128 v[3:6], v52 offset:80
	ds_read2_b64 v[16:19], v2 offset0:64 offset1:80
	s_waitcnt lgkmcnt(0)
	v_fma_f64 v[9:10], v[16:17], v[3:4], v[9:10]
	v_fma_f64 v[3:4], v[18:19], v[3:4], v[44:45]
	ds_read_b128 v[44:47], v52 offset:4176
	s_waitcnt lgkmcnt(0)
	v_fma_f64 v[48:49], v[16:17], v[44:45], v[48:49]
	v_fma_f64 v[7:8], v[18:19], v[44:45], v[7:8]
	ds_read2_b64 v[16:19], v2 offset0:96 offset1:112
	s_waitcnt lgkmcnt(0)
	v_fma_f64 v[9:10], v[16:17], v[5:6], v[9:10]
	v_fma_f64 v[44:45], v[18:19], v[5:6], v[3:4]
	v_fma_f64 v[48:49], v[16:17], v[46:47], v[48:49]
	v_fma_f64 v[7:8], v[18:19], v[46:47], v[7:8]
	ds_read_b128 v[3:6], v52 offset:96
	ds_read2_b64 v[16:19], v2 offset0:128 offset1:144
	;; [unrolled: 15-line block ×3, first 2 shown]
	s_waitcnt lgkmcnt(0)
	v_fma_f64 v[9:10], v[16:17], v[3:4], v[9:10]
	v_fma_f64 v[3:4], v[18:19], v[3:4], v[44:45]
	ds_read_b128 v[44:47], v52 offset:4208
	s_waitcnt lgkmcnt(0)
	v_fma_f64 v[48:49], v[16:17], v[44:45], v[48:49]
	v_fma_f64 v[7:8], v[18:19], v[44:45], v[7:8]
	ds_read2_b64 v[16:19], v2 offset0:224 offset1:240
	v_add_u32_e32 v2, 0x1000, v54
	s_waitcnt lgkmcnt(0)
	v_fma_f64 v[9:10], v[16:17], v[5:6], v[9:10]
	v_fma_f64 v[44:45], v[18:19], v[5:6], v[3:4]
	;; [unrolled: 1-line block ×4, first 2 shown]
	ds_read_b128 v[3:6], v52 offset:128
	ds_read2_b64 v[16:19], v2 offset1:16
	s_waitcnt lgkmcnt(0)
	v_fma_f64 v[9:10], v[16:17], v[3:4], v[9:10]
	v_fma_f64 v[3:4], v[18:19], v[3:4], v[44:45]
	ds_read_b128 v[44:47], v52 offset:4224
	s_waitcnt lgkmcnt(0)
	v_fma_f64 v[48:49], v[16:17], v[44:45], v[48:49]
	v_fma_f64 v[7:8], v[18:19], v[44:45], v[7:8]
	ds_read2_b64 v[16:19], v2 offset0:32 offset1:48
	s_waitcnt lgkmcnt(0)
	v_fma_f64 v[9:10], v[16:17], v[5:6], v[9:10]
	v_fma_f64 v[44:45], v[18:19], v[5:6], v[3:4]
	v_fma_f64 v[48:49], v[16:17], v[46:47], v[48:49]
	v_fma_f64 v[7:8], v[18:19], v[46:47], v[7:8]
	ds_read_b128 v[3:6], v52 offset:144
	ds_read2_b64 v[16:19], v2 offset0:64 offset1:80
	s_waitcnt lgkmcnt(0)
	v_fma_f64 v[9:10], v[16:17], v[3:4], v[9:10]
	v_fma_f64 v[3:4], v[18:19], v[3:4], v[44:45]
	ds_read_b128 v[44:47], v52 offset:4240
	s_waitcnt lgkmcnt(0)
	v_fma_f64 v[48:49], v[16:17], v[44:45], v[48:49]
	v_fma_f64 v[7:8], v[18:19], v[44:45], v[7:8]
	ds_read2_b64 v[16:19], v2 offset0:96 offset1:112
	s_waitcnt lgkmcnt(0)
	v_fma_f64 v[9:10], v[16:17], v[5:6], v[9:10]
	v_fma_f64 v[44:45], v[18:19], v[5:6], v[3:4]
	v_fma_f64 v[48:49], v[16:17], v[46:47], v[48:49]
	v_fma_f64 v[7:8], v[18:19], v[46:47], v[7:8]
	ds_read_b128 v[3:6], v52 offset:160
	ds_read2_b64 v[16:19], v2 offset0:128 offset1:144
	;; [unrolled: 15-line block ×3, first 2 shown]
	s_waitcnt lgkmcnt(0)
	v_fma_f64 v[9:10], v[16:17], v[3:4], v[9:10]
	v_fma_f64 v[3:4], v[18:19], v[3:4], v[44:45]
	ds_read_b128 v[44:47], v52 offset:4272
	s_waitcnt lgkmcnt(0)
	v_fma_f64 v[48:49], v[16:17], v[44:45], v[48:49]
	v_fma_f64 v[7:8], v[18:19], v[44:45], v[7:8]
	ds_read2_b64 v[16:19], v2 offset0:224 offset1:240
	v_add_u32_e32 v2, 0x1800, v54
	s_waitcnt lgkmcnt(0)
	v_fma_f64 v[9:10], v[16:17], v[5:6], v[9:10]
	v_fma_f64 v[44:45], v[18:19], v[5:6], v[3:4]
	v_fma_f64 v[48:49], v[16:17], v[46:47], v[48:49]
	v_fma_f64 v[7:8], v[18:19], v[46:47], v[7:8]
	ds_read_b128 v[3:6], v52 offset:192
	ds_read2_b64 v[16:19], v2 offset1:16
	s_waitcnt lgkmcnt(0)
	v_fma_f64 v[9:10], v[16:17], v[3:4], v[9:10]
	v_fma_f64 v[3:4], v[18:19], v[3:4], v[44:45]
	ds_read_b128 v[44:47], v52 offset:4288
	s_waitcnt lgkmcnt(0)
	v_fma_f64 v[48:49], v[16:17], v[44:45], v[48:49]
	v_fma_f64 v[7:8], v[18:19], v[44:45], v[7:8]
	ds_read2_b64 v[16:19], v2 offset0:32 offset1:48
	s_waitcnt lgkmcnt(0)
	v_fma_f64 v[9:10], v[16:17], v[5:6], v[9:10]
	v_fma_f64 v[44:45], v[18:19], v[5:6], v[3:4]
	v_fma_f64 v[48:49], v[16:17], v[46:47], v[48:49]
	v_fma_f64 v[7:8], v[18:19], v[46:47], v[7:8]
	ds_read_b128 v[3:6], v52 offset:208
	ds_read2_b64 v[16:19], v2 offset0:64 offset1:80
	s_waitcnt lgkmcnt(0)
	v_fma_f64 v[9:10], v[16:17], v[3:4], v[9:10]
	v_fma_f64 v[3:4], v[18:19], v[3:4], v[44:45]
	ds_read_b128 v[44:47], v52 offset:4304
	s_waitcnt lgkmcnt(0)
	v_fma_f64 v[48:49], v[16:17], v[44:45], v[48:49]
	v_fma_f64 v[7:8], v[18:19], v[44:45], v[7:8]
	ds_read2_b64 v[16:19], v2 offset0:96 offset1:112
	s_waitcnt lgkmcnt(0)
	v_fma_f64 v[9:10], v[16:17], v[5:6], v[9:10]
	v_fma_f64 v[44:45], v[18:19], v[5:6], v[3:4]
	v_fma_f64 v[48:49], v[16:17], v[46:47], v[48:49]
	v_fma_f64 v[7:8], v[18:19], v[46:47], v[7:8]
	ds_read_b128 v[3:6], v52 offset:224
	ds_read2_b64 v[16:19], v2 offset0:128 offset1:144
	;; [unrolled: 15-line block ×3, first 2 shown]
	ds_read_b128 v[56:59], v52 offset:4336
	s_waitcnt lgkmcnt(1)
	v_fma_f64 v[9:10], v[16:17], v[3:4], v[9:10]
	v_fma_f64 v[3:4], v[18:19], v[3:4], v[44:45]
	s_waitcnt lgkmcnt(0)
	v_fma_f64 v[44:45], v[16:17], v[56:57], v[48:49]
	v_fma_f64 v[7:8], v[18:19], v[56:57], v[7:8]
	ds_read2_b64 v[16:19], v2 offset0:224 offset1:240
	v_mov_b32_e32 v2, s55
	v_addc_co_u32_e64 v43, s[10:11], v43, v2, s[10:11]
	v_add_co_u32_e64 v30, s[10:11], s52, v30
	s_waitcnt lgkmcnt(0)
	v_fma_f64 v[50:51], v[16:17], v[5:6], v[9:10]
	v_fma_f64 v[48:49], v[18:19], v[5:6], v[3:4]
	;; [unrolled: 1-line block ×4, first 2 shown]
	v_mov_b32_e32 v2, s53
	v_addc_co_u32_e64 v31, s[10:11], v31, v2, s[10:11]
	v_add_co_u32_e64 v32, s[10:11], s52, v32
	v_addc_co_u32_e64 v33, s[10:11], v33, v2, s[10:11]
	s_barrier
	s_cbranch_scc1 .LBB55_44
.LBB55_7:                               ;   Parent Loop BB55_4 Depth=1
                                        ; =>  This Inner Loop Header: Depth=2
	v_mov_b32_e32 v2, s43
	v_add_co_u32_e64 v4, s[10:11], s42, v12
	v_addc_co_u32_e64 v5, s[10:11], v13, v2, s[10:11]
	v_add_co_u32_e64 v2, s[12:13], v32, v28
	v_addc_co_u32_e64 v3, s[12:13], v33, v29, s[12:13]
	v_cmp_lt_i64_e64 s[12:13], v[4:5], v[22:23]
	v_cmp_eq_u64_e64 s[10:11], s[42:43], v[24:25]
	v_cmp_le_i64_e64 s[14:15], s[30:31], v[4:5]
	s_or_b64 s[16:17], vcc, s[12:13]
	s_and_b64 s[10:11], s[26:27], s[10:11]
	s_or_b64 s[16:17], s[14:15], s[16:17]
	s_nor_b64 s[16:17], s[16:17], s[10:11]
                                        ; implicit-def: $vgpr6_vgpr7
	s_and_saveexec_b64 s[18:19], s[16:17]
	s_xor_b64 s[16:17], exec, s[18:19]
	s_cbranch_execz .LBB55_9
; %bb.8:                                ;   in Loop: Header=BB55_7 Depth=2
	global_load_dwordx2 v[6:7], v[2:3], off
.LBB55_9:                               ;   in Loop: Header=BB55_7 Depth=2
	s_andn2_saveexec_b64 s[16:17], s[16:17]
	s_cbranch_execz .LBB55_11
; %bb.10:                               ;   in Loop: Header=BB55_7 Depth=2
	v_cndmask_b32_e64 v21, 0, v0, s[10:11]
	s_waitcnt vmcnt(0)
	v_mov_b32_e32 v6, v20
	v_mov_b32_e32 v7, v21
.LBB55_11:                              ;   in Loop: Header=BB55_7 Depth=2
	s_or_b64 exec, exec, s[16:17]
	s_waitcnt vmcnt(0)
	ds_write_b64 v53, v[6:7]
	v_add_co_u32_e64 v6, s[18:19], 16, v4
	v_cmp_eq_u64_e64 s[16:17], s[42:43], v[40:41]
	v_addc_co_u32_e64 v7, s[18:19], 0, v5, s[18:19]
	v_cmp_lt_i64_e64 s[18:19], v[6:7], v[22:23]
	s_and_b64 s[22:23], s[26:27], s[16:17]
	v_cmp_le_i64_e64 s[16:17], s[30:31], v[6:7]
	s_or_b64 s[18:19], vcc, s[18:19]
	s_or_b64 s[18:19], s[16:17], s[18:19]
	s_nor_b64 s[18:19], s[18:19], s[22:23]
	s_and_saveexec_b64 s[46:47], s[18:19]
	s_xor_b64 s[46:47], exec, s[46:47]
	s_cbranch_execz .LBB55_13
; %bb.12:                               ;   in Loop: Header=BB55_7 Depth=2
	v_add_co_u32_e64 v6, s[18:19], v30, v28
	v_addc_co_u32_e64 v7, s[18:19], v31, v29, s[18:19]
	global_load_dwordx2 v[6:7], v[6:7], off
	s_waitcnt vmcnt(0)
	ds_write_b64 v53, v[6:7] offset:128
.LBB55_13:                              ;   in Loop: Header=BB55_7 Depth=2
	s_andn2_saveexec_b64 s[18:19], s[46:47]
	s_cbranch_execz .LBB55_19
; %bb.14:                               ;   in Loop: Header=BB55_7 Depth=2
	s_xor_b64 s[22:23], s[22:23], -1
	s_and_saveexec_b64 s[46:47], s[22:23]
	s_xor_b64 s[22:23], exec, s[46:47]
; %bb.15:                               ;   in Loop: Header=BB55_7 Depth=2
	v_mov_b32_e32 v21, v20
	ds_write_b64 v53, v[20:21] offset:128
; %bb.16:                               ;   in Loop: Header=BB55_7 Depth=2
	s_andn2_saveexec_b64 s[22:23], s[22:23]
; %bb.17:                               ;   in Loop: Header=BB55_7 Depth=2
	v_mov_b32_e32 v21, v0
	ds_write_b64 v53, v[20:21] offset:128
; %bb.18:                               ;   in Loop: Header=BB55_7 Depth=2
	s_or_b64 exec, exec, s[22:23]
.LBB55_19:                              ;   in Loop: Header=BB55_7 Depth=2
	s_or_b64 exec, exec, s[18:19]
	v_cmp_eq_u64_e64 s[18:19], s[42:43], v[38:39]
	v_cmp_lt_i64_e64 s[22:23], v[4:5], v[36:37]
	s_and_b64 s[18:19], s[26:27], s[18:19]
	s_or_b64 s[22:23], s[8:9], s[22:23]
	s_or_b64 s[22:23], s[22:23], s[18:19]
	s_nor_b64 s[14:15], s[14:15], s[22:23]
                                        ; implicit-def: $vgpr4_vgpr5
	s_and_saveexec_b64 s[22:23], s[14:15]
	s_xor_b64 s[14:15], exec, s[22:23]
	s_cbranch_execz .LBB55_21
; %bb.20:                               ;   in Loop: Header=BB55_7 Depth=2
	global_load_dwordx2 v[4:5], v[2:3], off offset:128
.LBB55_21:                              ;   in Loop: Header=BB55_7 Depth=2
	s_andn2_saveexec_b64 s[14:15], s[14:15]
	s_cbranch_execz .LBB55_23
; %bb.22:                               ;   in Loop: Header=BB55_7 Depth=2
	v_cndmask_b32_e64 v21, 0, v0, s[18:19]
	s_waitcnt vmcnt(0)
	v_mov_b32_e32 v4, v20
	v_mov_b32_e32 v5, v21
.LBB55_23:                              ;   in Loop: Header=BB55_7 Depth=2
	s_or_b64 exec, exec, s[14:15]
	s_or_b64 s[12:13], s[8:9], s[12:13]
	s_or_b64 s[12:13], s[16:17], s[12:13]
	s_nor_b64 s[12:13], s[12:13], s[10:11]
	s_waitcnt vmcnt(0)
	ds_write_b64 v53, v[4:5] offset:4096
	s_and_saveexec_b64 s[14:15], s[12:13]
	s_xor_b64 s[14:15], exec, s[14:15]
	s_cbranch_execz .LBB55_25
; %bb.24:                               ;   in Loop: Header=BB55_7 Depth=2
	v_add_co_u32_e64 v2, s[12:13], v30, v28
	v_addc_co_u32_e64 v3, s[12:13], v31, v29, s[12:13]
	global_load_dwordx2 v[2:3], v[2:3], off offset:128
	s_waitcnt vmcnt(0)
	ds_write_b64 v53, v[2:3] offset:4224
.LBB55_25:                              ;   in Loop: Header=BB55_7 Depth=2
	s_andn2_saveexec_b64 s[12:13], s[14:15]
	s_cbranch_execz .LBB55_31
; %bb.26:                               ;   in Loop: Header=BB55_7 Depth=2
	s_xor_b64 s[10:11], s[10:11], -1
	s_and_saveexec_b64 s[14:15], s[10:11]
	s_xor_b64 s[10:11], exec, s[14:15]
; %bb.27:                               ;   in Loop: Header=BB55_7 Depth=2
	v_mov_b32_e32 v21, v20
	ds_write_b64 v53, v[20:21] offset:4224
; %bb.28:                               ;   in Loop: Header=BB55_7 Depth=2
	s_andn2_saveexec_b64 s[10:11], s[10:11]
; %bb.29:                               ;   in Loop: Header=BB55_7 Depth=2
	v_mov_b32_e32 v21, v0
	ds_write_b64 v53, v[20:21] offset:4224
; %bb.30:                               ;   in Loop: Header=BB55_7 Depth=2
	s_or_b64 exec, exec, s[10:11]
.LBB55_31:                              ;   in Loop: Header=BB55_7 Depth=2
	s_or_b64 exec, exec, s[12:13]
	v_mov_b32_e32 v3, s43
	v_add_co_u32_e64 v2, s[10:11], s42, v14
	v_addc_co_u32_e64 v3, s[10:11], v15, v3, s[10:11]
	v_add_co_u32_e64 v4, s[10:11], v26, v42
	v_addc_co_u32_e64 v5, s[10:11], v27, v43, s[10:11]
	v_cmp_le_i64_e64 s[10:11], s[30:31], v[2:3]
	v_mov_b32_e32 v6, 0
	v_mov_b32_e32 v7, 0
	s_nor_b64 s[14:15], s[10:11], s[0:1]
	s_and_saveexec_b64 s[12:13], s[14:15]
	s_cbranch_execz .LBB55_33
; %bb.32:                               ;   in Loop: Header=BB55_7 Depth=2
	global_load_dwordx2 v[6:7], v[4:5], off offset:-128
.LBB55_33:                              ;   in Loop: Header=BB55_7 Depth=2
	s_or_b64 exec, exec, s[12:13]
	s_nor_b64 s[10:11], s[10:11], s[2:3]
	s_waitcnt vmcnt(0)
	ds_write_b64 v55, v[6:7]
	s_and_saveexec_b64 s[12:13], s[10:11]
	s_xor_b64 s[10:11], exec, s[12:13]
	s_cbranch_execz .LBB55_35
; %bb.34:                               ;   in Loop: Header=BB55_7 Depth=2
	global_load_dwordx2 v[4:5], v[4:5], off
	s_waitcnt vmcnt(0)
	ds_write_b64 v55, v[4:5] offset:128
.LBB55_35:                              ;   in Loop: Header=BB55_7 Depth=2
	s_andn2_saveexec_b64 s[10:11], s[10:11]
; %bb.36:                               ;   in Loop: Header=BB55_7 Depth=2
	v_mov_b32_e32 v21, v20
	ds_write_b64 v55, v[20:21] offset:128
; %bb.37:                               ;   in Loop: Header=BB55_7 Depth=2
	s_or_b64 exec, exec, s[10:11]
	v_cmp_le_i64_e64 s[10:11], s[56:57], v[2:3]
	v_add_co_u32_e64 v2, s[12:13], v34, v42
	v_mov_b32_e32 v4, 0
	v_addc_co_u32_e64 v3, s[12:13], v35, v43, s[12:13]
	v_mov_b32_e32 v5, 0
	s_nor_b64 s[14:15], s[10:11], s[0:1]
	s_and_saveexec_b64 s[12:13], s[14:15]
	s_cbranch_execz .LBB55_39
; %bb.38:                               ;   in Loop: Header=BB55_7 Depth=2
	global_load_dwordx2 v[4:5], v[2:3], off
.LBB55_39:                              ;   in Loop: Header=BB55_7 Depth=2
	s_or_b64 exec, exec, s[12:13]
	s_nor_b64 s[10:11], s[10:11], s[2:3]
	s_waitcnt vmcnt(0)
	ds_write_b64 v55, v[4:5] offset:4096
	s_and_saveexec_b64 s[12:13], s[10:11]
	s_xor_b64 s[10:11], exec, s[12:13]
	s_cbranch_execz .LBB55_41
; %bb.40:                               ;   in Loop: Header=BB55_7 Depth=2
	global_load_dwordx2 v[2:3], v[2:3], off offset:128
	s_waitcnt vmcnt(0)
	ds_write_b64 v55, v[2:3] offset:4224
.LBB55_41:                              ;   in Loop: Header=BB55_7 Depth=2
	s_andn2_saveexec_b64 s[10:11], s[10:11]
	s_cbranch_execz .LBB55_6
; %bb.42:                               ;   in Loop: Header=BB55_7 Depth=2
	v_mov_b32_e32 v21, v20
	ds_write_b64 v55, v[20:21] offset:4224
	s_branch .LBB55_6
.LBB55_43:                              ;   in Loop: Header=BB55_4 Depth=1
	v_mov_b32_e32 v50, 0
	v_mov_b32_e32 v48, 0
	v_mov_b32_e32 v46, 0
	v_mov_b32_e32 v44, 0
	v_mov_b32_e32 v51, 0
	v_mov_b32_e32 v49, 0
	v_mov_b32_e32 v47, 0
	v_mov_b32_e32 v45, 0
.LBB55_44:                              ;   in Loop: Header=BB55_4 Depth=1
	v_mul_lo_u32 v4, s25, v22
	v_mul_lo_u32 v5, s24, v23
	v_mad_u64_u32 v[2:3], s[8:9], s24, v22, 0
	v_cmp_gt_i32_e32 vcc, s30, v22
	v_add3_u32 v3, v3, v5, v4
	v_lshlrev_b64 v[2:3], 3, v[2:3]
	v_mov_b32_e32 v4, s61
	v_add_co_u32_e64 v2, s[8:9], s60, v2
	v_addc_co_u32_e64 v3, s[8:9], v4, v3, s[8:9]
	s_and_b64 s[8:9], s[4:5], vcc
	s_and_saveexec_b64 s[10:11], s[8:9]
	s_cbranch_execz .LBB55_46
; %bb.45:                               ;   in Loop: Header=BB55_4 Depth=1
	buffer_load_dword v4, off, s[64:67], 0 offset:8 ; 4-byte Folded Reload
	buffer_load_dword v5, off, s[64:67], 0 offset:12 ; 4-byte Folded Reload
	s_waitcnt vmcnt(1)
	v_add_co_u32_e64 v4, s[8:9], v2, v4
	s_waitcnt vmcnt(0)
	v_addc_co_u32_e64 v5, s[8:9], v3, v5, s[8:9]
	global_load_dwordx2 v[6:7], v[4:5], off
	s_waitcnt vmcnt(0)
	v_fma_f64 v[6:7], s[34:35], v[50:51], v[6:7]
	global_store_dwordx2 v[4:5], v[6:7], off
.LBB55_46:                              ;   in Loop: Header=BB55_4 Depth=1
	s_or_b64 exec, exec, s[10:11]
	s_and_b64 s[10:11], s[20:21], vcc
	s_and_saveexec_b64 s[8:9], s[10:11]
	s_cbranch_execz .LBB55_48
; %bb.47:                               ;   in Loop: Header=BB55_4 Depth=1
	buffer_load_dword v4, off, s[64:67], 0  ; 4-byte Folded Reload
	buffer_load_dword v5, off, s[64:67], 0 offset:4 ; 4-byte Folded Reload
	s_waitcnt vmcnt(0)
	v_lshlrev_b64 v[4:5], 3, v[4:5]
	v_add_co_u32_e32 v2, vcc, v2, v4
	v_addc_co_u32_e32 v3, vcc, v3, v5, vcc
	global_load_dwordx2 v[4:5], v[2:3], off
	s_waitcnt vmcnt(0)
	v_fma_f64 v[4:5], s[34:35], v[48:49], v[4:5]
	global_store_dwordx2 v[2:3], v[4:5], off
.LBB55_48:                              ;   in Loop: Header=BB55_4 Depth=1
	s_or_b64 exec, exec, s[8:9]
	v_add_u32_e32 v4, 16, v22
	v_ashrrev_i32_e32 v2, 31, v4
	v_mul_lo_u32 v5, s24, v2
	v_mul_lo_u32 v6, s25, v4
	v_mad_u64_u32 v[2:3], s[8:9], s24, v4, 0
	v_cmp_gt_i32_e32 vcc, s30, v4
	v_mov_b32_e32 v4, s61
	v_add3_u32 v3, v3, v5, v6
	v_lshlrev_b64 v[2:3], 3, v[2:3]
	v_add_co_u32_e64 v2, s[8:9], s60, v2
	v_addc_co_u32_e64 v3, s[8:9], v4, v3, s[8:9]
	s_and_b64 s[8:9], s[4:5], vcc
	s_and_saveexec_b64 s[10:11], s[8:9]
	s_cbranch_execz .LBB55_50
; %bb.49:                               ;   in Loop: Header=BB55_4 Depth=1
	buffer_load_dword v4, off, s[64:67], 0 offset:8 ; 4-byte Folded Reload
	buffer_load_dword v5, off, s[64:67], 0 offset:12 ; 4-byte Folded Reload
	s_waitcnt vmcnt(1)
	v_add_co_u32_e64 v4, s[8:9], v2, v4
	s_waitcnt vmcnt(0)
	v_addc_co_u32_e64 v5, s[8:9], v3, v5, s[8:9]
	global_load_dwordx2 v[6:7], v[4:5], off
	s_waitcnt vmcnt(0)
	v_fma_f64 v[6:7], s[34:35], v[46:47], v[6:7]
	global_store_dwordx2 v[4:5], v[6:7], off
.LBB55_50:                              ;   in Loop: Header=BB55_4 Depth=1
	s_or_b64 exec, exec, s[10:11]
	s_and_b64 s[10:11], s[20:21], vcc
	s_and_saveexec_b64 s[8:9], s[10:11]
	s_cbranch_execz .LBB55_3
; %bb.51:                               ;   in Loop: Header=BB55_4 Depth=1
	buffer_load_dword v4, off, s[64:67], 0  ; 4-byte Folded Reload
	buffer_load_dword v5, off, s[64:67], 0 offset:4 ; 4-byte Folded Reload
	s_waitcnt vmcnt(0)
	v_lshlrev_b64 v[4:5], 3, v[4:5]
	v_add_co_u32_e32 v2, vcc, v2, v4
	v_addc_co_u32_e32 v3, vcc, v3, v5, vcc
	global_load_dwordx2 v[4:5], v[2:3], off
	s_waitcnt vmcnt(0)
	v_fma_f64 v[4:5], s[34:35], v[44:45], v[4:5]
	global_store_dwordx2 v[2:3], v[4:5], off
	s_branch .LBB55_3
.LBB55_52:
	s_endpgm
	.section	.rodata,"a",@progbits
	.p2align	6, 0x0
	.amdhsa_kernel _ZL30rocblas_trmm_outofplace_kernelIdLi32ELi2ELb0ELb1ELb1ELb0EdKddEv17rocblas_diagonal_iiT6_lPT7_lllS4_lllPT8_llli
		.amdhsa_group_segment_fixed_size 16384
		.amdhsa_private_segment_fixed_size 28
		.amdhsa_kernarg_size 392
		.amdhsa_user_sgpr_count 6
		.amdhsa_user_sgpr_private_segment_buffer 1
		.amdhsa_user_sgpr_dispatch_ptr 0
		.amdhsa_user_sgpr_queue_ptr 0
		.amdhsa_user_sgpr_kernarg_segment_ptr 1
		.amdhsa_user_sgpr_dispatch_id 0
		.amdhsa_user_sgpr_flat_scratch_init 0
		.amdhsa_user_sgpr_private_segment_size 0
		.amdhsa_uses_dynamic_stack 0
		.amdhsa_system_sgpr_private_segment_wavefront_offset 1
		.amdhsa_system_sgpr_workgroup_id_x 1
		.amdhsa_system_sgpr_workgroup_id_y 1
		.amdhsa_system_sgpr_workgroup_id_z 1
		.amdhsa_system_sgpr_workgroup_info 0
		.amdhsa_system_vgpr_workitem_id 1
		.amdhsa_next_free_vgpr 64
		.amdhsa_next_free_sgpr 68
		.amdhsa_reserve_vcc 1
		.amdhsa_reserve_flat_scratch 0
		.amdhsa_float_round_mode_32 0
		.amdhsa_float_round_mode_16_64 0
		.amdhsa_float_denorm_mode_32 3
		.amdhsa_float_denorm_mode_16_64 3
		.amdhsa_dx10_clamp 1
		.amdhsa_ieee_mode 1
		.amdhsa_fp16_overflow 0
		.amdhsa_exception_fp_ieee_invalid_op 0
		.amdhsa_exception_fp_denorm_src 0
		.amdhsa_exception_fp_ieee_div_zero 0
		.amdhsa_exception_fp_ieee_overflow 0
		.amdhsa_exception_fp_ieee_underflow 0
		.amdhsa_exception_fp_ieee_inexact 0
		.amdhsa_exception_int_div_zero 0
	.end_amdhsa_kernel
	.section	.text._ZL30rocblas_trmm_outofplace_kernelIdLi32ELi2ELb0ELb1ELb1ELb0EdKddEv17rocblas_diagonal_iiT6_lPT7_lllS4_lllPT8_llli,"axG",@progbits,_ZL30rocblas_trmm_outofplace_kernelIdLi32ELi2ELb0ELb1ELb1ELb0EdKddEv17rocblas_diagonal_iiT6_lPT7_lllS4_lllPT8_llli,comdat
.Lfunc_end55:
	.size	_ZL30rocblas_trmm_outofplace_kernelIdLi32ELi2ELb0ELb1ELb1ELb0EdKddEv17rocblas_diagonal_iiT6_lPT7_lllS4_lllPT8_llli, .Lfunc_end55-_ZL30rocblas_trmm_outofplace_kernelIdLi32ELi2ELb0ELb1ELb1ELb0EdKddEv17rocblas_diagonal_iiT6_lPT7_lllS4_lllPT8_llli
                                        ; -- End function
	.set _ZL30rocblas_trmm_outofplace_kernelIdLi32ELi2ELb0ELb1ELb1ELb0EdKddEv17rocblas_diagonal_iiT6_lPT7_lllS4_lllPT8_llli.num_vgpr, 64
	.set _ZL30rocblas_trmm_outofplace_kernelIdLi32ELi2ELb0ELb1ELb1ELb0EdKddEv17rocblas_diagonal_iiT6_lPT7_lllS4_lllPT8_llli.num_agpr, 0
	.set _ZL30rocblas_trmm_outofplace_kernelIdLi32ELi2ELb0ELb1ELb1ELb0EdKddEv17rocblas_diagonal_iiT6_lPT7_lllS4_lllPT8_llli.numbered_sgpr, 68
	.set _ZL30rocblas_trmm_outofplace_kernelIdLi32ELi2ELb0ELb1ELb1ELb0EdKddEv17rocblas_diagonal_iiT6_lPT7_lllS4_lllPT8_llli.num_named_barrier, 0
	.set _ZL30rocblas_trmm_outofplace_kernelIdLi32ELi2ELb0ELb1ELb1ELb0EdKddEv17rocblas_diagonal_iiT6_lPT7_lllS4_lllPT8_llli.private_seg_size, 28
	.set _ZL30rocblas_trmm_outofplace_kernelIdLi32ELi2ELb0ELb1ELb1ELb0EdKddEv17rocblas_diagonal_iiT6_lPT7_lllS4_lllPT8_llli.uses_vcc, 1
	.set _ZL30rocblas_trmm_outofplace_kernelIdLi32ELi2ELb0ELb1ELb1ELb0EdKddEv17rocblas_diagonal_iiT6_lPT7_lllS4_lllPT8_llli.uses_flat_scratch, 0
	.set _ZL30rocblas_trmm_outofplace_kernelIdLi32ELi2ELb0ELb1ELb1ELb0EdKddEv17rocblas_diagonal_iiT6_lPT7_lllS4_lllPT8_llli.has_dyn_sized_stack, 0
	.set _ZL30rocblas_trmm_outofplace_kernelIdLi32ELi2ELb0ELb1ELb1ELb0EdKddEv17rocblas_diagonal_iiT6_lPT7_lllS4_lllPT8_llli.has_recursion, 0
	.set _ZL30rocblas_trmm_outofplace_kernelIdLi32ELi2ELb0ELb1ELb1ELb0EdKddEv17rocblas_diagonal_iiT6_lPT7_lllS4_lllPT8_llli.has_indirect_call, 0
	.section	.AMDGPU.csdata,"",@progbits
; Kernel info:
; codeLenInByte = 3972
; TotalNumSgprs: 72
; NumVgprs: 64
; ScratchSize: 28
; MemoryBound: 0
; FloatMode: 240
; IeeeMode: 1
; LDSByteSize: 16384 bytes/workgroup (compile time only)
; SGPRBlocks: 8
; VGPRBlocks: 15
; NumSGPRsForWavesPerEU: 72
; NumVGPRsForWavesPerEU: 64
; Occupancy: 4
; WaveLimiterHint : 0
; COMPUTE_PGM_RSRC2:SCRATCH_EN: 1
; COMPUTE_PGM_RSRC2:USER_SGPR: 6
; COMPUTE_PGM_RSRC2:TRAP_HANDLER: 0
; COMPUTE_PGM_RSRC2:TGID_X_EN: 1
; COMPUTE_PGM_RSRC2:TGID_Y_EN: 1
; COMPUTE_PGM_RSRC2:TGID_Z_EN: 1
; COMPUTE_PGM_RSRC2:TIDIG_COMP_CNT: 1
	.section	.text._ZL30rocblas_trmm_outofplace_kernelIdLi32ELi2ELb0ELb0ELb1ELb1EPKdS0_dEv17rocblas_diagonal_iiT6_lPT7_lllS5_lllPT8_llli,"axG",@progbits,_ZL30rocblas_trmm_outofplace_kernelIdLi32ELi2ELb0ELb0ELb1ELb1EPKdS0_dEv17rocblas_diagonal_iiT6_lPT7_lllS5_lllPT8_llli,comdat
	.globl	_ZL30rocblas_trmm_outofplace_kernelIdLi32ELi2ELb0ELb0ELb1ELb1EPKdS0_dEv17rocblas_diagonal_iiT6_lPT7_lllS5_lllPT8_llli ; -- Begin function _ZL30rocblas_trmm_outofplace_kernelIdLi32ELi2ELb0ELb0ELb1ELb1EPKdS0_dEv17rocblas_diagonal_iiT6_lPT7_lllS5_lllPT8_llli
	.p2align	8
	.type	_ZL30rocblas_trmm_outofplace_kernelIdLi32ELi2ELb0ELb0ELb1ELb1EPKdS0_dEv17rocblas_diagonal_iiT6_lPT7_lllS5_lllPT8_llli,@function
_ZL30rocblas_trmm_outofplace_kernelIdLi32ELi2ELb0ELb0ELb1ELb1EPKdS0_dEv17rocblas_diagonal_iiT6_lPT7_lllS5_lllPT8_llli: ; @_ZL30rocblas_trmm_outofplace_kernelIdLi32ELi2ELb0ELb0ELb1ELb1EPKdS0_dEv17rocblas_diagonal_iiT6_lPT7_lllS5_lllPT8_llli
; %bb.0:
	s_load_dwordx16 s[12:27], s[4:5], 0x10
	s_mov_b64 s[54:55], s[2:3]
	s_mov_b64 s[52:53], s[0:1]
	s_add_u32 s52, s52, s9
	s_addc_u32 s53, s53, 0
	s_waitcnt lgkmcnt(0)
	s_mul_i32 s0, s15, s8
	s_mul_hi_u32 s1, s14, s8
	s_add_i32 s1, s1, s0
	s_mul_i32 s0, s14, s8
	s_lshl_b64 s[0:1], s[0:1], 3
	s_add_u32 s0, s12, s0
	s_addc_u32 s1, s13, s1
	s_load_dwordx2 s[34:35], s[0:1], 0x0
	s_waitcnt lgkmcnt(0)
	v_cmp_eq_f64_e64 s[0:1], s[34:35], 0
	s_and_b64 vcc, exec, s[0:1]
	s_cbranch_vccnz .LBB56_51
; %bb.1:
	s_load_dwordx4 s[28:31], s[4:5], 0x0
	s_waitcnt lgkmcnt(0)
	s_add_i32 s0, s30, -1
	s_ashr_i32 s1, s0, 31
	s_lshr_b32 s1, s1, 27
	s_add_i32 s0, s0, s1
	s_ashr_i32 s33, s0, 5
	s_cmp_gt_i32 s7, s33
	s_cbranch_scc1 .LBB56_51
; %bb.2:
	s_mul_i32 s0, s23, s8
	s_mul_hi_u32 s1, s22, s8
	s_add_i32 s1, s1, s0
	s_mul_i32 s0, s22, s8
	s_load_dwordx8 s[36:43], s[4:5], 0x50
	s_load_dwordx4 s[44:47], s[4:5], 0x70
	s_lshl_b64 s[10:11], s[0:1], 3
	s_add_u32 s0, s16, s10
	s_addc_u32 s1, s17, s11
	s_lshl_b64 s[12:13], s[18:19], 3
	s_add_u32 s2, s0, s12
	s_addc_u32 s3, s1, s13
	s_waitcnt lgkmcnt(0)
	s_mul_i32 s0, s39, s8
	s_mul_hi_u32 s1, s38, s8
	s_add_i32 s1, s1, s0
	s_mul_i32 s0, s38, s8
	s_lshl_b64 s[0:1], s[0:1], 3
	s_add_u32 s9, s24, s0
	s_addc_u32 s14, s25, s1
	s_lshl_b64 s[0:1], s[26:27], 3
	s_add_u32 s9, s9, s0
	s_addc_u32 s14, s14, s1
	s_mul_i32 s0, s47, s8
	s_mul_hi_u32 s1, s46, s8
	s_add_i32 s1, s1, s0
	s_mul_i32 s0, s46, s8
	s_lshl_b64 s[0:1], s[0:1], 3
	s_load_dword s48, s[4:5], 0x8c
	s_add_u32 s4, s40, s0
	s_addc_u32 s5, s41, s1
	v_mad_u64_u32 v[2:3], s[0:1], s20, v0, 0
	s_lshl_b64 s[0:1], s[42:43], 3
	s_add_u32 s42, s4, s0
	s_addc_u32 s43, s5, s1
	v_mad_u64_u32 v[3:4], s[0:1], s21, v0, v[3:4]
	v_lshl_add_u32 v4, s6, 5, v0
	v_ashrrev_i32_e32 v5, 31, v4
	v_lshlrev_b64 v[2:3], 3, v[2:3]
	v_mov_b32_e32 v6, s3
	v_add_co_u32_e32 v2, vcc, s2, v2
	v_addc_co_u32_e32 v3, vcc, v6, v3, vcc
	v_lshlrev_b64 v[6:7], 3, v[4:5]
	buffer_store_dword v2, off, s[52:55], 0 offset:8 ; 4-byte Folded Spill
	s_nop 0
	buffer_store_dword v3, off, s[52:55], 0 offset:12 ; 4-byte Folded Spill
	v_add_co_u32_e32 v8, vcc, s9, v6
	buffer_store_dword v6, off, s[52:55], 0 ; 4-byte Folded Spill
	s_nop 0
	buffer_store_dword v7, off, s[52:55], 0 offset:4 ; 4-byte Folded Spill
	v_mov_b32_e32 v2, s14
	s_cmpk_eq_i32 s28, 0x84
	s_cselect_b64 s[24:25], -1, 0
	s_ashr_i32 s0, s29, 31
	v_mov_b32_e32 v3, s0
	s_ashr_i32 s31, s30, 31
	s_lshl_b64 s[26:27], s[20:21], 8
	s_lshl_b64 s[38:39], s[36:37], 8
	s_movk_i32 s8, 0x80
	s_add_u32 s40, s30, -16
	s_addc_u32 s41, s31, -1
	s_waitcnt lgkmcnt(0)
	s_lshl_b32 s6, s48, 5
	v_lshlrev_b32_e32 v51, 8, v1
	v_mov_b32_e32 v10, 0
	v_lshl_add_u32 v15, s7, 5, v1
	v_mov_b32_e32 v60, 0x3ff00000
	v_addc_co_u32_e32 v9, vcc, v2, v7, vcc
	v_sub_co_u32_e32 v2, vcc, s29, v4
	v_subb_co_u32_e32 v3, vcc, v3, v5, vcc
	v_cmp_gt_i64_e32 vcc, 1, v[2:3]
	v_cmp_gt_i64_e64 s[0:1], 17, v[2:3]
	v_mad_u64_u32 v[2:3], s[2:3], s36, v1, 0
	v_cmp_gt_i32_e64 s[2:3], s29, v4
	v_add_u32_e32 v4, 16, v4
	v_mad_u64_u32 v[6:7], s[4:5], s37, v1, v[3:4]
	buffer_store_dword v8, off, s[52:55], 0 offset:16 ; 4-byte Folded Spill
	s_nop 0
	buffer_store_dword v9, off, s[52:55], 0 offset:20 ; 4-byte Folded Spill
	v_lshlrev_b32_e32 v8, 3, v0
	v_mov_b32_e32 v3, v6
	v_lshlrev_b64 v[2:3], 3, v[2:3]
	v_add_u32_e32 v6, 0x80, v8
	v_add_co_u32_e64 v55, s[8:9], s8, v2
	v_addc_co_u32_e64 v56, s[8:9], 0, v3, s[8:9]
	s_add_u32 s8, s16, s12
	s_addc_u32 s9, s17, s13
	s_add_u32 s8, s8, s10
	s_addc_u32 s9, s9, s11
	v_mov_b32_e32 v2, s8
	v_mov_b32_e32 v3, s9
	v_add_u32_e32 v52, v51, v8
	v_or_b32_e32 v53, 0x2000, v8
	v_mad_u64_u32 v[8:9], s[8:9], s20, v6, v[2:3]
	v_mov_b32_e32 v2, 0x80
	v_lshl_add_u32 v7, v1, 3, v2
	v_mad_u64_u32 v[20:21], s[8:9], s36, v7, 0
	v_mov_b32_e32 v2, v9
	v_mad_u64_u32 v[2:3], s[8:9], s21, v6, v[2:3]
	v_mov_b32_e32 v3, v21
	v_mad_u64_u32 v[6:7], s[8:9], s37, v7, v[3:4]
	v_ashrrev_i32_e32 v5, 31, v4
	v_sub_co_u32_e64 v63, s[8:9], 0, v0
	v_lshlrev_b64 v[57:58], 3, v[4:5]
	v_add_u32_e32 v54, v53, v51
	v_cmp_gt_i32_e64 s[4:5], s29, v4
	v_subb_co_u32_e64 v3, s[8:9], 0, 0, s[8:9]
	v_mov_b32_e32 v9, v2
	v_mov_b32_e32 v59, v6
	buffer_store_dword v3, off, s[52:55], 0 offset:32 ; 4-byte Folded Spill
	buffer_store_dword v8, off, s[52:55], 0 offset:24 ; 4-byte Folded Spill
	s_nop 0
	buffer_store_dword v9, off, s[52:55], 0 offset:28 ; 4-byte Folded Spill
	s_branch .LBB56_4
.LBB56_3:                               ;   in Loop: Header=BB56_4 Depth=1
	s_or_b64 exec, exec, s[10:11]
	s_add_i32 s7, s48, s7
	s_cmp_le_i32 s7, s33
	v_add_u32_e32 v15, s6, v15
	s_cbranch_scc0 .LBB56_51
.LBB56_4:                               ; =>This Loop Header: Depth=1
                                        ;     Child Loop BB56_7 Depth 2
	s_lshl_b32 s46, s7, 5
	v_add_u32_e32 v25, s46, v1
	v_mov_b32_e32 v49, 0
	v_mov_b32_e32 v47, 0
	;; [unrolled: 1-line block ×5, first 2 shown]
	s_cmp_lt_i32 s7, 0
	v_mov_b32_e32 v48, 0
	v_mov_b32_e32 v46, 0
	;; [unrolled: 1-line block ×3, first 2 shown]
	v_ashrrev_i32_e32 v26, 31, v25
	s_cbranch_scc1 .LBB56_43
; %bb.5:                                ;   in Loop: Header=BB56_4 Depth=1
	buffer_load_dword v2, off, s[52:55], 0 offset:32 ; 4-byte Folded Reload
	buffer_load_dword v37, off, s[52:55], 0 offset:8 ; 4-byte Folded Reload
	;; [unrolled: 1-line block ×7, first 2 shown]
	v_ashrrev_i32_e32 v16, 31, v15
	v_add_co_u32_e64 v27, s[8:9], v63, v15
	v_add_co_u32_e64 v33, s[10:11], 16, v27
	v_lshlrev_b64 v[29:30], 3, v[15:16]
	v_mov_b32_e32 v43, 0
	v_mov_b32_e32 v45, 0
	;; [unrolled: 1-line block ×4, first 2 shown]
	v_cmp_le_i32_e64 s[20:21], s30, v25
	v_mov_b32_e32 v44, 0
	s_mov_b64 s[28:29], 0
	v_mov_b32_e32 v46, 0
	v_mov_b32_e32 v48, 0
	;; [unrolled: 1-line block ×3, first 2 shown]
	s_waitcnt vmcnt(6)
	v_addc_co_u32_e64 v28, s[8:9], v2, v16, s[8:9]
	v_add_co_u32_e64 v31, s[8:9], 16, v25
	v_addc_co_u32_e64 v32, s[8:9], 0, v26, s[8:9]
	v_addc_co_u32_e64 v34, s[10:11], 0, v28, s[10:11]
	v_cmp_le_i64_e64 s[8:9], s[30:31], v[31:32]
	v_add_co_u32_e64 v35, s[10:11], -16, v27
	v_addc_co_u32_e64 v36, s[10:11], -1, v28, s[10:11]
	s_branch .LBB56_7
.LBB56_6:                               ;   in Loop: Header=BB56_7 Depth=2
	s_or_b64 exec, exec, s[10:11]
	s_waitcnt lgkmcnt(0)
	s_barrier
	ds_read_b128 v[16:19], v51
	ds_read_b128 v[11:14], v51 offset:16
	ds_read_b128 v[6:9], v51 offset:32
	;; [unrolled: 1-line block ×3, first 2 shown]
	ds_read2_b64 v[21:24], v53 offset1:16
	v_add_co_u32_e64 v41, s[10:11], s38, v41
	s_add_u32 s28, s28, 32
	s_addc_u32 s29, s29, 0
	s_waitcnt lgkmcnt(0)
	v_fma_f64 v[61:62], v[21:22], v[16:17], v[49:50]
	v_fma_f64 v[16:17], v[23:24], v[16:17], v[47:48]
	ds_read_b128 v[47:50], v51 offset:4096
	s_sub_i32 s12, s28, 32
	s_cmp_ge_i32 s12, s46
	s_waitcnt lgkmcnt(0)
	v_fma_f64 v[45:46], v[21:22], v[47:48], v[45:46]
	v_fma_f64 v[43:44], v[23:24], v[47:48], v[43:44]
	ds_read2_b64 v[21:24], v53 offset0:32 offset1:48
	s_waitcnt lgkmcnt(0)
	v_fma_f64 v[47:48], v[21:22], v[18:19], v[61:62]
	v_fma_f64 v[61:62], v[23:24], v[18:19], v[16:17]
	v_fma_f64 v[45:46], v[21:22], v[49:50], v[45:46]
	v_fma_f64 v[43:44], v[23:24], v[49:50], v[43:44]
	ds_read2_b64 v[16:19], v53 offset0:64 offset1:80
	ds_read_b128 v[21:24], v51 offset:4112
	s_waitcnt lgkmcnt(1)
	v_fma_f64 v[47:48], v[16:17], v[11:12], v[47:48]
	v_fma_f64 v[11:12], v[18:19], v[11:12], v[61:62]
	s_waitcnt lgkmcnt(0)
	v_fma_f64 v[45:46], v[16:17], v[21:22], v[45:46]
	v_fma_f64 v[21:22], v[18:19], v[21:22], v[43:44]
	ds_read2_b64 v[16:19], v53 offset0:96 offset1:112
	s_waitcnt lgkmcnt(0)
	v_fma_f64 v[43:44], v[16:17], v[13:14], v[47:48]
	v_fma_f64 v[47:48], v[18:19], v[13:14], v[11:12]
	v_fma_f64 v[45:46], v[16:17], v[23:24], v[45:46]
	v_fma_f64 v[21:22], v[18:19], v[23:24], v[21:22]
	ds_read2_b64 v[11:14], v53 offset0:128 offset1:144
	ds_read_b128 v[16:19], v51 offset:4128
	s_waitcnt lgkmcnt(1)
	v_fma_f64 v[23:24], v[11:12], v[6:7], v[43:44]
	v_fma_f64 v[6:7], v[13:14], v[6:7], v[47:48]
	s_waitcnt lgkmcnt(0)
	v_fma_f64 v[43:44], v[11:12], v[16:17], v[45:46]
	v_fma_f64 v[16:17], v[13:14], v[16:17], v[21:22]
	ds_read2_b64 v[11:14], v53 offset0:160 offset1:176
	s_waitcnt lgkmcnt(0)
	v_fma_f64 v[21:22], v[11:12], v[8:9], v[23:24]
	v_fma_f64 v[23:24], v[13:14], v[8:9], v[6:7]
	v_fma_f64 v[43:44], v[11:12], v[18:19], v[43:44]
	v_fma_f64 v[16:17], v[13:14], v[18:19], v[16:17]
	ds_read2_b64 v[6:9], v53 offset0:192 offset1:208
	ds_read_b128 v[11:14], v51 offset:4144
	s_waitcnt lgkmcnt(1)
	v_fma_f64 v[18:19], v[6:7], v[2:3], v[21:22]
	v_fma_f64 v[2:3], v[8:9], v[2:3], v[23:24]
	s_waitcnt lgkmcnt(0)
	v_fma_f64 v[21:22], v[6:7], v[11:12], v[43:44]
	v_fma_f64 v[11:12], v[8:9], v[11:12], v[16:17]
	ds_read2_b64 v[6:9], v53 offset0:224 offset1:240
	s_waitcnt lgkmcnt(0)
	v_fma_f64 v[16:17], v[6:7], v[4:5], v[18:19]
	v_fma_f64 v[18:19], v[8:9], v[4:5], v[2:3]
	v_add_u32_e32 v2, 0x800, v53
	v_fma_f64 v[21:22], v[6:7], v[13:14], v[21:22]
	v_fma_f64 v[7:8], v[8:9], v[13:14], v[11:12]
	ds_read_b128 v[3:6], v51 offset:64
	ds_read2_b64 v[11:14], v2 offset1:16
	s_waitcnt lgkmcnt(0)
	v_fma_f64 v[23:24], v[11:12], v[3:4], v[16:17]
	v_fma_f64 v[3:4], v[13:14], v[3:4], v[18:19]
	ds_read_b128 v[16:19], v51 offset:4160
	s_waitcnt lgkmcnt(0)
	v_fma_f64 v[21:22], v[11:12], v[16:17], v[21:22]
	v_fma_f64 v[7:8], v[13:14], v[16:17], v[7:8]
	ds_read2_b64 v[11:14], v2 offset0:32 offset1:48
	s_waitcnt lgkmcnt(0)
	v_fma_f64 v[16:17], v[11:12], v[5:6], v[23:24]
	v_fma_f64 v[23:24], v[13:14], v[5:6], v[3:4]
	v_fma_f64 v[21:22], v[11:12], v[18:19], v[21:22]
	v_fma_f64 v[7:8], v[13:14], v[18:19], v[7:8]
	ds_read_b128 v[3:6], v51 offset:80
	ds_read2_b64 v[11:14], v2 offset0:64 offset1:80
	s_waitcnt lgkmcnt(0)
	v_fma_f64 v[43:44], v[11:12], v[3:4], v[16:17]
	ds_read_b128 v[16:19], v51 offset:4176
	v_fma_f64 v[3:4], v[13:14], v[3:4], v[23:24]
	s_waitcnt lgkmcnt(0)
	v_fma_f64 v[21:22], v[11:12], v[16:17], v[21:22]
	v_fma_f64 v[7:8], v[13:14], v[16:17], v[7:8]
	ds_read2_b64 v[11:14], v2 offset0:96 offset1:112
	s_waitcnt lgkmcnt(0)
	v_fma_f64 v[16:17], v[11:12], v[5:6], v[43:44]
	v_fma_f64 v[23:24], v[13:14], v[5:6], v[3:4]
	v_fma_f64 v[21:22], v[11:12], v[18:19], v[21:22]
	v_fma_f64 v[7:8], v[13:14], v[18:19], v[7:8]
	ds_read_b128 v[3:6], v51 offset:96
	ds_read2_b64 v[11:14], v2 offset0:128 offset1:144
	s_waitcnt lgkmcnt(0)
	v_fma_f64 v[43:44], v[11:12], v[3:4], v[16:17]
	ds_read_b128 v[16:19], v51 offset:4192
	v_fma_f64 v[3:4], v[13:14], v[3:4], v[23:24]
	;; [unrolled: 15-line block ×3, first 2 shown]
	s_waitcnt lgkmcnt(0)
	v_fma_f64 v[21:22], v[11:12], v[16:17], v[21:22]
	v_fma_f64 v[7:8], v[13:14], v[16:17], v[7:8]
	ds_read2_b64 v[11:14], v2 offset0:224 offset1:240
	v_add_u32_e32 v2, 0x1000, v53
	s_waitcnt lgkmcnt(0)
	v_fma_f64 v[16:17], v[11:12], v[5:6], v[43:44]
	v_fma_f64 v[23:24], v[13:14], v[5:6], v[3:4]
	;; [unrolled: 1-line block ×4, first 2 shown]
	ds_read_b128 v[3:6], v51 offset:128
	ds_read2_b64 v[11:14], v2 offset1:16
	s_waitcnt lgkmcnt(0)
	v_fma_f64 v[43:44], v[11:12], v[3:4], v[16:17]
	ds_read_b128 v[16:19], v51 offset:4224
	v_fma_f64 v[3:4], v[13:14], v[3:4], v[23:24]
	s_waitcnt lgkmcnt(0)
	v_fma_f64 v[21:22], v[11:12], v[16:17], v[21:22]
	v_fma_f64 v[7:8], v[13:14], v[16:17], v[7:8]
	ds_read2_b64 v[11:14], v2 offset0:32 offset1:48
	s_waitcnt lgkmcnt(0)
	v_fma_f64 v[16:17], v[11:12], v[5:6], v[43:44]
	v_fma_f64 v[23:24], v[13:14], v[5:6], v[3:4]
	v_fma_f64 v[21:22], v[11:12], v[18:19], v[21:22]
	v_fma_f64 v[7:8], v[13:14], v[18:19], v[7:8]
	ds_read_b128 v[3:6], v51 offset:144
	ds_read2_b64 v[11:14], v2 offset0:64 offset1:80
	s_waitcnt lgkmcnt(0)
	v_fma_f64 v[43:44], v[11:12], v[3:4], v[16:17]
	ds_read_b128 v[16:19], v51 offset:4240
	v_fma_f64 v[3:4], v[13:14], v[3:4], v[23:24]
	s_waitcnt lgkmcnt(0)
	v_fma_f64 v[21:22], v[11:12], v[16:17], v[21:22]
	v_fma_f64 v[7:8], v[13:14], v[16:17], v[7:8]
	ds_read2_b64 v[11:14], v2 offset0:96 offset1:112
	s_waitcnt lgkmcnt(0)
	v_fma_f64 v[16:17], v[11:12], v[5:6], v[43:44]
	v_fma_f64 v[23:24], v[13:14], v[5:6], v[3:4]
	v_fma_f64 v[21:22], v[11:12], v[18:19], v[21:22]
	v_fma_f64 v[7:8], v[13:14], v[18:19], v[7:8]
	ds_read_b128 v[3:6], v51 offset:160
	ds_read2_b64 v[11:14], v2 offset0:128 offset1:144
	;; [unrolled: 15-line block ×3, first 2 shown]
	s_waitcnt lgkmcnt(0)
	v_fma_f64 v[43:44], v[11:12], v[3:4], v[16:17]
	ds_read_b128 v[16:19], v51 offset:4272
	v_fma_f64 v[3:4], v[13:14], v[3:4], v[23:24]
	s_waitcnt lgkmcnt(0)
	v_fma_f64 v[21:22], v[11:12], v[16:17], v[21:22]
	v_fma_f64 v[7:8], v[13:14], v[16:17], v[7:8]
	ds_read2_b64 v[11:14], v2 offset0:224 offset1:240
	v_add_u32_e32 v2, 0x1800, v53
	s_waitcnt lgkmcnt(0)
	v_fma_f64 v[16:17], v[11:12], v[5:6], v[43:44]
	v_fma_f64 v[23:24], v[13:14], v[5:6], v[3:4]
	;; [unrolled: 1-line block ×4, first 2 shown]
	ds_read_b128 v[3:6], v51 offset:192
	ds_read2_b64 v[11:14], v2 offset1:16
	s_waitcnt lgkmcnt(0)
	v_fma_f64 v[43:44], v[11:12], v[3:4], v[16:17]
	ds_read_b128 v[16:19], v51 offset:4288
	v_fma_f64 v[3:4], v[13:14], v[3:4], v[23:24]
	s_waitcnt lgkmcnt(0)
	v_fma_f64 v[21:22], v[11:12], v[16:17], v[21:22]
	v_fma_f64 v[7:8], v[13:14], v[16:17], v[7:8]
	ds_read2_b64 v[11:14], v2 offset0:32 offset1:48
	s_waitcnt lgkmcnt(0)
	v_fma_f64 v[16:17], v[11:12], v[5:6], v[43:44]
	v_fma_f64 v[23:24], v[13:14], v[5:6], v[3:4]
	v_fma_f64 v[21:22], v[11:12], v[18:19], v[21:22]
	v_fma_f64 v[7:8], v[13:14], v[18:19], v[7:8]
	ds_read_b128 v[3:6], v51 offset:208
	ds_read2_b64 v[11:14], v2 offset0:64 offset1:80
	s_waitcnt lgkmcnt(0)
	v_fma_f64 v[43:44], v[11:12], v[3:4], v[16:17]
	ds_read_b128 v[16:19], v51 offset:4304
	v_fma_f64 v[3:4], v[13:14], v[3:4], v[23:24]
	s_waitcnt lgkmcnt(0)
	v_fma_f64 v[21:22], v[11:12], v[16:17], v[21:22]
	v_fma_f64 v[7:8], v[13:14], v[16:17], v[7:8]
	ds_read2_b64 v[11:14], v2 offset0:96 offset1:112
	s_waitcnt lgkmcnt(0)
	v_fma_f64 v[16:17], v[11:12], v[5:6], v[43:44]
	v_fma_f64 v[23:24], v[13:14], v[5:6], v[3:4]
	v_fma_f64 v[21:22], v[11:12], v[18:19], v[21:22]
	v_fma_f64 v[7:8], v[13:14], v[18:19], v[7:8]
	ds_read_b128 v[3:6], v51 offset:224
	ds_read2_b64 v[11:14], v2 offset0:128 offset1:144
	;; [unrolled: 15-line block ×3, first 2 shown]
	s_waitcnt lgkmcnt(0)
	v_fma_f64 v[43:44], v[11:12], v[3:4], v[16:17]
	ds_read_b128 v[16:19], v51 offset:4336
	v_fma_f64 v[3:4], v[13:14], v[3:4], v[23:24]
	s_waitcnt lgkmcnt(0)
	v_fma_f64 v[21:22], v[11:12], v[16:17], v[21:22]
	v_fma_f64 v[7:8], v[13:14], v[16:17], v[7:8]
	ds_read2_b64 v[11:14], v2 offset0:224 offset1:240
	v_mov_b32_e32 v2, s39
	v_addc_co_u32_e64 v42, s[10:11], v42, v2, s[10:11]
	v_add_co_u32_e64 v39, s[10:11], s26, v39
	s_waitcnt lgkmcnt(0)
	v_fma_f64 v[49:50], v[11:12], v[5:6], v[43:44]
	v_fma_f64 v[47:48], v[13:14], v[5:6], v[3:4]
	;; [unrolled: 1-line block ×4, first 2 shown]
	v_mov_b32_e32 v2, s27
	v_addc_co_u32_e64 v40, s[10:11], v40, v2, s[10:11]
	v_add_co_u32_e64 v37, s[10:11], s26, v37
	v_addc_co_u32_e64 v38, s[10:11], v38, v2, s[10:11]
	s_barrier
	s_cbranch_scc1 .LBB56_43
.LBB56_7:                               ;   Parent Loop BB56_4 Depth=1
                                        ; =>  This Inner Loop Header: Depth=2
	v_mov_b32_e32 v2, s29
	v_add_co_u32_e64 v4, s[10:11], s28, v0
	v_addc_co_u32_e64 v5, s[10:11], 0, v2, s[10:11]
	s_waitcnt vmcnt(5)
	v_add_co_u32_e64 v2, s[12:13], v37, v29
	s_waitcnt vmcnt(4)
	v_addc_co_u32_e64 v3, s[12:13], v38, v30, s[12:13]
	v_cmp_eq_u64_e64 s[10:11], s[28:29], v[27:28]
	v_cmp_gt_i64_e64 s[12:13], v[4:5], v[25:26]
	s_and_b64 s[10:11], s[24:25], s[10:11]
	v_cmp_le_i64_e64 s[14:15], s[30:31], v[4:5]
	s_or_b64 s[16:17], s[20:21], s[12:13]
	s_or_b64 s[16:17], s[16:17], s[10:11]
	s_nor_b64 s[16:17], s[14:15], s[16:17]
                                        ; implicit-def: $vgpr6_vgpr7
	s_and_saveexec_b64 s[18:19], s[16:17]
	s_xor_b64 s[16:17], exec, s[18:19]
	s_cbranch_execz .LBB56_9
; %bb.8:                                ;   in Loop: Header=BB56_7 Depth=2
	global_load_dwordx2 v[6:7], v[2:3], off
.LBB56_9:                               ;   in Loop: Header=BB56_7 Depth=2
	s_andn2_saveexec_b64 s[16:17], s[16:17]
	s_cbranch_execz .LBB56_11
; %bb.10:                               ;   in Loop: Header=BB56_7 Depth=2
	v_cndmask_b32_e64 v11, 0, v60, s[10:11]
	s_waitcnt vmcnt(0)
	v_mov_b32_e32 v6, v10
	v_mov_b32_e32 v7, v11
.LBB56_11:                              ;   in Loop: Header=BB56_7 Depth=2
	s_or_b64 exec, exec, s[16:17]
	s_waitcnt vmcnt(0)
	ds_write_b64 v52, v[6:7]
	v_add_co_u32_e64 v6, s[18:19], 16, v4
	v_addc_co_u32_e64 v7, s[18:19], 0, v5, s[18:19]
	v_cmp_eq_u64_e64 s[16:17], s[28:29], v[35:36]
	v_cmp_gt_i64_e64 s[18:19], v[6:7], v[25:26]
	s_and_b64 s[22:23], s[24:25], s[16:17]
	v_cmp_le_i64_e64 s[16:17], s[30:31], v[6:7]
	s_or_b64 s[18:19], s[20:21], s[18:19]
	s_or_b64 s[18:19], s[18:19], s[22:23]
	s_nor_b64 s[18:19], s[16:17], s[18:19]
	s_and_saveexec_b64 s[36:37], s[18:19]
	s_xor_b64 s[36:37], exec, s[36:37]
	s_cbranch_execz .LBB56_13
; %bb.12:                               ;   in Loop: Header=BB56_7 Depth=2
	v_add_co_u32_e64 v6, s[18:19], v39, v29
	v_addc_co_u32_e64 v7, s[18:19], v40, v30, s[18:19]
	global_load_dwordx2 v[6:7], v[6:7], off
	s_waitcnt vmcnt(0)
	ds_write_b64 v52, v[6:7] offset:128
.LBB56_13:                              ;   in Loop: Header=BB56_7 Depth=2
	s_andn2_saveexec_b64 s[18:19], s[36:37]
	s_cbranch_execz .LBB56_19
; %bb.14:                               ;   in Loop: Header=BB56_7 Depth=2
	s_xor_b64 s[22:23], s[22:23], -1
	s_and_saveexec_b64 s[36:37], s[22:23]
	s_xor_b64 s[22:23], exec, s[36:37]
; %bb.15:                               ;   in Loop: Header=BB56_7 Depth=2
	v_mov_b32_e32 v11, v10
	ds_write_b64 v52, v[10:11] offset:128
; %bb.16:                               ;   in Loop: Header=BB56_7 Depth=2
	s_andn2_saveexec_b64 s[22:23], s[22:23]
; %bb.17:                               ;   in Loop: Header=BB56_7 Depth=2
	v_mov_b32_e32 v11, v60
	ds_write_b64 v52, v[10:11] offset:128
; %bb.18:                               ;   in Loop: Header=BB56_7 Depth=2
	s_or_b64 exec, exec, s[22:23]
.LBB56_19:                              ;   in Loop: Header=BB56_7 Depth=2
	s_or_b64 exec, exec, s[18:19]
	v_cmp_eq_u64_e64 s[18:19], s[28:29], v[33:34]
	v_cmp_gt_i64_e64 s[22:23], v[4:5], v[31:32]
	s_and_b64 s[18:19], s[24:25], s[18:19]
	s_or_b64 s[22:23], s[8:9], s[22:23]
	s_or_b64 s[22:23], s[22:23], s[18:19]
	s_nor_b64 s[14:15], s[14:15], s[22:23]
                                        ; implicit-def: $vgpr4_vgpr5
	s_and_saveexec_b64 s[22:23], s[14:15]
	s_xor_b64 s[14:15], exec, s[22:23]
	s_cbranch_execz .LBB56_21
; %bb.20:                               ;   in Loop: Header=BB56_7 Depth=2
	global_load_dwordx2 v[4:5], v[2:3], off offset:128
.LBB56_21:                              ;   in Loop: Header=BB56_7 Depth=2
	s_andn2_saveexec_b64 s[14:15], s[14:15]
	s_cbranch_execz .LBB56_23
; %bb.22:                               ;   in Loop: Header=BB56_7 Depth=2
	v_cndmask_b32_e64 v11, 0, v60, s[18:19]
	s_waitcnt vmcnt(0)
	v_mov_b32_e32 v4, v10
	v_mov_b32_e32 v5, v11
.LBB56_23:                              ;   in Loop: Header=BB56_7 Depth=2
	s_or_b64 exec, exec, s[14:15]
	s_or_b64 s[12:13], s[8:9], s[12:13]
	s_or_b64 s[12:13], s[12:13], s[10:11]
	s_nor_b64 s[12:13], s[16:17], s[12:13]
	s_waitcnt vmcnt(0)
	ds_write_b64 v52, v[4:5] offset:4096
	s_and_saveexec_b64 s[14:15], s[12:13]
	s_xor_b64 s[14:15], exec, s[14:15]
	s_cbranch_execz .LBB56_25
; %bb.24:                               ;   in Loop: Header=BB56_7 Depth=2
	v_add_co_u32_e64 v2, s[12:13], v39, v29
	v_addc_co_u32_e64 v3, s[12:13], v40, v30, s[12:13]
	global_load_dwordx2 v[2:3], v[2:3], off offset:128
	s_waitcnt vmcnt(0)
	ds_write_b64 v52, v[2:3] offset:4224
.LBB56_25:                              ;   in Loop: Header=BB56_7 Depth=2
	s_andn2_saveexec_b64 s[12:13], s[14:15]
	s_cbranch_execz .LBB56_31
; %bb.26:                               ;   in Loop: Header=BB56_7 Depth=2
	s_xor_b64 s[10:11], s[10:11], -1
	s_and_saveexec_b64 s[14:15], s[10:11]
	s_xor_b64 s[10:11], exec, s[14:15]
; %bb.27:                               ;   in Loop: Header=BB56_7 Depth=2
	v_mov_b32_e32 v11, v10
	ds_write_b64 v52, v[10:11] offset:4224
; %bb.28:                               ;   in Loop: Header=BB56_7 Depth=2
	s_andn2_saveexec_b64 s[10:11], s[10:11]
; %bb.29:                               ;   in Loop: Header=BB56_7 Depth=2
	v_mov_b32_e32 v11, v60
	ds_write_b64 v52, v[10:11] offset:4224
; %bb.30:                               ;   in Loop: Header=BB56_7 Depth=2
	s_or_b64 exec, exec, s[10:11]
.LBB56_31:                              ;   in Loop: Header=BB56_7 Depth=2
	s_or_b64 exec, exec, s[12:13]
	v_mov_b32_e32 v3, s29
	v_add_co_u32_e64 v2, s[10:11], s28, v1
	v_addc_co_u32_e64 v3, s[10:11], 0, v3, s[10:11]
	v_add_co_u32_e64 v4, s[10:11], v41, v55
	v_addc_co_u32_e64 v5, s[10:11], v42, v56, s[10:11]
	v_cmp_le_i64_e64 s[10:11], s[30:31], v[2:3]
	v_mov_b32_e32 v6, 0
	v_mov_b32_e32 v7, 0
	s_nor_b64 s[14:15], s[10:11], vcc
	s_and_saveexec_b64 s[12:13], s[14:15]
	s_cbranch_execz .LBB56_33
; %bb.32:                               ;   in Loop: Header=BB56_7 Depth=2
	global_load_dwordx2 v[6:7], v[4:5], off offset:-128
.LBB56_33:                              ;   in Loop: Header=BB56_7 Depth=2
	s_or_b64 exec, exec, s[12:13]
	s_nor_b64 s[10:11], s[10:11], s[0:1]
	s_waitcnt vmcnt(0)
	ds_write_b64 v54, v[6:7]
	s_and_saveexec_b64 s[12:13], s[10:11]
	s_xor_b64 s[10:11], exec, s[12:13]
	s_cbranch_execz .LBB56_35
; %bb.34:                               ;   in Loop: Header=BB56_7 Depth=2
	global_load_dwordx2 v[4:5], v[4:5], off
	s_waitcnt vmcnt(0)
	ds_write_b64 v54, v[4:5] offset:128
.LBB56_35:                              ;   in Loop: Header=BB56_7 Depth=2
	s_andn2_saveexec_b64 s[10:11], s[10:11]
; %bb.36:                               ;   in Loop: Header=BB56_7 Depth=2
	v_mov_b32_e32 v11, v10
	ds_write_b64 v54, v[10:11] offset:128
; %bb.37:                               ;   in Loop: Header=BB56_7 Depth=2
	s_or_b64 exec, exec, s[10:11]
	v_cmp_le_i64_e64 s[10:11], s[40:41], v[2:3]
	v_add_co_u32_e64 v2, s[12:13], v41, v20
	v_mov_b32_e32 v4, 0
	v_addc_co_u32_e64 v3, s[12:13], v42, v59, s[12:13]
	v_mov_b32_e32 v5, 0
	s_nor_b64 s[14:15], s[10:11], vcc
	s_and_saveexec_b64 s[12:13], s[14:15]
	s_cbranch_execz .LBB56_39
; %bb.38:                               ;   in Loop: Header=BB56_7 Depth=2
	global_load_dwordx2 v[4:5], v[2:3], off
.LBB56_39:                              ;   in Loop: Header=BB56_7 Depth=2
	s_or_b64 exec, exec, s[12:13]
	s_nor_b64 s[10:11], s[10:11], s[0:1]
	s_waitcnt vmcnt(0)
	ds_write_b64 v54, v[4:5] offset:4096
	s_and_saveexec_b64 s[12:13], s[10:11]
	s_xor_b64 s[10:11], exec, s[12:13]
	s_cbranch_execz .LBB56_41
; %bb.40:                               ;   in Loop: Header=BB56_7 Depth=2
	global_load_dwordx2 v[2:3], v[2:3], off offset:128
	s_waitcnt vmcnt(0)
	ds_write_b64 v54, v[2:3] offset:4224
.LBB56_41:                              ;   in Loop: Header=BB56_7 Depth=2
	s_andn2_saveexec_b64 s[10:11], s[10:11]
	s_cbranch_execz .LBB56_6
; %bb.42:                               ;   in Loop: Header=BB56_7 Depth=2
	v_mov_b32_e32 v11, v10
	ds_write_b64 v54, v[10:11] offset:4224
	s_branch .LBB56_6
.LBB56_43:                              ;   in Loop: Header=BB56_4 Depth=1
	v_mul_lo_u32 v4, s45, v25
	v_mul_lo_u32 v5, s44, v26
	v_mad_u64_u32 v[2:3], s[8:9], s44, v25, 0
	v_cmp_gt_i32_e64 s[8:9], s30, v25
	v_add3_u32 v3, v3, v5, v4
	v_lshlrev_b64 v[2:3], 3, v[2:3]
	v_mov_b32_e32 v4, s43
	v_add_co_u32_e64 v2, s[10:11], s42, v2
	v_addc_co_u32_e64 v3, s[10:11], v4, v3, s[10:11]
	s_and_b64 s[10:11], s[2:3], s[8:9]
	s_and_saveexec_b64 s[12:13], s[10:11]
	s_cbranch_execz .LBB56_45
; %bb.44:                               ;   in Loop: Header=BB56_4 Depth=1
	buffer_load_dword v4, off, s[52:55], 0  ; 4-byte Folded Reload
	buffer_load_dword v5, off, s[52:55], 0 offset:4 ; 4-byte Folded Reload
	s_waitcnt vmcnt(1)
	v_add_co_u32_e64 v4, s[10:11], v2, v4
	s_waitcnt vmcnt(0)
	v_addc_co_u32_e64 v5, s[10:11], v3, v5, s[10:11]
	global_load_dwordx2 v[6:7], v[4:5], off
	s_waitcnt vmcnt(0)
	v_fma_f64 v[6:7], s[34:35], v[49:50], v[6:7]
	global_store_dwordx2 v[4:5], v[6:7], off
.LBB56_45:                              ;   in Loop: Header=BB56_4 Depth=1
	s_or_b64 exec, exec, s[12:13]
	s_and_b64 s[8:9], s[4:5], s[8:9]
	s_and_saveexec_b64 s[10:11], s[8:9]
	s_cbranch_execz .LBB56_47
; %bb.46:                               ;   in Loop: Header=BB56_4 Depth=1
	v_add_co_u32_e64 v2, s[8:9], v2, v57
	v_addc_co_u32_e64 v3, s[8:9], v3, v58, s[8:9]
	global_load_dwordx2 v[4:5], v[2:3], off
	s_waitcnt vmcnt(0)
	v_fma_f64 v[4:5], s[34:35], v[47:48], v[4:5]
	global_store_dwordx2 v[2:3], v[4:5], off
.LBB56_47:                              ;   in Loop: Header=BB56_4 Depth=1
	s_or_b64 exec, exec, s[10:11]
	v_add_u32_e32 v4, 16, v25
	v_ashrrev_i32_e32 v2, 31, v4
	v_mul_lo_u32 v5, s44, v2
	v_mul_lo_u32 v6, s45, v4
	v_mad_u64_u32 v[2:3], s[8:9], s44, v4, 0
	v_cmp_gt_i32_e64 s[8:9], s30, v4
	v_mov_b32_e32 v4, s43
	v_add3_u32 v3, v3, v5, v6
	v_lshlrev_b64 v[2:3], 3, v[2:3]
	v_add_co_u32_e64 v2, s[10:11], s42, v2
	v_addc_co_u32_e64 v3, s[10:11], v4, v3, s[10:11]
	s_and_b64 s[10:11], s[2:3], s[8:9]
	s_and_saveexec_b64 s[12:13], s[10:11]
	s_cbranch_execz .LBB56_49
; %bb.48:                               ;   in Loop: Header=BB56_4 Depth=1
	buffer_load_dword v4, off, s[52:55], 0  ; 4-byte Folded Reload
	buffer_load_dword v5, off, s[52:55], 0 offset:4 ; 4-byte Folded Reload
	s_waitcnt vmcnt(1)
	v_add_co_u32_e64 v4, s[10:11], v2, v4
	s_waitcnt vmcnt(0)
	v_addc_co_u32_e64 v5, s[10:11], v3, v5, s[10:11]
	global_load_dwordx2 v[6:7], v[4:5], off
	s_waitcnt vmcnt(0)
	v_fma_f64 v[6:7], s[34:35], v[45:46], v[6:7]
	global_store_dwordx2 v[4:5], v[6:7], off
.LBB56_49:                              ;   in Loop: Header=BB56_4 Depth=1
	s_or_b64 exec, exec, s[12:13]
	s_and_b64 s[8:9], s[4:5], s[8:9]
	s_and_saveexec_b64 s[10:11], s[8:9]
	s_cbranch_execz .LBB56_3
; %bb.50:                               ;   in Loop: Header=BB56_4 Depth=1
	v_add_co_u32_e64 v2, s[8:9], v2, v57
	v_addc_co_u32_e64 v3, s[8:9], v3, v58, s[8:9]
	global_load_dwordx2 v[4:5], v[2:3], off
	s_waitcnt vmcnt(0)
	v_fma_f64 v[4:5], s[34:35], v[43:44], v[4:5]
	global_store_dwordx2 v[2:3], v[4:5], off
	s_branch .LBB56_3
.LBB56_51:
	s_endpgm
	.section	.rodata,"a",@progbits
	.p2align	6, 0x0
	.amdhsa_kernel _ZL30rocblas_trmm_outofplace_kernelIdLi32ELi2ELb0ELb0ELb1ELb1EPKdS0_dEv17rocblas_diagonal_iiT6_lPT7_lllS5_lllPT8_llli
		.amdhsa_group_segment_fixed_size 16384
		.amdhsa_private_segment_fixed_size 40
		.amdhsa_kernarg_size 392
		.amdhsa_user_sgpr_count 6
		.amdhsa_user_sgpr_private_segment_buffer 1
		.amdhsa_user_sgpr_dispatch_ptr 0
		.amdhsa_user_sgpr_queue_ptr 0
		.amdhsa_user_sgpr_kernarg_segment_ptr 1
		.amdhsa_user_sgpr_dispatch_id 0
		.amdhsa_user_sgpr_flat_scratch_init 0
		.amdhsa_user_sgpr_private_segment_size 0
		.amdhsa_uses_dynamic_stack 0
		.amdhsa_system_sgpr_private_segment_wavefront_offset 1
		.amdhsa_system_sgpr_workgroup_id_x 1
		.amdhsa_system_sgpr_workgroup_id_y 1
		.amdhsa_system_sgpr_workgroup_id_z 1
		.amdhsa_system_sgpr_workgroup_info 0
		.amdhsa_system_vgpr_workitem_id 1
		.amdhsa_next_free_vgpr 64
		.amdhsa_next_free_sgpr 61
		.amdhsa_reserve_vcc 1
		.amdhsa_reserve_flat_scratch 0
		.amdhsa_float_round_mode_32 0
		.amdhsa_float_round_mode_16_64 0
		.amdhsa_float_denorm_mode_32 3
		.amdhsa_float_denorm_mode_16_64 3
		.amdhsa_dx10_clamp 1
		.amdhsa_ieee_mode 1
		.amdhsa_fp16_overflow 0
		.amdhsa_exception_fp_ieee_invalid_op 0
		.amdhsa_exception_fp_denorm_src 0
		.amdhsa_exception_fp_ieee_div_zero 0
		.amdhsa_exception_fp_ieee_overflow 0
		.amdhsa_exception_fp_ieee_underflow 0
		.amdhsa_exception_fp_ieee_inexact 0
		.amdhsa_exception_int_div_zero 0
	.end_amdhsa_kernel
	.section	.text._ZL30rocblas_trmm_outofplace_kernelIdLi32ELi2ELb0ELb0ELb1ELb1EPKdS0_dEv17rocblas_diagonal_iiT6_lPT7_lllS5_lllPT8_llli,"axG",@progbits,_ZL30rocblas_trmm_outofplace_kernelIdLi32ELi2ELb0ELb0ELb1ELb1EPKdS0_dEv17rocblas_diagonal_iiT6_lPT7_lllS5_lllPT8_llli,comdat
.Lfunc_end56:
	.size	_ZL30rocblas_trmm_outofplace_kernelIdLi32ELi2ELb0ELb0ELb1ELb1EPKdS0_dEv17rocblas_diagonal_iiT6_lPT7_lllS5_lllPT8_llli, .Lfunc_end56-_ZL30rocblas_trmm_outofplace_kernelIdLi32ELi2ELb0ELb0ELb1ELb1EPKdS0_dEv17rocblas_diagonal_iiT6_lPT7_lllS5_lllPT8_llli
                                        ; -- End function
	.set _ZL30rocblas_trmm_outofplace_kernelIdLi32ELi2ELb0ELb0ELb1ELb1EPKdS0_dEv17rocblas_diagonal_iiT6_lPT7_lllS5_lllPT8_llli.num_vgpr, 64
	.set _ZL30rocblas_trmm_outofplace_kernelIdLi32ELi2ELb0ELb0ELb1ELb1EPKdS0_dEv17rocblas_diagonal_iiT6_lPT7_lllS5_lllPT8_llli.num_agpr, 0
	.set _ZL30rocblas_trmm_outofplace_kernelIdLi32ELi2ELb0ELb0ELb1ELb1EPKdS0_dEv17rocblas_diagonal_iiT6_lPT7_lllS5_lllPT8_llli.numbered_sgpr, 56
	.set _ZL30rocblas_trmm_outofplace_kernelIdLi32ELi2ELb0ELb0ELb1ELb1EPKdS0_dEv17rocblas_diagonal_iiT6_lPT7_lllS5_lllPT8_llli.num_named_barrier, 0
	.set _ZL30rocblas_trmm_outofplace_kernelIdLi32ELi2ELb0ELb0ELb1ELb1EPKdS0_dEv17rocblas_diagonal_iiT6_lPT7_lllS5_lllPT8_llli.private_seg_size, 40
	.set _ZL30rocblas_trmm_outofplace_kernelIdLi32ELi2ELb0ELb0ELb1ELb1EPKdS0_dEv17rocblas_diagonal_iiT6_lPT7_lllS5_lllPT8_llli.uses_vcc, 1
	.set _ZL30rocblas_trmm_outofplace_kernelIdLi32ELi2ELb0ELb0ELb1ELb1EPKdS0_dEv17rocblas_diagonal_iiT6_lPT7_lllS5_lllPT8_llli.uses_flat_scratch, 0
	.set _ZL30rocblas_trmm_outofplace_kernelIdLi32ELi2ELb0ELb0ELb1ELb1EPKdS0_dEv17rocblas_diagonal_iiT6_lPT7_lllS5_lllPT8_llli.has_dyn_sized_stack, 0
	.set _ZL30rocblas_trmm_outofplace_kernelIdLi32ELi2ELb0ELb0ELb1ELb1EPKdS0_dEv17rocblas_diagonal_iiT6_lPT7_lllS5_lllPT8_llli.has_recursion, 0
	.set _ZL30rocblas_trmm_outofplace_kernelIdLi32ELi2ELb0ELb0ELb1ELb1EPKdS0_dEv17rocblas_diagonal_iiT6_lPT7_lllS5_lllPT8_llli.has_indirect_call, 0
	.section	.AMDGPU.csdata,"",@progbits
; Kernel info:
; codeLenInByte = 4068
; TotalNumSgprs: 60
; NumVgprs: 64
; ScratchSize: 40
; MemoryBound: 0
; FloatMode: 240
; IeeeMode: 1
; LDSByteSize: 16384 bytes/workgroup (compile time only)
; SGPRBlocks: 8
; VGPRBlocks: 15
; NumSGPRsForWavesPerEU: 65
; NumVGPRsForWavesPerEU: 64
; Occupancy: 4
; WaveLimiterHint : 0
; COMPUTE_PGM_RSRC2:SCRATCH_EN: 1
; COMPUTE_PGM_RSRC2:USER_SGPR: 6
; COMPUTE_PGM_RSRC2:TRAP_HANDLER: 0
; COMPUTE_PGM_RSRC2:TGID_X_EN: 1
; COMPUTE_PGM_RSRC2:TGID_Y_EN: 1
; COMPUTE_PGM_RSRC2:TGID_Z_EN: 1
; COMPUTE_PGM_RSRC2:TIDIG_COMP_CNT: 1
	.section	.text._ZL30rocblas_trmm_outofplace_kernelIdLi32ELi2ELb0ELb0ELb1ELb1EdKddEv17rocblas_diagonal_iiT6_lPT7_lllS4_lllPT8_llli,"axG",@progbits,_ZL30rocblas_trmm_outofplace_kernelIdLi32ELi2ELb0ELb0ELb1ELb1EdKddEv17rocblas_diagonal_iiT6_lPT7_lllS4_lllPT8_llli,comdat
	.globl	_ZL30rocblas_trmm_outofplace_kernelIdLi32ELi2ELb0ELb0ELb1ELb1EdKddEv17rocblas_diagonal_iiT6_lPT7_lllS4_lllPT8_llli ; -- Begin function _ZL30rocblas_trmm_outofplace_kernelIdLi32ELi2ELb0ELb0ELb1ELb1EdKddEv17rocblas_diagonal_iiT6_lPT7_lllS4_lllPT8_llli
	.p2align	8
	.type	_ZL30rocblas_trmm_outofplace_kernelIdLi32ELi2ELb0ELb0ELb1ELb1EdKddEv17rocblas_diagonal_iiT6_lPT7_lllS4_lllPT8_llli,@function
_ZL30rocblas_trmm_outofplace_kernelIdLi32ELi2ELb0ELb0ELb1ELb1EdKddEv17rocblas_diagonal_iiT6_lPT7_lllS4_lllPT8_llli: ; @_ZL30rocblas_trmm_outofplace_kernelIdLi32ELi2ELb0ELb0ELb1ELb1EdKddEv17rocblas_diagonal_iiT6_lPT7_lllS4_lllPT8_llli
; %bb.0:
	s_load_dwordx2 s[34:35], s[4:5], 0x10
	s_mov_b64 s[50:51], s[2:3]
	s_mov_b64 s[48:49], s[0:1]
	s_add_u32 s48, s48, s9
	s_addc_u32 s49, s49, 0
	s_waitcnt lgkmcnt(0)
	v_cmp_eq_f64_e64 s[0:1], s[34:35], 0
	s_and_b64 vcc, exec, s[0:1]
	s_cbranch_vccnz .LBB57_51
; %bb.1:
	s_load_dwordx4 s[28:31], s[4:5], 0x0
	s_waitcnt lgkmcnt(0)
	s_add_i32 s0, s30, -1
	s_ashr_i32 s1, s0, 31
	s_lshr_b32 s1, s1, 27
	s_add_i32 s0, s0, s1
	s_ashr_i32 s33, s0, 5
	s_cmp_gt_i32 s7, s33
	s_cbranch_scc1 .LBB57_51
; %bb.2:
	s_load_dwordx16 s[12:27], s[4:5], 0x20
	s_load_dwordx8 s[36:43], s[4:5], 0x60
	v_lshlrev_b32_e32 v51, 8, v1
	v_mov_b32_e32 v10, 0
	v_lshl_add_u32 v15, s7, 5, v1
	s_waitcnt lgkmcnt(0)
	s_mul_i32 s1, s19, s8
	s_mul_hi_u32 s2, s18, s8
	s_mul_i32 s0, s18, s8
	s_add_i32 s1, s2, s1
	s_lshl_b64 s[10:11], s[0:1], 3
	s_add_u32 s0, s12, s10
	s_addc_u32 s1, s13, s11
	s_lshl_b64 s[14:15], s[14:15], 3
	s_add_u32 s2, s0, s14
	s_addc_u32 s3, s1, s15
	s_mul_i32 s0, s27, s8
	s_mul_hi_u32 s1, s26, s8
	s_add_i32 s1, s1, s0
	s_mul_i32 s0, s26, s8
	s_lshl_b64 s[0:1], s[0:1], 3
	s_add_u32 s9, s20, s0
	s_addc_u32 s18, s21, s1
	s_lshl_b64 s[0:1], s[22:23], 3
	s_add_u32 s9, s9, s0
	s_addc_u32 s18, s18, s1
	s_mul_i32 s0, s43, s8
	s_mul_hi_u32 s1, s42, s8
	s_add_i32 s1, s1, s0
	s_mul_i32 s0, s42, s8
	s_lshl_b64 s[0:1], s[0:1], 3
	s_add_u32 s8, s36, s0
	s_addc_u32 s19, s37, s1
	v_mad_u64_u32 v[2:3], s[0:1], s16, v0, 0
	s_lshl_b64 s[0:1], s[38:39], 3
	s_add_u32 s44, s8, s0
	s_addc_u32 s45, s19, s1
	v_mad_u64_u32 v[3:4], s[0:1], s17, v0, v[3:4]
	v_lshl_add_u32 v4, s6, 5, v0
	v_ashrrev_i32_e32 v5, 31, v4
	v_lshlrev_b64 v[2:3], 3, v[2:3]
	v_mov_b32_e32 v6, s3
	v_add_co_u32_e32 v2, vcc, s2, v2
	v_addc_co_u32_e32 v3, vcc, v6, v3, vcc
	v_lshlrev_b64 v[6:7], 3, v[4:5]
	buffer_store_dword v2, off, s[48:51], 0 offset:8 ; 4-byte Folded Spill
	s_nop 0
	buffer_store_dword v3, off, s[48:51], 0 offset:12 ; 4-byte Folded Spill
	v_add_co_u32_e32 v8, vcc, s9, v6
	buffer_store_dword v6, off, s[48:51], 0 ; 4-byte Folded Spill
	s_nop 0
	buffer_store_dword v7, off, s[48:51], 0 offset:4 ; 4-byte Folded Spill
	v_mov_b32_e32 v2, s18
	s_cmpk_eq_i32 s28, 0x84
	s_cselect_b64 s[26:27], -1, 0
	s_ashr_i32 s0, s29, 31
	v_mov_b32_e32 v3, s0
	s_ashr_i32 s31, s30, 31
	s_lshl_b64 s[36:37], s[16:17], 8
	s_lshl_b64 s[38:39], s[24:25], 8
	s_movk_i32 s8, 0x80
	s_add_u32 s42, s30, -16
	s_addc_u32 s43, s31, -1
	v_mov_b32_e32 v60, 0x3ff00000
	v_addc_co_u32_e32 v9, vcc, v2, v7, vcc
	v_sub_co_u32_e32 v2, vcc, s29, v4
	v_subb_co_u32_e32 v3, vcc, v3, v5, vcc
	v_cmp_gt_i64_e32 vcc, 1, v[2:3]
	v_cmp_gt_i64_e64 s[0:1], 17, v[2:3]
	v_mad_u64_u32 v[2:3], s[2:3], s24, v1, 0
	buffer_store_dword v8, off, s[48:51], 0 offset:16 ; 4-byte Folded Spill
	s_nop 0
	buffer_store_dword v9, off, s[48:51], 0 offset:20 ; 4-byte Folded Spill
	v_cmp_gt_i32_e64 s[2:3], s29, v4
	v_add_u32_e32 v4, 16, v4
	s_load_dword s6, s[4:5], 0x8c
	v_mad_u64_u32 v[6:7], s[4:5], s25, v1, v[3:4]
	v_lshlrev_b32_e32 v8, 3, v0
	v_add_u32_e32 v52, v51, v8
	v_mov_b32_e32 v3, v6
	v_lshlrev_b64 v[2:3], 3, v[2:3]
	s_waitcnt lgkmcnt(0)
	s_lshl_b32 s46, s6, 5
	v_add_co_u32_e64 v55, s[8:9], s8, v2
	v_addc_co_u32_e64 v56, s[8:9], 0, v3, s[8:9]
	s_add_u32 s8, s12, s14
	s_addc_u32 s9, s13, s15
	s_add_u32 s8, s8, s10
	s_addc_u32 s9, s9, s11
	v_mov_b32_e32 v2, s8
	v_add_u32_e32 v6, 0x80, v8
	v_mov_b32_e32 v3, s9
	v_or_b32_e32 v53, 0x2000, v8
	v_mad_u64_u32 v[8:9], s[8:9], s16, v6, v[2:3]
	v_mov_b32_e32 v2, 0x80
	v_lshl_add_u32 v7, v1, 3, v2
	v_mad_u64_u32 v[20:21], s[8:9], s24, v7, 0
	v_mov_b32_e32 v2, v9
	v_mad_u64_u32 v[2:3], s[8:9], s17, v6, v[2:3]
	v_mov_b32_e32 v3, v21
	v_mad_u64_u32 v[6:7], s[8:9], s25, v7, v[3:4]
	v_ashrrev_i32_e32 v5, 31, v4
	v_sub_co_u32_e64 v63, s[8:9], 0, v0
	v_lshlrev_b64 v[57:58], 3, v[4:5]
	v_add_u32_e32 v54, v53, v51
	v_cmp_gt_i32_e64 s[4:5], s29, v4
	v_subb_co_u32_e64 v3, s[8:9], 0, 0, s[8:9]
	v_mov_b32_e32 v9, v2
	v_mov_b32_e32 v59, v6
	buffer_store_dword v3, off, s[48:51], 0 offset:32 ; 4-byte Folded Spill
	buffer_store_dword v8, off, s[48:51], 0 offset:24 ; 4-byte Folded Spill
	s_nop 0
	buffer_store_dword v9, off, s[48:51], 0 offset:28 ; 4-byte Folded Spill
	s_branch .LBB57_4
.LBB57_3:                               ;   in Loop: Header=BB57_4 Depth=1
	s_or_b64 exec, exec, s[10:11]
	s_add_i32 s7, s6, s7
	s_cmp_le_i32 s7, s33
	v_add_u32_e32 v15, s46, v15
	s_cbranch_scc0 .LBB57_51
.LBB57_4:                               ; =>This Loop Header: Depth=1
                                        ;     Child Loop BB57_7 Depth 2
	s_lshl_b32 s47, s7, 5
	v_add_u32_e32 v25, s47, v1
	v_mov_b32_e32 v49, 0
	v_mov_b32_e32 v47, 0
	;; [unrolled: 1-line block ×5, first 2 shown]
	s_cmp_lt_i32 s7, 0
	v_mov_b32_e32 v48, 0
	v_mov_b32_e32 v46, 0
	;; [unrolled: 1-line block ×3, first 2 shown]
	v_ashrrev_i32_e32 v26, 31, v25
	s_cbranch_scc1 .LBB57_43
; %bb.5:                                ;   in Loop: Header=BB57_4 Depth=1
	buffer_load_dword v2, off, s[48:51], 0 offset:32 ; 4-byte Folded Reload
	buffer_load_dword v37, off, s[48:51], 0 offset:8 ; 4-byte Folded Reload
	buffer_load_dword v38, off, s[48:51], 0 offset:12 ; 4-byte Folded Reload
	buffer_load_dword v39, off, s[48:51], 0 offset:24 ; 4-byte Folded Reload
	buffer_load_dword v40, off, s[48:51], 0 offset:28 ; 4-byte Folded Reload
	buffer_load_dword v41, off, s[48:51], 0 offset:16 ; 4-byte Folded Reload
	buffer_load_dword v42, off, s[48:51], 0 offset:20 ; 4-byte Folded Reload
	v_ashrrev_i32_e32 v16, 31, v15
	v_add_co_u32_e64 v27, s[8:9], v63, v15
	v_add_co_u32_e64 v33, s[10:11], 16, v27
	v_lshlrev_b64 v[29:30], 3, v[15:16]
	v_mov_b32_e32 v43, 0
	v_mov_b32_e32 v45, 0
	;; [unrolled: 1-line block ×4, first 2 shown]
	v_cmp_le_i32_e64 s[20:21], s30, v25
	v_mov_b32_e32 v44, 0
	s_mov_b64 s[24:25], 0
	v_mov_b32_e32 v46, 0
	v_mov_b32_e32 v48, 0
	;; [unrolled: 1-line block ×3, first 2 shown]
	s_waitcnt vmcnt(6)
	v_addc_co_u32_e64 v28, s[8:9], v2, v16, s[8:9]
	v_add_co_u32_e64 v31, s[8:9], 16, v25
	v_addc_co_u32_e64 v32, s[8:9], 0, v26, s[8:9]
	v_addc_co_u32_e64 v34, s[10:11], 0, v28, s[10:11]
	v_cmp_le_i64_e64 s[8:9], s[30:31], v[31:32]
	v_add_co_u32_e64 v35, s[10:11], -16, v27
	v_addc_co_u32_e64 v36, s[10:11], -1, v28, s[10:11]
	s_branch .LBB57_7
.LBB57_6:                               ;   in Loop: Header=BB57_7 Depth=2
	s_or_b64 exec, exec, s[10:11]
	s_waitcnt lgkmcnt(0)
	s_barrier
	ds_read_b128 v[16:19], v51
	ds_read_b128 v[11:14], v51 offset:16
	ds_read_b128 v[6:9], v51 offset:32
	ds_read_b128 v[2:5], v51 offset:48
	ds_read2_b64 v[21:24], v53 offset1:16
	v_add_co_u32_e64 v41, s[10:11], s38, v41
	s_add_u32 s24, s24, 32
	s_addc_u32 s25, s25, 0
	s_waitcnt lgkmcnt(0)
	v_fma_f64 v[61:62], v[21:22], v[16:17], v[49:50]
	v_fma_f64 v[16:17], v[23:24], v[16:17], v[47:48]
	ds_read_b128 v[47:50], v51 offset:4096
	s_sub_i32 s12, s24, 32
	s_cmp_ge_i32 s12, s47
	s_waitcnt lgkmcnt(0)
	v_fma_f64 v[45:46], v[21:22], v[47:48], v[45:46]
	v_fma_f64 v[43:44], v[23:24], v[47:48], v[43:44]
	ds_read2_b64 v[21:24], v53 offset0:32 offset1:48
	s_waitcnt lgkmcnt(0)
	v_fma_f64 v[47:48], v[21:22], v[18:19], v[61:62]
	v_fma_f64 v[61:62], v[23:24], v[18:19], v[16:17]
	v_fma_f64 v[45:46], v[21:22], v[49:50], v[45:46]
	v_fma_f64 v[43:44], v[23:24], v[49:50], v[43:44]
	ds_read2_b64 v[16:19], v53 offset0:64 offset1:80
	ds_read_b128 v[21:24], v51 offset:4112
	s_waitcnt lgkmcnt(1)
	v_fma_f64 v[47:48], v[16:17], v[11:12], v[47:48]
	v_fma_f64 v[11:12], v[18:19], v[11:12], v[61:62]
	s_waitcnt lgkmcnt(0)
	v_fma_f64 v[45:46], v[16:17], v[21:22], v[45:46]
	v_fma_f64 v[21:22], v[18:19], v[21:22], v[43:44]
	ds_read2_b64 v[16:19], v53 offset0:96 offset1:112
	s_waitcnt lgkmcnt(0)
	v_fma_f64 v[43:44], v[16:17], v[13:14], v[47:48]
	v_fma_f64 v[47:48], v[18:19], v[13:14], v[11:12]
	v_fma_f64 v[45:46], v[16:17], v[23:24], v[45:46]
	v_fma_f64 v[21:22], v[18:19], v[23:24], v[21:22]
	ds_read2_b64 v[11:14], v53 offset0:128 offset1:144
	ds_read_b128 v[16:19], v51 offset:4128
	s_waitcnt lgkmcnt(1)
	v_fma_f64 v[23:24], v[11:12], v[6:7], v[43:44]
	v_fma_f64 v[6:7], v[13:14], v[6:7], v[47:48]
	;; [unrolled: 14-line block ×3, first 2 shown]
	s_waitcnt lgkmcnt(0)
	v_fma_f64 v[21:22], v[6:7], v[11:12], v[43:44]
	v_fma_f64 v[11:12], v[8:9], v[11:12], v[16:17]
	ds_read2_b64 v[6:9], v53 offset0:224 offset1:240
	s_waitcnt lgkmcnt(0)
	v_fma_f64 v[16:17], v[6:7], v[4:5], v[18:19]
	v_fma_f64 v[18:19], v[8:9], v[4:5], v[2:3]
	v_add_u32_e32 v2, 0x800, v53
	v_fma_f64 v[21:22], v[6:7], v[13:14], v[21:22]
	v_fma_f64 v[7:8], v[8:9], v[13:14], v[11:12]
	ds_read_b128 v[3:6], v51 offset:64
	ds_read2_b64 v[11:14], v2 offset1:16
	s_waitcnt lgkmcnt(0)
	v_fma_f64 v[23:24], v[11:12], v[3:4], v[16:17]
	v_fma_f64 v[3:4], v[13:14], v[3:4], v[18:19]
	ds_read_b128 v[16:19], v51 offset:4160
	s_waitcnt lgkmcnt(0)
	v_fma_f64 v[21:22], v[11:12], v[16:17], v[21:22]
	v_fma_f64 v[7:8], v[13:14], v[16:17], v[7:8]
	ds_read2_b64 v[11:14], v2 offset0:32 offset1:48
	s_waitcnt lgkmcnt(0)
	v_fma_f64 v[16:17], v[11:12], v[5:6], v[23:24]
	v_fma_f64 v[23:24], v[13:14], v[5:6], v[3:4]
	v_fma_f64 v[21:22], v[11:12], v[18:19], v[21:22]
	v_fma_f64 v[7:8], v[13:14], v[18:19], v[7:8]
	ds_read_b128 v[3:6], v51 offset:80
	ds_read2_b64 v[11:14], v2 offset0:64 offset1:80
	s_waitcnt lgkmcnt(0)
	v_fma_f64 v[43:44], v[11:12], v[3:4], v[16:17]
	ds_read_b128 v[16:19], v51 offset:4176
	v_fma_f64 v[3:4], v[13:14], v[3:4], v[23:24]
	s_waitcnt lgkmcnt(0)
	v_fma_f64 v[21:22], v[11:12], v[16:17], v[21:22]
	v_fma_f64 v[7:8], v[13:14], v[16:17], v[7:8]
	ds_read2_b64 v[11:14], v2 offset0:96 offset1:112
	s_waitcnt lgkmcnt(0)
	v_fma_f64 v[16:17], v[11:12], v[5:6], v[43:44]
	v_fma_f64 v[23:24], v[13:14], v[5:6], v[3:4]
	v_fma_f64 v[21:22], v[11:12], v[18:19], v[21:22]
	v_fma_f64 v[7:8], v[13:14], v[18:19], v[7:8]
	ds_read_b128 v[3:6], v51 offset:96
	ds_read2_b64 v[11:14], v2 offset0:128 offset1:144
	s_waitcnt lgkmcnt(0)
	v_fma_f64 v[43:44], v[11:12], v[3:4], v[16:17]
	ds_read_b128 v[16:19], v51 offset:4192
	v_fma_f64 v[3:4], v[13:14], v[3:4], v[23:24]
	s_waitcnt lgkmcnt(0)
	v_fma_f64 v[21:22], v[11:12], v[16:17], v[21:22]
	v_fma_f64 v[7:8], v[13:14], v[16:17], v[7:8]
	ds_read2_b64 v[11:14], v2 offset0:160 offset1:176
	s_waitcnt lgkmcnt(0)
	v_fma_f64 v[16:17], v[11:12], v[5:6], v[43:44]
	v_fma_f64 v[23:24], v[13:14], v[5:6], v[3:4]
	v_fma_f64 v[21:22], v[11:12], v[18:19], v[21:22]
	v_fma_f64 v[7:8], v[13:14], v[18:19], v[7:8]
	ds_read_b128 v[3:6], v51 offset:112
	ds_read2_b64 v[11:14], v2 offset0:192 offset1:208
	s_waitcnt lgkmcnt(0)
	v_fma_f64 v[43:44], v[11:12], v[3:4], v[16:17]
	ds_read_b128 v[16:19], v51 offset:4208
	v_fma_f64 v[3:4], v[13:14], v[3:4], v[23:24]
	s_waitcnt lgkmcnt(0)
	v_fma_f64 v[21:22], v[11:12], v[16:17], v[21:22]
	v_fma_f64 v[7:8], v[13:14], v[16:17], v[7:8]
	ds_read2_b64 v[11:14], v2 offset0:224 offset1:240
	v_add_u32_e32 v2, 0x1000, v53
	s_waitcnt lgkmcnt(0)
	v_fma_f64 v[16:17], v[11:12], v[5:6], v[43:44]
	v_fma_f64 v[23:24], v[13:14], v[5:6], v[3:4]
	;; [unrolled: 1-line block ×4, first 2 shown]
	ds_read_b128 v[3:6], v51 offset:128
	ds_read2_b64 v[11:14], v2 offset1:16
	s_waitcnt lgkmcnt(0)
	v_fma_f64 v[43:44], v[11:12], v[3:4], v[16:17]
	ds_read_b128 v[16:19], v51 offset:4224
	v_fma_f64 v[3:4], v[13:14], v[3:4], v[23:24]
	s_waitcnt lgkmcnt(0)
	v_fma_f64 v[21:22], v[11:12], v[16:17], v[21:22]
	v_fma_f64 v[7:8], v[13:14], v[16:17], v[7:8]
	ds_read2_b64 v[11:14], v2 offset0:32 offset1:48
	s_waitcnt lgkmcnt(0)
	v_fma_f64 v[16:17], v[11:12], v[5:6], v[43:44]
	v_fma_f64 v[23:24], v[13:14], v[5:6], v[3:4]
	v_fma_f64 v[21:22], v[11:12], v[18:19], v[21:22]
	v_fma_f64 v[7:8], v[13:14], v[18:19], v[7:8]
	ds_read_b128 v[3:6], v51 offset:144
	ds_read2_b64 v[11:14], v2 offset0:64 offset1:80
	s_waitcnt lgkmcnt(0)
	v_fma_f64 v[43:44], v[11:12], v[3:4], v[16:17]
	ds_read_b128 v[16:19], v51 offset:4240
	v_fma_f64 v[3:4], v[13:14], v[3:4], v[23:24]
	s_waitcnt lgkmcnt(0)
	v_fma_f64 v[21:22], v[11:12], v[16:17], v[21:22]
	v_fma_f64 v[7:8], v[13:14], v[16:17], v[7:8]
	ds_read2_b64 v[11:14], v2 offset0:96 offset1:112
	s_waitcnt lgkmcnt(0)
	v_fma_f64 v[16:17], v[11:12], v[5:6], v[43:44]
	v_fma_f64 v[23:24], v[13:14], v[5:6], v[3:4]
	v_fma_f64 v[21:22], v[11:12], v[18:19], v[21:22]
	v_fma_f64 v[7:8], v[13:14], v[18:19], v[7:8]
	ds_read_b128 v[3:6], v51 offset:160
	ds_read2_b64 v[11:14], v2 offset0:128 offset1:144
	;; [unrolled: 15-line block ×3, first 2 shown]
	s_waitcnt lgkmcnt(0)
	v_fma_f64 v[43:44], v[11:12], v[3:4], v[16:17]
	ds_read_b128 v[16:19], v51 offset:4272
	v_fma_f64 v[3:4], v[13:14], v[3:4], v[23:24]
	s_waitcnt lgkmcnt(0)
	v_fma_f64 v[21:22], v[11:12], v[16:17], v[21:22]
	v_fma_f64 v[7:8], v[13:14], v[16:17], v[7:8]
	ds_read2_b64 v[11:14], v2 offset0:224 offset1:240
	v_add_u32_e32 v2, 0x1800, v53
	s_waitcnt lgkmcnt(0)
	v_fma_f64 v[16:17], v[11:12], v[5:6], v[43:44]
	v_fma_f64 v[23:24], v[13:14], v[5:6], v[3:4]
	;; [unrolled: 1-line block ×4, first 2 shown]
	ds_read_b128 v[3:6], v51 offset:192
	ds_read2_b64 v[11:14], v2 offset1:16
	s_waitcnt lgkmcnt(0)
	v_fma_f64 v[43:44], v[11:12], v[3:4], v[16:17]
	ds_read_b128 v[16:19], v51 offset:4288
	v_fma_f64 v[3:4], v[13:14], v[3:4], v[23:24]
	s_waitcnt lgkmcnt(0)
	v_fma_f64 v[21:22], v[11:12], v[16:17], v[21:22]
	v_fma_f64 v[7:8], v[13:14], v[16:17], v[7:8]
	ds_read2_b64 v[11:14], v2 offset0:32 offset1:48
	s_waitcnt lgkmcnt(0)
	v_fma_f64 v[16:17], v[11:12], v[5:6], v[43:44]
	v_fma_f64 v[23:24], v[13:14], v[5:6], v[3:4]
	v_fma_f64 v[21:22], v[11:12], v[18:19], v[21:22]
	v_fma_f64 v[7:8], v[13:14], v[18:19], v[7:8]
	ds_read_b128 v[3:6], v51 offset:208
	ds_read2_b64 v[11:14], v2 offset0:64 offset1:80
	s_waitcnt lgkmcnt(0)
	v_fma_f64 v[43:44], v[11:12], v[3:4], v[16:17]
	ds_read_b128 v[16:19], v51 offset:4304
	v_fma_f64 v[3:4], v[13:14], v[3:4], v[23:24]
	s_waitcnt lgkmcnt(0)
	v_fma_f64 v[21:22], v[11:12], v[16:17], v[21:22]
	v_fma_f64 v[7:8], v[13:14], v[16:17], v[7:8]
	ds_read2_b64 v[11:14], v2 offset0:96 offset1:112
	s_waitcnt lgkmcnt(0)
	v_fma_f64 v[16:17], v[11:12], v[5:6], v[43:44]
	v_fma_f64 v[23:24], v[13:14], v[5:6], v[3:4]
	v_fma_f64 v[21:22], v[11:12], v[18:19], v[21:22]
	v_fma_f64 v[7:8], v[13:14], v[18:19], v[7:8]
	ds_read_b128 v[3:6], v51 offset:224
	ds_read2_b64 v[11:14], v2 offset0:128 offset1:144
	;; [unrolled: 15-line block ×3, first 2 shown]
	s_waitcnt lgkmcnt(0)
	v_fma_f64 v[43:44], v[11:12], v[3:4], v[16:17]
	ds_read_b128 v[16:19], v51 offset:4336
	v_fma_f64 v[3:4], v[13:14], v[3:4], v[23:24]
	s_waitcnt lgkmcnt(0)
	v_fma_f64 v[21:22], v[11:12], v[16:17], v[21:22]
	v_fma_f64 v[7:8], v[13:14], v[16:17], v[7:8]
	ds_read2_b64 v[11:14], v2 offset0:224 offset1:240
	v_mov_b32_e32 v2, s39
	v_addc_co_u32_e64 v42, s[10:11], v42, v2, s[10:11]
	v_add_co_u32_e64 v39, s[10:11], s36, v39
	s_waitcnt lgkmcnt(0)
	v_fma_f64 v[49:50], v[11:12], v[5:6], v[43:44]
	v_fma_f64 v[47:48], v[13:14], v[5:6], v[3:4]
	;; [unrolled: 1-line block ×4, first 2 shown]
	v_mov_b32_e32 v2, s37
	v_addc_co_u32_e64 v40, s[10:11], v40, v2, s[10:11]
	v_add_co_u32_e64 v37, s[10:11], s36, v37
	v_addc_co_u32_e64 v38, s[10:11], v38, v2, s[10:11]
	s_barrier
	s_cbranch_scc1 .LBB57_43
.LBB57_7:                               ;   Parent Loop BB57_4 Depth=1
                                        ; =>  This Inner Loop Header: Depth=2
	v_mov_b32_e32 v2, s25
	v_add_co_u32_e64 v4, s[10:11], s24, v0
	v_addc_co_u32_e64 v5, s[10:11], 0, v2, s[10:11]
	s_waitcnt vmcnt(5)
	v_add_co_u32_e64 v2, s[12:13], v37, v29
	s_waitcnt vmcnt(4)
	v_addc_co_u32_e64 v3, s[12:13], v38, v30, s[12:13]
	v_cmp_eq_u64_e64 s[10:11], s[24:25], v[27:28]
	v_cmp_gt_i64_e64 s[12:13], v[4:5], v[25:26]
	s_and_b64 s[10:11], s[26:27], s[10:11]
	v_cmp_le_i64_e64 s[14:15], s[30:31], v[4:5]
	s_or_b64 s[16:17], s[20:21], s[12:13]
	s_or_b64 s[16:17], s[16:17], s[10:11]
	s_nor_b64 s[16:17], s[14:15], s[16:17]
                                        ; implicit-def: $vgpr6_vgpr7
	s_and_saveexec_b64 s[18:19], s[16:17]
	s_xor_b64 s[16:17], exec, s[18:19]
	s_cbranch_execz .LBB57_9
; %bb.8:                                ;   in Loop: Header=BB57_7 Depth=2
	global_load_dwordx2 v[6:7], v[2:3], off
.LBB57_9:                               ;   in Loop: Header=BB57_7 Depth=2
	s_andn2_saveexec_b64 s[16:17], s[16:17]
	s_cbranch_execz .LBB57_11
; %bb.10:                               ;   in Loop: Header=BB57_7 Depth=2
	v_cndmask_b32_e64 v11, 0, v60, s[10:11]
	s_waitcnt vmcnt(0)
	v_mov_b32_e32 v6, v10
	v_mov_b32_e32 v7, v11
.LBB57_11:                              ;   in Loop: Header=BB57_7 Depth=2
	s_or_b64 exec, exec, s[16:17]
	s_waitcnt vmcnt(0)
	ds_write_b64 v52, v[6:7]
	v_add_co_u32_e64 v6, s[18:19], 16, v4
	v_addc_co_u32_e64 v7, s[18:19], 0, v5, s[18:19]
	v_cmp_eq_u64_e64 s[16:17], s[24:25], v[35:36]
	v_cmp_gt_i64_e64 s[18:19], v[6:7], v[25:26]
	s_and_b64 s[22:23], s[26:27], s[16:17]
	v_cmp_le_i64_e64 s[16:17], s[30:31], v[6:7]
	s_or_b64 s[18:19], s[20:21], s[18:19]
	s_or_b64 s[18:19], s[18:19], s[22:23]
	s_nor_b64 s[18:19], s[16:17], s[18:19]
	s_and_saveexec_b64 s[28:29], s[18:19]
	s_xor_b64 s[28:29], exec, s[28:29]
	s_cbranch_execz .LBB57_13
; %bb.12:                               ;   in Loop: Header=BB57_7 Depth=2
	v_add_co_u32_e64 v6, s[18:19], v39, v29
	v_addc_co_u32_e64 v7, s[18:19], v40, v30, s[18:19]
	global_load_dwordx2 v[6:7], v[6:7], off
	s_waitcnt vmcnt(0)
	ds_write_b64 v52, v[6:7] offset:128
.LBB57_13:                              ;   in Loop: Header=BB57_7 Depth=2
	s_andn2_saveexec_b64 s[18:19], s[28:29]
	s_cbranch_execz .LBB57_19
; %bb.14:                               ;   in Loop: Header=BB57_7 Depth=2
	s_xor_b64 s[22:23], s[22:23], -1
	s_and_saveexec_b64 s[28:29], s[22:23]
	s_xor_b64 s[22:23], exec, s[28:29]
; %bb.15:                               ;   in Loop: Header=BB57_7 Depth=2
	v_mov_b32_e32 v11, v10
	ds_write_b64 v52, v[10:11] offset:128
; %bb.16:                               ;   in Loop: Header=BB57_7 Depth=2
	s_andn2_saveexec_b64 s[22:23], s[22:23]
; %bb.17:                               ;   in Loop: Header=BB57_7 Depth=2
	v_mov_b32_e32 v11, v60
	ds_write_b64 v52, v[10:11] offset:128
; %bb.18:                               ;   in Loop: Header=BB57_7 Depth=2
	s_or_b64 exec, exec, s[22:23]
.LBB57_19:                              ;   in Loop: Header=BB57_7 Depth=2
	s_or_b64 exec, exec, s[18:19]
	v_cmp_eq_u64_e64 s[18:19], s[24:25], v[33:34]
	v_cmp_gt_i64_e64 s[22:23], v[4:5], v[31:32]
	s_and_b64 s[18:19], s[26:27], s[18:19]
	s_or_b64 s[22:23], s[8:9], s[22:23]
	s_or_b64 s[22:23], s[22:23], s[18:19]
	s_nor_b64 s[14:15], s[14:15], s[22:23]
                                        ; implicit-def: $vgpr4_vgpr5
	s_and_saveexec_b64 s[22:23], s[14:15]
	s_xor_b64 s[14:15], exec, s[22:23]
	s_cbranch_execz .LBB57_21
; %bb.20:                               ;   in Loop: Header=BB57_7 Depth=2
	global_load_dwordx2 v[4:5], v[2:3], off offset:128
.LBB57_21:                              ;   in Loop: Header=BB57_7 Depth=2
	s_andn2_saveexec_b64 s[14:15], s[14:15]
	s_cbranch_execz .LBB57_23
; %bb.22:                               ;   in Loop: Header=BB57_7 Depth=2
	v_cndmask_b32_e64 v11, 0, v60, s[18:19]
	s_waitcnt vmcnt(0)
	v_mov_b32_e32 v4, v10
	v_mov_b32_e32 v5, v11
.LBB57_23:                              ;   in Loop: Header=BB57_7 Depth=2
	s_or_b64 exec, exec, s[14:15]
	s_or_b64 s[12:13], s[8:9], s[12:13]
	s_or_b64 s[12:13], s[12:13], s[10:11]
	s_nor_b64 s[12:13], s[16:17], s[12:13]
	s_waitcnt vmcnt(0)
	ds_write_b64 v52, v[4:5] offset:4096
	s_and_saveexec_b64 s[14:15], s[12:13]
	s_xor_b64 s[14:15], exec, s[14:15]
	s_cbranch_execz .LBB57_25
; %bb.24:                               ;   in Loop: Header=BB57_7 Depth=2
	v_add_co_u32_e64 v2, s[12:13], v39, v29
	v_addc_co_u32_e64 v3, s[12:13], v40, v30, s[12:13]
	global_load_dwordx2 v[2:3], v[2:3], off offset:128
	s_waitcnt vmcnt(0)
	ds_write_b64 v52, v[2:3] offset:4224
.LBB57_25:                              ;   in Loop: Header=BB57_7 Depth=2
	s_andn2_saveexec_b64 s[12:13], s[14:15]
	s_cbranch_execz .LBB57_31
; %bb.26:                               ;   in Loop: Header=BB57_7 Depth=2
	s_xor_b64 s[10:11], s[10:11], -1
	s_and_saveexec_b64 s[14:15], s[10:11]
	s_xor_b64 s[10:11], exec, s[14:15]
; %bb.27:                               ;   in Loop: Header=BB57_7 Depth=2
	v_mov_b32_e32 v11, v10
	ds_write_b64 v52, v[10:11] offset:4224
; %bb.28:                               ;   in Loop: Header=BB57_7 Depth=2
	s_andn2_saveexec_b64 s[10:11], s[10:11]
; %bb.29:                               ;   in Loop: Header=BB57_7 Depth=2
	v_mov_b32_e32 v11, v60
	ds_write_b64 v52, v[10:11] offset:4224
; %bb.30:                               ;   in Loop: Header=BB57_7 Depth=2
	s_or_b64 exec, exec, s[10:11]
.LBB57_31:                              ;   in Loop: Header=BB57_7 Depth=2
	s_or_b64 exec, exec, s[12:13]
	v_mov_b32_e32 v3, s25
	v_add_co_u32_e64 v2, s[10:11], s24, v1
	v_addc_co_u32_e64 v3, s[10:11], 0, v3, s[10:11]
	v_add_co_u32_e64 v4, s[10:11], v41, v55
	v_addc_co_u32_e64 v5, s[10:11], v42, v56, s[10:11]
	v_cmp_le_i64_e64 s[10:11], s[30:31], v[2:3]
	v_mov_b32_e32 v6, 0
	v_mov_b32_e32 v7, 0
	s_nor_b64 s[14:15], s[10:11], vcc
	s_and_saveexec_b64 s[12:13], s[14:15]
	s_cbranch_execz .LBB57_33
; %bb.32:                               ;   in Loop: Header=BB57_7 Depth=2
	global_load_dwordx2 v[6:7], v[4:5], off offset:-128
.LBB57_33:                              ;   in Loop: Header=BB57_7 Depth=2
	s_or_b64 exec, exec, s[12:13]
	s_nor_b64 s[10:11], s[10:11], s[0:1]
	s_waitcnt vmcnt(0)
	ds_write_b64 v54, v[6:7]
	s_and_saveexec_b64 s[12:13], s[10:11]
	s_xor_b64 s[10:11], exec, s[12:13]
	s_cbranch_execz .LBB57_35
; %bb.34:                               ;   in Loop: Header=BB57_7 Depth=2
	global_load_dwordx2 v[4:5], v[4:5], off
	s_waitcnt vmcnt(0)
	ds_write_b64 v54, v[4:5] offset:128
.LBB57_35:                              ;   in Loop: Header=BB57_7 Depth=2
	s_andn2_saveexec_b64 s[10:11], s[10:11]
; %bb.36:                               ;   in Loop: Header=BB57_7 Depth=2
	v_mov_b32_e32 v11, v10
	ds_write_b64 v54, v[10:11] offset:128
; %bb.37:                               ;   in Loop: Header=BB57_7 Depth=2
	s_or_b64 exec, exec, s[10:11]
	v_cmp_le_i64_e64 s[10:11], s[42:43], v[2:3]
	v_add_co_u32_e64 v2, s[12:13], v41, v20
	v_mov_b32_e32 v4, 0
	v_addc_co_u32_e64 v3, s[12:13], v42, v59, s[12:13]
	v_mov_b32_e32 v5, 0
	s_nor_b64 s[14:15], s[10:11], vcc
	s_and_saveexec_b64 s[12:13], s[14:15]
	s_cbranch_execz .LBB57_39
; %bb.38:                               ;   in Loop: Header=BB57_7 Depth=2
	global_load_dwordx2 v[4:5], v[2:3], off
.LBB57_39:                              ;   in Loop: Header=BB57_7 Depth=2
	s_or_b64 exec, exec, s[12:13]
	s_nor_b64 s[10:11], s[10:11], s[0:1]
	s_waitcnt vmcnt(0)
	ds_write_b64 v54, v[4:5] offset:4096
	s_and_saveexec_b64 s[12:13], s[10:11]
	s_xor_b64 s[10:11], exec, s[12:13]
	s_cbranch_execz .LBB57_41
; %bb.40:                               ;   in Loop: Header=BB57_7 Depth=2
	global_load_dwordx2 v[2:3], v[2:3], off offset:128
	s_waitcnt vmcnt(0)
	ds_write_b64 v54, v[2:3] offset:4224
.LBB57_41:                              ;   in Loop: Header=BB57_7 Depth=2
	s_andn2_saveexec_b64 s[10:11], s[10:11]
	s_cbranch_execz .LBB57_6
; %bb.42:                               ;   in Loop: Header=BB57_7 Depth=2
	v_mov_b32_e32 v11, v10
	ds_write_b64 v54, v[10:11] offset:4224
	s_branch .LBB57_6
.LBB57_43:                              ;   in Loop: Header=BB57_4 Depth=1
	v_mul_lo_u32 v4, s41, v25
	v_mul_lo_u32 v5, s40, v26
	v_mad_u64_u32 v[2:3], s[8:9], s40, v25, 0
	v_cmp_gt_i32_e64 s[8:9], s30, v25
	v_add3_u32 v3, v3, v5, v4
	v_lshlrev_b64 v[2:3], 3, v[2:3]
	v_mov_b32_e32 v4, s45
	v_add_co_u32_e64 v2, s[10:11], s44, v2
	v_addc_co_u32_e64 v3, s[10:11], v4, v3, s[10:11]
	s_and_b64 s[10:11], s[2:3], s[8:9]
	s_and_saveexec_b64 s[12:13], s[10:11]
	s_cbranch_execz .LBB57_45
; %bb.44:                               ;   in Loop: Header=BB57_4 Depth=1
	buffer_load_dword v4, off, s[48:51], 0  ; 4-byte Folded Reload
	buffer_load_dword v5, off, s[48:51], 0 offset:4 ; 4-byte Folded Reload
	s_waitcnt vmcnt(1)
	v_add_co_u32_e64 v4, s[10:11], v2, v4
	s_waitcnt vmcnt(0)
	v_addc_co_u32_e64 v5, s[10:11], v3, v5, s[10:11]
	global_load_dwordx2 v[6:7], v[4:5], off
	s_waitcnt vmcnt(0)
	v_fma_f64 v[6:7], s[34:35], v[49:50], v[6:7]
	global_store_dwordx2 v[4:5], v[6:7], off
.LBB57_45:                              ;   in Loop: Header=BB57_4 Depth=1
	s_or_b64 exec, exec, s[12:13]
	s_and_b64 s[8:9], s[4:5], s[8:9]
	s_and_saveexec_b64 s[10:11], s[8:9]
	s_cbranch_execz .LBB57_47
; %bb.46:                               ;   in Loop: Header=BB57_4 Depth=1
	v_add_co_u32_e64 v2, s[8:9], v2, v57
	v_addc_co_u32_e64 v3, s[8:9], v3, v58, s[8:9]
	global_load_dwordx2 v[4:5], v[2:3], off
	s_waitcnt vmcnt(0)
	v_fma_f64 v[4:5], s[34:35], v[47:48], v[4:5]
	global_store_dwordx2 v[2:3], v[4:5], off
.LBB57_47:                              ;   in Loop: Header=BB57_4 Depth=1
	s_or_b64 exec, exec, s[10:11]
	v_add_u32_e32 v4, 16, v25
	v_ashrrev_i32_e32 v2, 31, v4
	v_mul_lo_u32 v5, s40, v2
	v_mul_lo_u32 v6, s41, v4
	v_mad_u64_u32 v[2:3], s[8:9], s40, v4, 0
	v_cmp_gt_i32_e64 s[8:9], s30, v4
	v_mov_b32_e32 v4, s45
	v_add3_u32 v3, v3, v5, v6
	v_lshlrev_b64 v[2:3], 3, v[2:3]
	v_add_co_u32_e64 v2, s[10:11], s44, v2
	v_addc_co_u32_e64 v3, s[10:11], v4, v3, s[10:11]
	s_and_b64 s[10:11], s[2:3], s[8:9]
	s_and_saveexec_b64 s[12:13], s[10:11]
	s_cbranch_execz .LBB57_49
; %bb.48:                               ;   in Loop: Header=BB57_4 Depth=1
	buffer_load_dword v4, off, s[48:51], 0  ; 4-byte Folded Reload
	buffer_load_dword v5, off, s[48:51], 0 offset:4 ; 4-byte Folded Reload
	s_waitcnt vmcnt(1)
	v_add_co_u32_e64 v4, s[10:11], v2, v4
	s_waitcnt vmcnt(0)
	v_addc_co_u32_e64 v5, s[10:11], v3, v5, s[10:11]
	global_load_dwordx2 v[6:7], v[4:5], off
	s_waitcnt vmcnt(0)
	v_fma_f64 v[6:7], s[34:35], v[45:46], v[6:7]
	global_store_dwordx2 v[4:5], v[6:7], off
.LBB57_49:                              ;   in Loop: Header=BB57_4 Depth=1
	s_or_b64 exec, exec, s[12:13]
	s_and_b64 s[8:9], s[4:5], s[8:9]
	s_and_saveexec_b64 s[10:11], s[8:9]
	s_cbranch_execz .LBB57_3
; %bb.50:                               ;   in Loop: Header=BB57_4 Depth=1
	v_add_co_u32_e64 v2, s[8:9], v2, v57
	v_addc_co_u32_e64 v3, s[8:9], v3, v58, s[8:9]
	global_load_dwordx2 v[4:5], v[2:3], off
	s_waitcnt vmcnt(0)
	v_fma_f64 v[4:5], s[34:35], v[43:44], v[4:5]
	global_store_dwordx2 v[2:3], v[4:5], off
	s_branch .LBB57_3
.LBB57_51:
	s_endpgm
	.section	.rodata,"a",@progbits
	.p2align	6, 0x0
	.amdhsa_kernel _ZL30rocblas_trmm_outofplace_kernelIdLi32ELi2ELb0ELb0ELb1ELb1EdKddEv17rocblas_diagonal_iiT6_lPT7_lllS4_lllPT8_llli
		.amdhsa_group_segment_fixed_size 16384
		.amdhsa_private_segment_fixed_size 40
		.amdhsa_kernarg_size 392
		.amdhsa_user_sgpr_count 6
		.amdhsa_user_sgpr_private_segment_buffer 1
		.amdhsa_user_sgpr_dispatch_ptr 0
		.amdhsa_user_sgpr_queue_ptr 0
		.amdhsa_user_sgpr_kernarg_segment_ptr 1
		.amdhsa_user_sgpr_dispatch_id 0
		.amdhsa_user_sgpr_flat_scratch_init 0
		.amdhsa_user_sgpr_private_segment_size 0
		.amdhsa_uses_dynamic_stack 0
		.amdhsa_system_sgpr_private_segment_wavefront_offset 1
		.amdhsa_system_sgpr_workgroup_id_x 1
		.amdhsa_system_sgpr_workgroup_id_y 1
		.amdhsa_system_sgpr_workgroup_id_z 1
		.amdhsa_system_sgpr_workgroup_info 0
		.amdhsa_system_vgpr_workitem_id 1
		.amdhsa_next_free_vgpr 64
		.amdhsa_next_free_sgpr 61
		.amdhsa_reserve_vcc 1
		.amdhsa_reserve_flat_scratch 0
		.amdhsa_float_round_mode_32 0
		.amdhsa_float_round_mode_16_64 0
		.amdhsa_float_denorm_mode_32 3
		.amdhsa_float_denorm_mode_16_64 3
		.amdhsa_dx10_clamp 1
		.amdhsa_ieee_mode 1
		.amdhsa_fp16_overflow 0
		.amdhsa_exception_fp_ieee_invalid_op 0
		.amdhsa_exception_fp_denorm_src 0
		.amdhsa_exception_fp_ieee_div_zero 0
		.amdhsa_exception_fp_ieee_overflow 0
		.amdhsa_exception_fp_ieee_underflow 0
		.amdhsa_exception_fp_ieee_inexact 0
		.amdhsa_exception_int_div_zero 0
	.end_amdhsa_kernel
	.section	.text._ZL30rocblas_trmm_outofplace_kernelIdLi32ELi2ELb0ELb0ELb1ELb1EdKddEv17rocblas_diagonal_iiT6_lPT7_lllS4_lllPT8_llli,"axG",@progbits,_ZL30rocblas_trmm_outofplace_kernelIdLi32ELi2ELb0ELb0ELb1ELb1EdKddEv17rocblas_diagonal_iiT6_lPT7_lllS4_lllPT8_llli,comdat
.Lfunc_end57:
	.size	_ZL30rocblas_trmm_outofplace_kernelIdLi32ELi2ELb0ELb0ELb1ELb1EdKddEv17rocblas_diagonal_iiT6_lPT7_lllS4_lllPT8_llli, .Lfunc_end57-_ZL30rocblas_trmm_outofplace_kernelIdLi32ELi2ELb0ELb0ELb1ELb1EdKddEv17rocblas_diagonal_iiT6_lPT7_lllS4_lllPT8_llli
                                        ; -- End function
	.set _ZL30rocblas_trmm_outofplace_kernelIdLi32ELi2ELb0ELb0ELb1ELb1EdKddEv17rocblas_diagonal_iiT6_lPT7_lllS4_lllPT8_llli.num_vgpr, 64
	.set _ZL30rocblas_trmm_outofplace_kernelIdLi32ELi2ELb0ELb0ELb1ELb1EdKddEv17rocblas_diagonal_iiT6_lPT7_lllS4_lllPT8_llli.num_agpr, 0
	.set _ZL30rocblas_trmm_outofplace_kernelIdLi32ELi2ELb0ELb0ELb1ELb1EdKddEv17rocblas_diagonal_iiT6_lPT7_lllS4_lllPT8_llli.numbered_sgpr, 52
	.set _ZL30rocblas_trmm_outofplace_kernelIdLi32ELi2ELb0ELb0ELb1ELb1EdKddEv17rocblas_diagonal_iiT6_lPT7_lllS4_lllPT8_llli.num_named_barrier, 0
	.set _ZL30rocblas_trmm_outofplace_kernelIdLi32ELi2ELb0ELb0ELb1ELb1EdKddEv17rocblas_diagonal_iiT6_lPT7_lllS4_lllPT8_llli.private_seg_size, 40
	.set _ZL30rocblas_trmm_outofplace_kernelIdLi32ELi2ELb0ELb0ELb1ELb1EdKddEv17rocblas_diagonal_iiT6_lPT7_lllS4_lllPT8_llli.uses_vcc, 1
	.set _ZL30rocblas_trmm_outofplace_kernelIdLi32ELi2ELb0ELb0ELb1ELb1EdKddEv17rocblas_diagonal_iiT6_lPT7_lllS4_lllPT8_llli.uses_flat_scratch, 0
	.set _ZL30rocblas_trmm_outofplace_kernelIdLi32ELi2ELb0ELb0ELb1ELb1EdKddEv17rocblas_diagonal_iiT6_lPT7_lllS4_lllPT8_llli.has_dyn_sized_stack, 0
	.set _ZL30rocblas_trmm_outofplace_kernelIdLi32ELi2ELb0ELb0ELb1ELb1EdKddEv17rocblas_diagonal_iiT6_lPT7_lllS4_lllPT8_llli.has_recursion, 0
	.set _ZL30rocblas_trmm_outofplace_kernelIdLi32ELi2ELb0ELb0ELb1ELb1EdKddEv17rocblas_diagonal_iiT6_lPT7_lllS4_lllPT8_llli.has_indirect_call, 0
	.section	.AMDGPU.csdata,"",@progbits
; Kernel info:
; codeLenInByte = 4028
; TotalNumSgprs: 56
; NumVgprs: 64
; ScratchSize: 40
; MemoryBound: 0
; FloatMode: 240
; IeeeMode: 1
; LDSByteSize: 16384 bytes/workgroup (compile time only)
; SGPRBlocks: 8
; VGPRBlocks: 15
; NumSGPRsForWavesPerEU: 65
; NumVGPRsForWavesPerEU: 64
; Occupancy: 4
; WaveLimiterHint : 0
; COMPUTE_PGM_RSRC2:SCRATCH_EN: 1
; COMPUTE_PGM_RSRC2:USER_SGPR: 6
; COMPUTE_PGM_RSRC2:TRAP_HANDLER: 0
; COMPUTE_PGM_RSRC2:TGID_X_EN: 1
; COMPUTE_PGM_RSRC2:TGID_Y_EN: 1
; COMPUTE_PGM_RSRC2:TGID_Z_EN: 1
; COMPUTE_PGM_RSRC2:TIDIG_COMP_CNT: 1
	.section	.text._ZL30rocblas_trmm_outofplace_kernelIdLi32ELi2ELb0ELb1ELb1ELb1EPKdS0_dEv17rocblas_diagonal_iiT6_lPT7_lllS5_lllPT8_llli,"axG",@progbits,_ZL30rocblas_trmm_outofplace_kernelIdLi32ELi2ELb0ELb1ELb1ELb1EPKdS0_dEv17rocblas_diagonal_iiT6_lPT7_lllS5_lllPT8_llli,comdat
	.globl	_ZL30rocblas_trmm_outofplace_kernelIdLi32ELi2ELb0ELb1ELb1ELb1EPKdS0_dEv17rocblas_diagonal_iiT6_lPT7_lllS5_lllPT8_llli ; -- Begin function _ZL30rocblas_trmm_outofplace_kernelIdLi32ELi2ELb0ELb1ELb1ELb1EPKdS0_dEv17rocblas_diagonal_iiT6_lPT7_lllS5_lllPT8_llli
	.p2align	8
	.type	_ZL30rocblas_trmm_outofplace_kernelIdLi32ELi2ELb0ELb1ELb1ELb1EPKdS0_dEv17rocblas_diagonal_iiT6_lPT7_lllS5_lllPT8_llli,@function
_ZL30rocblas_trmm_outofplace_kernelIdLi32ELi2ELb0ELb1ELb1ELb1EPKdS0_dEv17rocblas_diagonal_iiT6_lPT7_lllS5_lllPT8_llli: ; @_ZL30rocblas_trmm_outofplace_kernelIdLi32ELi2ELb0ELb1ELb1ELb1EPKdS0_dEv17rocblas_diagonal_iiT6_lPT7_lllS5_lllPT8_llli
; %bb.0:
	s_load_dwordx16 s[36:51], s[4:5], 0x10
	s_mov_b64 s[66:67], s[2:3]
	s_mov_b64 s[64:65], s[0:1]
	s_add_u32 s64, s64, s9
	s_addc_u32 s65, s65, 0
	s_waitcnt lgkmcnt(0)
	s_mul_i32 s0, s39, s8
	s_mul_hi_u32 s1, s38, s8
	s_add_i32 s1, s1, s0
	s_mul_i32 s0, s38, s8
	s_lshl_b64 s[0:1], s[0:1], 3
	s_add_u32 s0, s36, s0
	s_addc_u32 s1, s37, s1
	s_load_dwordx2 s[34:35], s[0:1], 0x0
	s_waitcnt lgkmcnt(0)
	v_cmp_eq_f64_e64 s[0:1], s[34:35], 0
	s_and_b64 vcc, exec, s[0:1]
	s_cbranch_vccnz .LBB58_52
; %bb.1:
	s_load_dwordx4 s[36:39], s[4:5], 0x0
	s_waitcnt lgkmcnt(0)
	s_add_i32 s0, s38, -1
	s_ashr_i32 s1, s0, 31
	s_lshr_b32 s1, s1, 27
	s_add_i32 s0, s0, s1
	s_ashr_i32 s33, s0, 5
	s_cmp_gt_i32 s7, s33
	s_cbranch_scc1 .LBB58_52
; %bb.2:
	s_load_dwordx4 s[52:55], s[4:5], 0x70
	s_load_dwordx8 s[24:31], s[4:5], 0x50
	s_load_dword s60, s[4:5], 0x8c
	v_lshl_add_u32 v2, s6, 5, v0
	v_ashrrev_i32_e32 v3, 31, v2
	s_waitcnt lgkmcnt(0)
	s_mul_i32 s1, s55, s8
	s_mul_hi_u32 s2, s54, s8
	s_mul_i32 s0, s54, s8
	s_add_i32 s1, s2, s1
	s_lshl_b64 s[0:1], s[0:1], 3
	s_add_u32 s2, s28, s0
	s_addc_u32 s3, s29, s1
	s_lshl_b64 s[0:1], s[30:31], 3
	s_add_u32 s61, s2, s0
	s_addc_u32 s62, s3, s1
	s_cmpk_eq_i32 s36, 0x84
	s_cselect_b64 s[28:29], -1, 0
	s_ashr_i32 s39, s38, 31
	s_ashr_i32 s0, s37, 31
	s_lshl_b64 s[30:31], s[44:45], 8
	s_lshl_b64 s[54:55], s[24:25], 8
	v_mov_b32_e32 v5, s0
	v_sub_co_u32_e32 v4, vcc, s37, v2
	s_add_u32 s56, s38, -16
	v_subb_co_u32_e32 v5, vcc, v5, v3, vcc
	s_addc_u32 s57, s39, -1
	s_lshl_b32 s9, s7, 5
	s_lshl_b32 s6, s60, 5
	v_cmp_gt_i64_e64 s[0:1], 1, v[4:5]
	v_cmp_gt_i64_e64 s[2:3], 17, v[4:5]
	v_add_u32_e32 v4, 16, v2
	v_add_u32_e32 v12, s9, v0
	;; [unrolled: 1-line block ×3, first 2 shown]
	s_add_u32 s36, s48, 0x80
	s_mul_i32 s9, s27, s8
	s_mul_hi_u32 s10, s26, s8
	v_cmp_gt_i32_e64 s[4:5], s37, v2
	v_cmp_gt_i32_e64 s[20:21], s37, v4
	s_addc_u32 s37, s49, 0
	s_add_i32 s11, s10, s9
	s_mul_i32 s10, s26, s8
	v_ashrrev_i32_e32 v5, 31, v4
	s_lshl_b64 s[58:59], s[24:25], 3
	s_lshl_b64 s[10:11], s[10:11], 3
	;; [unrolled: 1-line block ×3, first 2 shown]
	v_lshlrev_b64 v[2:3], 3, v[2:3]
	buffer_store_dword v4, off, s[64:67], 0 ; 4-byte Folded Spill
	s_nop 0
	buffer_store_dword v5, off, s[64:67], 0 offset:4 ; 4-byte Folded Spill
	s_add_u32 s9, s10, s12
	v_add_co_u32_e32 v4, vcc, s9, v2
	buffer_store_dword v2, off, s[64:67], 0 offset:8 ; 4-byte Folded Spill
	s_nop 0
	buffer_store_dword v3, off, s[64:67], 0 offset:12 ; 4-byte Folded Spill
	s_addc_u32 s10, s11, s13
	v_lshlrev_b32_e32 v6, 3, v0
	v_mov_b32_e32 v0, s10
	s_mul_i32 s9, s47, s8
	s_mul_hi_u32 s10, s46, s8
	s_add_i32 s9, s10, s9
	s_mul_i32 s8, s46, s8
	s_lshl_b64 s[8:9], s[8:9], 3
	s_lshl_b64 s[10:11], s[42:43], 3
	s_add_u32 s8, s8, s10
	s_addc_u32 s9, s9, s11
	v_lshlrev_b32_e32 v52, 8, v1
	v_or_b32_e32 v54, 0x2000, v6
	s_add_u32 s26, s40, s8
	v_add_u32_e32 v53, v52, v6
	v_add_u32_e32 v55, v54, v52
	s_addc_u32 s27, s41, s9
	s_lshl_b64 s[40:41], s[44:45], 3
	v_mov_b32_e32 v20, 0
	s_movk_i32 s50, 0x80
	v_addc_co_u32_e32 v5, vcc, v0, v3, vcc
	v_mov_b32_e32 v0, 0x3ff00000
	buffer_store_dword v4, off, s[64:67], 0 offset:16 ; 4-byte Folded Spill
	s_nop 0
	buffer_store_dword v5, off, s[64:67], 0 offset:20 ; 4-byte Folded Spill
	s_branch .LBB58_4
.LBB58_3:                               ;   in Loop: Header=BB58_4 Depth=1
	s_or_b64 exec, exec, s[8:9]
	s_add_i32 s7, s60, s7
	v_add_u32_e32 v12, s6, v12
	s_cmp_le_i32 s7, s33
	v_add_u32_e32 v14, s6, v14
	s_cbranch_scc0 .LBB58_52
.LBB58_4:                               ; =>This Loop Header: Depth=1
                                        ;     Child Loop BB58_7 Depth 2
	s_lshl_b32 s8, s7, 5
	v_add_u32_e32 v22, s8, v1
	s_sub_i32 s51, s38, s8
	v_ashrrev_i32_e32 v13, 31, v12
	v_ashrrev_i32_e32 v15, 31, v14
	s_cmp_lt_i32 s51, 1
	v_ashrrev_i32_e32 v23, 31, v22
	s_cbranch_scc1 .LBB58_43
; %bb.5:                                ;   in Loop: Header=BB58_4 Depth=1
	buffer_load_dword v42, off, s[64:67], 0 offset:16 ; 4-byte Folded Reload
	buffer_load_dword v43, off, s[64:67], 0 offset:20 ; 4-byte Folded Reload
	v_mov_b32_e32 v2, s36
	v_mov_b32_e32 v3, s37
	v_sub_co_u32_e32 v24, vcc, v14, v12
	v_mad_u64_u32 v[26:27], s[8:9], s58, v14, v[2:3]
	v_lshlrev_b64 v[2:3], 3, v[12:13]
	v_subb_co_u32_e32 v25, vcc, v15, v13, vcc
	v_add_co_u32_e32 v6, vcc, 0x80, v2
	v_lshlrev_b64 v[28:29], 3, v[14:15]
	v_addc_co_u32_e32 v2, vcc, 0, v3, vcc
	v_mul_lo_u32 v7, s44, v2
	v_mov_b32_e32 v2, s26
	v_mov_b32_e32 v3, s27
	v_add_co_u32_e32 v10, vcc, s50, v28
	v_mad_u64_u32 v[30:31], s[8:9], s44, v6, v[2:3]
	v_mad_u64_u32 v[32:33], s[8:9], s40, v12, v[2:3]
	v_addc_co_u32_e32 v2, vcc, 0, v29, vcc
	v_mul_lo_u32 v11, s24, v2
	v_mov_b32_e32 v2, s48
	v_mov_b32_e32 v3, s49
	v_mul_lo_u32 v4, s58, v15
	v_mul_lo_u32 v5, s59, v14
	;; [unrolled: 1-line block ×5, first 2 shown]
	v_mad_u64_u32 v[34:35], s[8:9], s24, v10, v[2:3]
	v_mul_lo_u32 v2, s25, v10
	v_add_co_u32_e64 v36, s[8:9], 16, v22
	v_add_co_u32_e64 v38, s[10:11], 16, v24
	v_addc_co_u32_e64 v37, s[8:9], 0, v23, s[8:9]
	v_addc_co_u32_e64 v39, s[10:11], 0, v25, s[10:11]
	v_cmp_le_i64_e64 s[8:9], s[38:39], v[36:37]
	v_add_co_u32_e64 v40, s[10:11], -16, v24
	v_mov_b32_e32 v44, 0
	v_mov_b32_e32 v46, 0
	;; [unrolled: 1-line block ×4, first 2 shown]
	v_add3_u32 v27, v5, v27, v4
	v_add3_u32 v31, v8, v31, v7
	;; [unrolled: 1-line block ×4, first 2 shown]
	v_cmp_le_i32_e32 vcc, s38, v22
	v_addc_co_u32_e64 v41, s[10:11], -1, v25, s[10:11]
	v_mov_b32_e32 v45, 0
	s_mov_b64 s[42:43], 0
	v_mov_b32_e32 v47, 0
	v_mov_b32_e32 v49, 0
	v_mov_b32_e32 v51, 0
	s_branch .LBB58_7
.LBB58_6:                               ;   in Loop: Header=BB58_7 Depth=2
	s_or_b64 exec, exec, s[10:11]
	s_waitcnt lgkmcnt(0)
	s_barrier
	ds_read_b128 v[56:59], v52
	ds_read_b128 v[60:63], v52 offset:16
	ds_read_b128 v[6:9], v52 offset:32
	;; [unrolled: 1-line block ×3, first 2 shown]
	ds_read2_b64 v[16:19], v54 offset1:16
	v_add_co_u32_e64 v42, s[10:11], s54, v42
	s_add_u32 s42, s42, 32
	s_addc_u32 s43, s43, 0
	s_waitcnt lgkmcnt(0)
	v_fma_f64 v[10:11], v[16:17], v[56:57], v[50:51]
	v_fma_f64 v[56:57], v[18:19], v[56:57], v[48:49]
	ds_read_b128 v[48:51], v52 offset:4096
	s_cmp_ge_i32 s42, s51
	s_waitcnt lgkmcnt(0)
	v_fma_f64 v[46:47], v[16:17], v[48:49], v[46:47]
	v_fma_f64 v[44:45], v[18:19], v[48:49], v[44:45]
	ds_read2_b64 v[16:19], v54 offset0:32 offset1:48
	s_waitcnt lgkmcnt(0)
	v_fma_f64 v[10:11], v[16:17], v[58:59], v[10:11]
	v_fma_f64 v[48:49], v[18:19], v[58:59], v[56:57]
	v_fma_f64 v[56:57], v[16:17], v[50:51], v[46:47]
	v_fma_f64 v[50:51], v[18:19], v[50:51], v[44:45]
	ds_read2_b64 v[16:19], v54 offset0:64 offset1:80
	ds_read_b128 v[44:47], v52 offset:4112
	s_waitcnt lgkmcnt(1)
	v_fma_f64 v[10:11], v[16:17], v[60:61], v[10:11]
	v_fma_f64 v[48:49], v[18:19], v[60:61], v[48:49]
	s_waitcnt lgkmcnt(0)
	v_fma_f64 v[56:57], v[16:17], v[44:45], v[56:57]
	v_fma_f64 v[44:45], v[18:19], v[44:45], v[50:51]
	ds_read2_b64 v[16:19], v54 offset0:96 offset1:112
	s_waitcnt lgkmcnt(0)
	v_fma_f64 v[10:11], v[16:17], v[62:63], v[10:11]
	v_fma_f64 v[48:49], v[18:19], v[62:63], v[48:49]
	v_fma_f64 v[50:51], v[16:17], v[46:47], v[56:57]
	v_fma_f64 v[56:57], v[18:19], v[46:47], v[44:45]
	ds_read2_b64 v[16:19], v54 offset0:128 offset1:144
	ds_read_b128 v[44:47], v52 offset:4128
	s_waitcnt lgkmcnt(1)
	v_fma_f64 v[10:11], v[16:17], v[6:7], v[10:11]
	v_fma_f64 v[6:7], v[18:19], v[6:7], v[48:49]
	s_waitcnt lgkmcnt(0)
	v_fma_f64 v[48:49], v[16:17], v[44:45], v[50:51]
	v_fma_f64 v[44:45], v[18:19], v[44:45], v[56:57]
	ds_read2_b64 v[16:19], v54 offset0:160 offset1:176
	s_waitcnt lgkmcnt(0)
	v_fma_f64 v[10:11], v[16:17], v[8:9], v[10:11]
	v_fma_f64 v[50:51], v[18:19], v[8:9], v[6:7]
	v_fma_f64 v[48:49], v[16:17], v[46:47], v[48:49]
	v_fma_f64 v[44:45], v[18:19], v[46:47], v[44:45]
	ds_read2_b64 v[6:9], v54 offset0:192 offset1:208
	ds_read_b128 v[16:19], v52 offset:4144
	s_waitcnt lgkmcnt(1)
	v_fma_f64 v[10:11], v[6:7], v[2:3], v[10:11]
	v_fma_f64 v[2:3], v[8:9], v[2:3], v[50:51]
	s_waitcnt lgkmcnt(0)
	v_fma_f64 v[46:47], v[6:7], v[16:17], v[48:49]
	v_fma_f64 v[16:17], v[8:9], v[16:17], v[44:45]
	ds_read2_b64 v[6:9], v54 offset0:224 offset1:240
	s_waitcnt lgkmcnt(0)
	v_fma_f64 v[10:11], v[6:7], v[4:5], v[10:11]
	v_fma_f64 v[44:45], v[8:9], v[4:5], v[2:3]
	v_add_u32_e32 v2, 0x800, v54
	v_fma_f64 v[48:49], v[6:7], v[18:19], v[46:47]
	v_fma_f64 v[7:8], v[8:9], v[18:19], v[16:17]
	ds_read_b128 v[3:6], v52 offset:64
	ds_read2_b64 v[16:19], v2 offset1:16
	s_waitcnt lgkmcnt(0)
	v_fma_f64 v[9:10], v[16:17], v[3:4], v[10:11]
	v_fma_f64 v[3:4], v[18:19], v[3:4], v[44:45]
	ds_read_b128 v[44:47], v52 offset:4160
	s_waitcnt lgkmcnt(0)
	v_fma_f64 v[48:49], v[16:17], v[44:45], v[48:49]
	v_fma_f64 v[7:8], v[18:19], v[44:45], v[7:8]
	ds_read2_b64 v[16:19], v2 offset0:32 offset1:48
	s_waitcnt lgkmcnt(0)
	v_fma_f64 v[9:10], v[16:17], v[5:6], v[9:10]
	v_fma_f64 v[44:45], v[18:19], v[5:6], v[3:4]
	v_fma_f64 v[48:49], v[16:17], v[46:47], v[48:49]
	v_fma_f64 v[7:8], v[18:19], v[46:47], v[7:8]
	ds_read_b128 v[3:6], v52 offset:80
	ds_read2_b64 v[16:19], v2 offset0:64 offset1:80
	s_waitcnt lgkmcnt(0)
	v_fma_f64 v[9:10], v[16:17], v[3:4], v[9:10]
	v_fma_f64 v[3:4], v[18:19], v[3:4], v[44:45]
	ds_read_b128 v[44:47], v52 offset:4176
	s_waitcnt lgkmcnt(0)
	v_fma_f64 v[48:49], v[16:17], v[44:45], v[48:49]
	v_fma_f64 v[7:8], v[18:19], v[44:45], v[7:8]
	ds_read2_b64 v[16:19], v2 offset0:96 offset1:112
	s_waitcnt lgkmcnt(0)
	v_fma_f64 v[9:10], v[16:17], v[5:6], v[9:10]
	v_fma_f64 v[44:45], v[18:19], v[5:6], v[3:4]
	v_fma_f64 v[48:49], v[16:17], v[46:47], v[48:49]
	v_fma_f64 v[7:8], v[18:19], v[46:47], v[7:8]
	ds_read_b128 v[3:6], v52 offset:96
	ds_read2_b64 v[16:19], v2 offset0:128 offset1:144
	;; [unrolled: 15-line block ×3, first 2 shown]
	s_waitcnt lgkmcnt(0)
	v_fma_f64 v[9:10], v[16:17], v[3:4], v[9:10]
	v_fma_f64 v[3:4], v[18:19], v[3:4], v[44:45]
	ds_read_b128 v[44:47], v52 offset:4208
	s_waitcnt lgkmcnt(0)
	v_fma_f64 v[48:49], v[16:17], v[44:45], v[48:49]
	v_fma_f64 v[7:8], v[18:19], v[44:45], v[7:8]
	ds_read2_b64 v[16:19], v2 offset0:224 offset1:240
	v_add_u32_e32 v2, 0x1000, v54
	s_waitcnt lgkmcnt(0)
	v_fma_f64 v[9:10], v[16:17], v[5:6], v[9:10]
	v_fma_f64 v[44:45], v[18:19], v[5:6], v[3:4]
	;; [unrolled: 1-line block ×4, first 2 shown]
	ds_read_b128 v[3:6], v52 offset:128
	ds_read2_b64 v[16:19], v2 offset1:16
	s_waitcnt lgkmcnt(0)
	v_fma_f64 v[9:10], v[16:17], v[3:4], v[9:10]
	v_fma_f64 v[3:4], v[18:19], v[3:4], v[44:45]
	ds_read_b128 v[44:47], v52 offset:4224
	s_waitcnt lgkmcnt(0)
	v_fma_f64 v[48:49], v[16:17], v[44:45], v[48:49]
	v_fma_f64 v[7:8], v[18:19], v[44:45], v[7:8]
	ds_read2_b64 v[16:19], v2 offset0:32 offset1:48
	s_waitcnt lgkmcnt(0)
	v_fma_f64 v[9:10], v[16:17], v[5:6], v[9:10]
	v_fma_f64 v[44:45], v[18:19], v[5:6], v[3:4]
	v_fma_f64 v[48:49], v[16:17], v[46:47], v[48:49]
	v_fma_f64 v[7:8], v[18:19], v[46:47], v[7:8]
	ds_read_b128 v[3:6], v52 offset:144
	ds_read2_b64 v[16:19], v2 offset0:64 offset1:80
	s_waitcnt lgkmcnt(0)
	v_fma_f64 v[9:10], v[16:17], v[3:4], v[9:10]
	v_fma_f64 v[3:4], v[18:19], v[3:4], v[44:45]
	ds_read_b128 v[44:47], v52 offset:4240
	s_waitcnt lgkmcnt(0)
	v_fma_f64 v[48:49], v[16:17], v[44:45], v[48:49]
	v_fma_f64 v[7:8], v[18:19], v[44:45], v[7:8]
	ds_read2_b64 v[16:19], v2 offset0:96 offset1:112
	s_waitcnt lgkmcnt(0)
	v_fma_f64 v[9:10], v[16:17], v[5:6], v[9:10]
	v_fma_f64 v[44:45], v[18:19], v[5:6], v[3:4]
	v_fma_f64 v[48:49], v[16:17], v[46:47], v[48:49]
	v_fma_f64 v[7:8], v[18:19], v[46:47], v[7:8]
	ds_read_b128 v[3:6], v52 offset:160
	ds_read2_b64 v[16:19], v2 offset0:128 offset1:144
	;; [unrolled: 15-line block ×3, first 2 shown]
	s_waitcnt lgkmcnt(0)
	v_fma_f64 v[9:10], v[16:17], v[3:4], v[9:10]
	v_fma_f64 v[3:4], v[18:19], v[3:4], v[44:45]
	ds_read_b128 v[44:47], v52 offset:4272
	s_waitcnt lgkmcnt(0)
	v_fma_f64 v[48:49], v[16:17], v[44:45], v[48:49]
	v_fma_f64 v[7:8], v[18:19], v[44:45], v[7:8]
	ds_read2_b64 v[16:19], v2 offset0:224 offset1:240
	v_add_u32_e32 v2, 0x1800, v54
	s_waitcnt lgkmcnt(0)
	v_fma_f64 v[9:10], v[16:17], v[5:6], v[9:10]
	v_fma_f64 v[44:45], v[18:19], v[5:6], v[3:4]
	;; [unrolled: 1-line block ×4, first 2 shown]
	ds_read_b128 v[3:6], v52 offset:192
	ds_read2_b64 v[16:19], v2 offset1:16
	s_waitcnt lgkmcnt(0)
	v_fma_f64 v[9:10], v[16:17], v[3:4], v[9:10]
	v_fma_f64 v[3:4], v[18:19], v[3:4], v[44:45]
	ds_read_b128 v[44:47], v52 offset:4288
	s_waitcnt lgkmcnt(0)
	v_fma_f64 v[48:49], v[16:17], v[44:45], v[48:49]
	v_fma_f64 v[7:8], v[18:19], v[44:45], v[7:8]
	ds_read2_b64 v[16:19], v2 offset0:32 offset1:48
	s_waitcnt lgkmcnt(0)
	v_fma_f64 v[9:10], v[16:17], v[5:6], v[9:10]
	v_fma_f64 v[44:45], v[18:19], v[5:6], v[3:4]
	v_fma_f64 v[48:49], v[16:17], v[46:47], v[48:49]
	v_fma_f64 v[7:8], v[18:19], v[46:47], v[7:8]
	ds_read_b128 v[3:6], v52 offset:208
	ds_read2_b64 v[16:19], v2 offset0:64 offset1:80
	s_waitcnt lgkmcnt(0)
	v_fma_f64 v[9:10], v[16:17], v[3:4], v[9:10]
	v_fma_f64 v[3:4], v[18:19], v[3:4], v[44:45]
	ds_read_b128 v[44:47], v52 offset:4304
	s_waitcnt lgkmcnt(0)
	v_fma_f64 v[48:49], v[16:17], v[44:45], v[48:49]
	v_fma_f64 v[7:8], v[18:19], v[44:45], v[7:8]
	ds_read2_b64 v[16:19], v2 offset0:96 offset1:112
	s_waitcnt lgkmcnt(0)
	v_fma_f64 v[9:10], v[16:17], v[5:6], v[9:10]
	v_fma_f64 v[44:45], v[18:19], v[5:6], v[3:4]
	v_fma_f64 v[48:49], v[16:17], v[46:47], v[48:49]
	v_fma_f64 v[7:8], v[18:19], v[46:47], v[7:8]
	ds_read_b128 v[3:6], v52 offset:224
	ds_read2_b64 v[16:19], v2 offset0:128 offset1:144
	;; [unrolled: 15-line block ×3, first 2 shown]
	ds_read_b128 v[56:59], v52 offset:4336
	s_waitcnt lgkmcnt(1)
	v_fma_f64 v[9:10], v[16:17], v[3:4], v[9:10]
	v_fma_f64 v[3:4], v[18:19], v[3:4], v[44:45]
	s_waitcnt lgkmcnt(0)
	v_fma_f64 v[44:45], v[16:17], v[56:57], v[48:49]
	v_fma_f64 v[7:8], v[18:19], v[56:57], v[7:8]
	ds_read2_b64 v[16:19], v2 offset0:224 offset1:240
	v_mov_b32_e32 v2, s55
	v_addc_co_u32_e64 v43, s[10:11], v43, v2, s[10:11]
	v_add_co_u32_e64 v30, s[10:11], s30, v30
	s_waitcnt lgkmcnt(0)
	v_fma_f64 v[50:51], v[16:17], v[5:6], v[9:10]
	v_fma_f64 v[48:49], v[18:19], v[5:6], v[3:4]
	;; [unrolled: 1-line block ×4, first 2 shown]
	v_mov_b32_e32 v2, s31
	v_addc_co_u32_e64 v31, s[10:11], v31, v2, s[10:11]
	v_add_co_u32_e64 v32, s[10:11], s30, v32
	v_addc_co_u32_e64 v33, s[10:11], v33, v2, s[10:11]
	s_barrier
	s_cbranch_scc1 .LBB58_44
.LBB58_7:                               ;   Parent Loop BB58_4 Depth=1
                                        ; =>  This Inner Loop Header: Depth=2
	v_mov_b32_e32 v2, s43
	v_add_co_u32_e64 v4, s[10:11], s42, v12
	v_addc_co_u32_e64 v5, s[10:11], v13, v2, s[10:11]
	v_add_co_u32_e64 v2, s[12:13], v32, v28
	v_addc_co_u32_e64 v3, s[12:13], v33, v29, s[12:13]
	v_cmp_lt_i64_e64 s[12:13], v[4:5], v[22:23]
	v_cmp_eq_u64_e64 s[10:11], s[42:43], v[24:25]
	v_cmp_le_i64_e64 s[14:15], s[38:39], v[4:5]
	s_or_b64 s[16:17], vcc, s[12:13]
	s_and_b64 s[10:11], s[28:29], s[10:11]
	s_or_b64 s[16:17], s[14:15], s[16:17]
	s_nor_b64 s[16:17], s[16:17], s[10:11]
                                        ; implicit-def: $vgpr6_vgpr7
	s_and_saveexec_b64 s[18:19], s[16:17]
	s_xor_b64 s[16:17], exec, s[18:19]
	s_cbranch_execz .LBB58_9
; %bb.8:                                ;   in Loop: Header=BB58_7 Depth=2
	global_load_dwordx2 v[6:7], v[2:3], off
.LBB58_9:                               ;   in Loop: Header=BB58_7 Depth=2
	s_andn2_saveexec_b64 s[16:17], s[16:17]
	s_cbranch_execz .LBB58_11
; %bb.10:                               ;   in Loop: Header=BB58_7 Depth=2
	v_cndmask_b32_e64 v21, 0, v0, s[10:11]
	s_waitcnt vmcnt(0)
	v_mov_b32_e32 v6, v20
	v_mov_b32_e32 v7, v21
.LBB58_11:                              ;   in Loop: Header=BB58_7 Depth=2
	s_or_b64 exec, exec, s[16:17]
	s_waitcnt vmcnt(0)
	ds_write_b64 v53, v[6:7]
	v_add_co_u32_e64 v6, s[18:19], 16, v4
	v_cmp_eq_u64_e64 s[16:17], s[42:43], v[40:41]
	v_addc_co_u32_e64 v7, s[18:19], 0, v5, s[18:19]
	v_cmp_lt_i64_e64 s[18:19], v[6:7], v[22:23]
	s_and_b64 s[22:23], s[28:29], s[16:17]
	v_cmp_le_i64_e64 s[16:17], s[38:39], v[6:7]
	s_or_b64 s[18:19], vcc, s[18:19]
	s_or_b64 s[18:19], s[16:17], s[18:19]
	s_nor_b64 s[18:19], s[18:19], s[22:23]
	s_and_saveexec_b64 s[46:47], s[18:19]
	s_xor_b64 s[46:47], exec, s[46:47]
	s_cbranch_execz .LBB58_13
; %bb.12:                               ;   in Loop: Header=BB58_7 Depth=2
	v_add_co_u32_e64 v6, s[18:19], v30, v28
	v_addc_co_u32_e64 v7, s[18:19], v31, v29, s[18:19]
	global_load_dwordx2 v[6:7], v[6:7], off
	s_waitcnt vmcnt(0)
	ds_write_b64 v53, v[6:7] offset:128
.LBB58_13:                              ;   in Loop: Header=BB58_7 Depth=2
	s_andn2_saveexec_b64 s[18:19], s[46:47]
	s_cbranch_execz .LBB58_19
; %bb.14:                               ;   in Loop: Header=BB58_7 Depth=2
	s_xor_b64 s[22:23], s[22:23], -1
	s_and_saveexec_b64 s[46:47], s[22:23]
	s_xor_b64 s[22:23], exec, s[46:47]
; %bb.15:                               ;   in Loop: Header=BB58_7 Depth=2
	v_mov_b32_e32 v21, v20
	ds_write_b64 v53, v[20:21] offset:128
; %bb.16:                               ;   in Loop: Header=BB58_7 Depth=2
	s_andn2_saveexec_b64 s[22:23], s[22:23]
; %bb.17:                               ;   in Loop: Header=BB58_7 Depth=2
	v_mov_b32_e32 v21, v0
	ds_write_b64 v53, v[20:21] offset:128
; %bb.18:                               ;   in Loop: Header=BB58_7 Depth=2
	s_or_b64 exec, exec, s[22:23]
.LBB58_19:                              ;   in Loop: Header=BB58_7 Depth=2
	s_or_b64 exec, exec, s[18:19]
	v_cmp_eq_u64_e64 s[18:19], s[42:43], v[38:39]
	v_cmp_lt_i64_e64 s[22:23], v[4:5], v[36:37]
	s_and_b64 s[18:19], s[28:29], s[18:19]
	s_or_b64 s[22:23], s[8:9], s[22:23]
	s_or_b64 s[22:23], s[22:23], s[18:19]
	s_nor_b64 s[14:15], s[14:15], s[22:23]
                                        ; implicit-def: $vgpr4_vgpr5
	s_and_saveexec_b64 s[22:23], s[14:15]
	s_xor_b64 s[14:15], exec, s[22:23]
	s_cbranch_execz .LBB58_21
; %bb.20:                               ;   in Loop: Header=BB58_7 Depth=2
	global_load_dwordx2 v[4:5], v[2:3], off offset:128
.LBB58_21:                              ;   in Loop: Header=BB58_7 Depth=2
	s_andn2_saveexec_b64 s[14:15], s[14:15]
	s_cbranch_execz .LBB58_23
; %bb.22:                               ;   in Loop: Header=BB58_7 Depth=2
	v_cndmask_b32_e64 v21, 0, v0, s[18:19]
	s_waitcnt vmcnt(0)
	v_mov_b32_e32 v4, v20
	v_mov_b32_e32 v5, v21
.LBB58_23:                              ;   in Loop: Header=BB58_7 Depth=2
	s_or_b64 exec, exec, s[14:15]
	s_or_b64 s[12:13], s[8:9], s[12:13]
	s_or_b64 s[12:13], s[16:17], s[12:13]
	s_nor_b64 s[12:13], s[12:13], s[10:11]
	s_waitcnt vmcnt(0)
	ds_write_b64 v53, v[4:5] offset:4096
	s_and_saveexec_b64 s[14:15], s[12:13]
	s_xor_b64 s[14:15], exec, s[14:15]
	s_cbranch_execz .LBB58_25
; %bb.24:                               ;   in Loop: Header=BB58_7 Depth=2
	v_add_co_u32_e64 v2, s[12:13], v30, v28
	v_addc_co_u32_e64 v3, s[12:13], v31, v29, s[12:13]
	global_load_dwordx2 v[2:3], v[2:3], off offset:128
	s_waitcnt vmcnt(0)
	ds_write_b64 v53, v[2:3] offset:4224
.LBB58_25:                              ;   in Loop: Header=BB58_7 Depth=2
	s_andn2_saveexec_b64 s[12:13], s[14:15]
	s_cbranch_execz .LBB58_31
; %bb.26:                               ;   in Loop: Header=BB58_7 Depth=2
	s_xor_b64 s[10:11], s[10:11], -1
	s_and_saveexec_b64 s[14:15], s[10:11]
	s_xor_b64 s[10:11], exec, s[14:15]
; %bb.27:                               ;   in Loop: Header=BB58_7 Depth=2
	v_mov_b32_e32 v21, v20
	ds_write_b64 v53, v[20:21] offset:4224
; %bb.28:                               ;   in Loop: Header=BB58_7 Depth=2
	s_andn2_saveexec_b64 s[10:11], s[10:11]
; %bb.29:                               ;   in Loop: Header=BB58_7 Depth=2
	v_mov_b32_e32 v21, v0
	ds_write_b64 v53, v[20:21] offset:4224
; %bb.30:                               ;   in Loop: Header=BB58_7 Depth=2
	s_or_b64 exec, exec, s[10:11]
.LBB58_31:                              ;   in Loop: Header=BB58_7 Depth=2
	s_or_b64 exec, exec, s[12:13]
	v_mov_b32_e32 v3, s43
	v_add_co_u32_e64 v2, s[10:11], s42, v14
	v_addc_co_u32_e64 v3, s[10:11], v15, v3, s[10:11]
	v_add_co_u32_e64 v4, s[10:11], v26, v42
	v_addc_co_u32_e64 v5, s[10:11], v27, v43, s[10:11]
	v_cmp_le_i64_e64 s[10:11], s[38:39], v[2:3]
	v_mov_b32_e32 v6, 0
	v_mov_b32_e32 v7, 0
	s_nor_b64 s[14:15], s[10:11], s[0:1]
	s_and_saveexec_b64 s[12:13], s[14:15]
	s_cbranch_execz .LBB58_33
; %bb.32:                               ;   in Loop: Header=BB58_7 Depth=2
	global_load_dwordx2 v[6:7], v[4:5], off offset:-128
.LBB58_33:                              ;   in Loop: Header=BB58_7 Depth=2
	s_or_b64 exec, exec, s[12:13]
	s_nor_b64 s[10:11], s[10:11], s[2:3]
	s_waitcnt vmcnt(0)
	ds_write_b64 v55, v[6:7]
	s_and_saveexec_b64 s[12:13], s[10:11]
	s_xor_b64 s[10:11], exec, s[12:13]
	s_cbranch_execz .LBB58_35
; %bb.34:                               ;   in Loop: Header=BB58_7 Depth=2
	global_load_dwordx2 v[4:5], v[4:5], off
	s_waitcnt vmcnt(0)
	ds_write_b64 v55, v[4:5] offset:128
.LBB58_35:                              ;   in Loop: Header=BB58_7 Depth=2
	s_andn2_saveexec_b64 s[10:11], s[10:11]
; %bb.36:                               ;   in Loop: Header=BB58_7 Depth=2
	v_mov_b32_e32 v21, v20
	ds_write_b64 v55, v[20:21] offset:128
; %bb.37:                               ;   in Loop: Header=BB58_7 Depth=2
	s_or_b64 exec, exec, s[10:11]
	v_cmp_le_i64_e64 s[10:11], s[56:57], v[2:3]
	v_add_co_u32_e64 v2, s[12:13], v34, v42
	v_mov_b32_e32 v4, 0
	v_addc_co_u32_e64 v3, s[12:13], v35, v43, s[12:13]
	v_mov_b32_e32 v5, 0
	s_nor_b64 s[14:15], s[10:11], s[0:1]
	s_and_saveexec_b64 s[12:13], s[14:15]
	s_cbranch_execz .LBB58_39
; %bb.38:                               ;   in Loop: Header=BB58_7 Depth=2
	global_load_dwordx2 v[4:5], v[2:3], off
.LBB58_39:                              ;   in Loop: Header=BB58_7 Depth=2
	s_or_b64 exec, exec, s[12:13]
	s_nor_b64 s[10:11], s[10:11], s[2:3]
	s_waitcnt vmcnt(0)
	ds_write_b64 v55, v[4:5] offset:4096
	s_and_saveexec_b64 s[12:13], s[10:11]
	s_xor_b64 s[10:11], exec, s[12:13]
	s_cbranch_execz .LBB58_41
; %bb.40:                               ;   in Loop: Header=BB58_7 Depth=2
	global_load_dwordx2 v[2:3], v[2:3], off offset:128
	s_waitcnt vmcnt(0)
	ds_write_b64 v55, v[2:3] offset:4224
.LBB58_41:                              ;   in Loop: Header=BB58_7 Depth=2
	s_andn2_saveexec_b64 s[10:11], s[10:11]
	s_cbranch_execz .LBB58_6
; %bb.42:                               ;   in Loop: Header=BB58_7 Depth=2
	v_mov_b32_e32 v21, v20
	ds_write_b64 v55, v[20:21] offset:4224
	s_branch .LBB58_6
.LBB58_43:                              ;   in Loop: Header=BB58_4 Depth=1
	v_mov_b32_e32 v50, 0
	v_mov_b32_e32 v48, 0
	;; [unrolled: 1-line block ×8, first 2 shown]
.LBB58_44:                              ;   in Loop: Header=BB58_4 Depth=1
	v_mul_lo_u32 v4, s53, v22
	v_mul_lo_u32 v5, s52, v23
	v_mad_u64_u32 v[2:3], s[8:9], s52, v22, 0
	v_cmp_gt_i32_e32 vcc, s38, v22
	v_add3_u32 v3, v3, v5, v4
	v_lshlrev_b64 v[2:3], 3, v[2:3]
	v_mov_b32_e32 v4, s62
	v_add_co_u32_e64 v2, s[8:9], s61, v2
	v_addc_co_u32_e64 v3, s[8:9], v4, v3, s[8:9]
	s_and_b64 s[8:9], s[4:5], vcc
	s_and_saveexec_b64 s[10:11], s[8:9]
	s_cbranch_execz .LBB58_46
; %bb.45:                               ;   in Loop: Header=BB58_4 Depth=1
	buffer_load_dword v4, off, s[64:67], 0 offset:8 ; 4-byte Folded Reload
	buffer_load_dword v5, off, s[64:67], 0 offset:12 ; 4-byte Folded Reload
	s_waitcnt vmcnt(1)
	v_add_co_u32_e64 v4, s[8:9], v2, v4
	s_waitcnt vmcnt(0)
	v_addc_co_u32_e64 v5, s[8:9], v3, v5, s[8:9]
	global_load_dwordx2 v[6:7], v[4:5], off
	s_waitcnt vmcnt(0)
	v_fma_f64 v[6:7], s[34:35], v[50:51], v[6:7]
	global_store_dwordx2 v[4:5], v[6:7], off
.LBB58_46:                              ;   in Loop: Header=BB58_4 Depth=1
	s_or_b64 exec, exec, s[10:11]
	s_and_b64 s[10:11], s[20:21], vcc
	s_and_saveexec_b64 s[8:9], s[10:11]
	s_cbranch_execz .LBB58_48
; %bb.47:                               ;   in Loop: Header=BB58_4 Depth=1
	buffer_load_dword v4, off, s[64:67], 0  ; 4-byte Folded Reload
	buffer_load_dword v5, off, s[64:67], 0 offset:4 ; 4-byte Folded Reload
	s_waitcnt vmcnt(0)
	v_lshlrev_b64 v[4:5], 3, v[4:5]
	v_add_co_u32_e32 v2, vcc, v2, v4
	v_addc_co_u32_e32 v3, vcc, v3, v5, vcc
	global_load_dwordx2 v[4:5], v[2:3], off
	s_waitcnt vmcnt(0)
	v_fma_f64 v[4:5], s[34:35], v[48:49], v[4:5]
	global_store_dwordx2 v[2:3], v[4:5], off
.LBB58_48:                              ;   in Loop: Header=BB58_4 Depth=1
	s_or_b64 exec, exec, s[8:9]
	v_add_u32_e32 v4, 16, v22
	v_ashrrev_i32_e32 v2, 31, v4
	v_mul_lo_u32 v5, s52, v2
	v_mul_lo_u32 v6, s53, v4
	v_mad_u64_u32 v[2:3], s[8:9], s52, v4, 0
	v_cmp_gt_i32_e32 vcc, s38, v4
	v_mov_b32_e32 v4, s62
	v_add3_u32 v3, v3, v5, v6
	v_lshlrev_b64 v[2:3], 3, v[2:3]
	v_add_co_u32_e64 v2, s[8:9], s61, v2
	v_addc_co_u32_e64 v3, s[8:9], v4, v3, s[8:9]
	s_and_b64 s[8:9], s[4:5], vcc
	s_and_saveexec_b64 s[10:11], s[8:9]
	s_cbranch_execz .LBB58_50
; %bb.49:                               ;   in Loop: Header=BB58_4 Depth=1
	buffer_load_dword v4, off, s[64:67], 0 offset:8 ; 4-byte Folded Reload
	buffer_load_dword v5, off, s[64:67], 0 offset:12 ; 4-byte Folded Reload
	s_waitcnt vmcnt(1)
	v_add_co_u32_e64 v4, s[8:9], v2, v4
	s_waitcnt vmcnt(0)
	v_addc_co_u32_e64 v5, s[8:9], v3, v5, s[8:9]
	global_load_dwordx2 v[6:7], v[4:5], off
	s_waitcnt vmcnt(0)
	v_fma_f64 v[6:7], s[34:35], v[46:47], v[6:7]
	global_store_dwordx2 v[4:5], v[6:7], off
.LBB58_50:                              ;   in Loop: Header=BB58_4 Depth=1
	s_or_b64 exec, exec, s[10:11]
	s_and_b64 s[10:11], s[20:21], vcc
	s_and_saveexec_b64 s[8:9], s[10:11]
	s_cbranch_execz .LBB58_3
; %bb.51:                               ;   in Loop: Header=BB58_4 Depth=1
	buffer_load_dword v4, off, s[64:67], 0  ; 4-byte Folded Reload
	buffer_load_dword v5, off, s[64:67], 0 offset:4 ; 4-byte Folded Reload
	s_waitcnt vmcnt(0)
	v_lshlrev_b64 v[4:5], 3, v[4:5]
	v_add_co_u32_e32 v2, vcc, v2, v4
	v_addc_co_u32_e32 v3, vcc, v3, v5, vcc
	global_load_dwordx2 v[4:5], v[2:3], off
	s_waitcnt vmcnt(0)
	v_fma_f64 v[4:5], s[34:35], v[44:45], v[4:5]
	global_store_dwordx2 v[2:3], v[4:5], off
	s_branch .LBB58_3
.LBB58_52:
	s_endpgm
	.section	.rodata,"a",@progbits
	.p2align	6, 0x0
	.amdhsa_kernel _ZL30rocblas_trmm_outofplace_kernelIdLi32ELi2ELb0ELb1ELb1ELb1EPKdS0_dEv17rocblas_diagonal_iiT6_lPT7_lllS5_lllPT8_llli
		.amdhsa_group_segment_fixed_size 16384
		.amdhsa_private_segment_fixed_size 28
		.amdhsa_kernarg_size 392
		.amdhsa_user_sgpr_count 6
		.amdhsa_user_sgpr_private_segment_buffer 1
		.amdhsa_user_sgpr_dispatch_ptr 0
		.amdhsa_user_sgpr_queue_ptr 0
		.amdhsa_user_sgpr_kernarg_segment_ptr 1
		.amdhsa_user_sgpr_dispatch_id 0
		.amdhsa_user_sgpr_flat_scratch_init 0
		.amdhsa_user_sgpr_private_segment_size 0
		.amdhsa_uses_dynamic_stack 0
		.amdhsa_system_sgpr_private_segment_wavefront_offset 1
		.amdhsa_system_sgpr_workgroup_id_x 1
		.amdhsa_system_sgpr_workgroup_id_y 1
		.amdhsa_system_sgpr_workgroup_id_z 1
		.amdhsa_system_sgpr_workgroup_info 0
		.amdhsa_system_vgpr_workitem_id 1
		.amdhsa_next_free_vgpr 64
		.amdhsa_next_free_sgpr 68
		.amdhsa_reserve_vcc 1
		.amdhsa_reserve_flat_scratch 0
		.amdhsa_float_round_mode_32 0
		.amdhsa_float_round_mode_16_64 0
		.amdhsa_float_denorm_mode_32 3
		.amdhsa_float_denorm_mode_16_64 3
		.amdhsa_dx10_clamp 1
		.amdhsa_ieee_mode 1
		.amdhsa_fp16_overflow 0
		.amdhsa_exception_fp_ieee_invalid_op 0
		.amdhsa_exception_fp_denorm_src 0
		.amdhsa_exception_fp_ieee_div_zero 0
		.amdhsa_exception_fp_ieee_overflow 0
		.amdhsa_exception_fp_ieee_underflow 0
		.amdhsa_exception_fp_ieee_inexact 0
		.amdhsa_exception_int_div_zero 0
	.end_amdhsa_kernel
	.section	.text._ZL30rocblas_trmm_outofplace_kernelIdLi32ELi2ELb0ELb1ELb1ELb1EPKdS0_dEv17rocblas_diagonal_iiT6_lPT7_lllS5_lllPT8_llli,"axG",@progbits,_ZL30rocblas_trmm_outofplace_kernelIdLi32ELi2ELb0ELb1ELb1ELb1EPKdS0_dEv17rocblas_diagonal_iiT6_lPT7_lllS5_lllPT8_llli,comdat
.Lfunc_end58:
	.size	_ZL30rocblas_trmm_outofplace_kernelIdLi32ELi2ELb0ELb1ELb1ELb1EPKdS0_dEv17rocblas_diagonal_iiT6_lPT7_lllS5_lllPT8_llli, .Lfunc_end58-_ZL30rocblas_trmm_outofplace_kernelIdLi32ELi2ELb0ELb1ELb1ELb1EPKdS0_dEv17rocblas_diagonal_iiT6_lPT7_lllS5_lllPT8_llli
                                        ; -- End function
	.set _ZL30rocblas_trmm_outofplace_kernelIdLi32ELi2ELb0ELb1ELb1ELb1EPKdS0_dEv17rocblas_diagonal_iiT6_lPT7_lllS5_lllPT8_llli.num_vgpr, 64
	.set _ZL30rocblas_trmm_outofplace_kernelIdLi32ELi2ELb0ELb1ELb1ELb1EPKdS0_dEv17rocblas_diagonal_iiT6_lPT7_lllS5_lllPT8_llli.num_agpr, 0
	.set _ZL30rocblas_trmm_outofplace_kernelIdLi32ELi2ELb0ELb1ELb1ELb1EPKdS0_dEv17rocblas_diagonal_iiT6_lPT7_lllS5_lllPT8_llli.numbered_sgpr, 68
	.set _ZL30rocblas_trmm_outofplace_kernelIdLi32ELi2ELb0ELb1ELb1ELb1EPKdS0_dEv17rocblas_diagonal_iiT6_lPT7_lllS5_lllPT8_llli.num_named_barrier, 0
	.set _ZL30rocblas_trmm_outofplace_kernelIdLi32ELi2ELb0ELb1ELb1ELb1EPKdS0_dEv17rocblas_diagonal_iiT6_lPT7_lllS5_lllPT8_llli.private_seg_size, 28
	.set _ZL30rocblas_trmm_outofplace_kernelIdLi32ELi2ELb0ELb1ELb1ELb1EPKdS0_dEv17rocblas_diagonal_iiT6_lPT7_lllS5_lllPT8_llli.uses_vcc, 1
	.set _ZL30rocblas_trmm_outofplace_kernelIdLi32ELi2ELb0ELb1ELb1ELb1EPKdS0_dEv17rocblas_diagonal_iiT6_lPT7_lllS5_lllPT8_llli.uses_flat_scratch, 0
	.set _ZL30rocblas_trmm_outofplace_kernelIdLi32ELi2ELb0ELb1ELb1ELb1EPKdS0_dEv17rocblas_diagonal_iiT6_lPT7_lllS5_lllPT8_llli.has_dyn_sized_stack, 0
	.set _ZL30rocblas_trmm_outofplace_kernelIdLi32ELi2ELb0ELb1ELb1ELb1EPKdS0_dEv17rocblas_diagonal_iiT6_lPT7_lllS5_lllPT8_llli.has_recursion, 0
	.set _ZL30rocblas_trmm_outofplace_kernelIdLi32ELi2ELb0ELb1ELb1ELb1EPKdS0_dEv17rocblas_diagonal_iiT6_lPT7_lllS5_lllPT8_llli.has_indirect_call, 0
	.section	.AMDGPU.csdata,"",@progbits
; Kernel info:
; codeLenInByte = 4012
; TotalNumSgprs: 72
; NumVgprs: 64
; ScratchSize: 28
; MemoryBound: 0
; FloatMode: 240
; IeeeMode: 1
; LDSByteSize: 16384 bytes/workgroup (compile time only)
; SGPRBlocks: 8
; VGPRBlocks: 15
; NumSGPRsForWavesPerEU: 72
; NumVGPRsForWavesPerEU: 64
; Occupancy: 4
; WaveLimiterHint : 0
; COMPUTE_PGM_RSRC2:SCRATCH_EN: 1
; COMPUTE_PGM_RSRC2:USER_SGPR: 6
; COMPUTE_PGM_RSRC2:TRAP_HANDLER: 0
; COMPUTE_PGM_RSRC2:TGID_X_EN: 1
; COMPUTE_PGM_RSRC2:TGID_Y_EN: 1
; COMPUTE_PGM_RSRC2:TGID_Z_EN: 1
; COMPUTE_PGM_RSRC2:TIDIG_COMP_CNT: 1
	.section	.text._ZL30rocblas_trmm_outofplace_kernelIdLi32ELi2ELb0ELb1ELb1ELb1EdKddEv17rocblas_diagonal_iiT6_lPT7_lllS4_lllPT8_llli,"axG",@progbits,_ZL30rocblas_trmm_outofplace_kernelIdLi32ELi2ELb0ELb1ELb1ELb1EdKddEv17rocblas_diagonal_iiT6_lPT7_lllS4_lllPT8_llli,comdat
	.globl	_ZL30rocblas_trmm_outofplace_kernelIdLi32ELi2ELb0ELb1ELb1ELb1EdKddEv17rocblas_diagonal_iiT6_lPT7_lllS4_lllPT8_llli ; -- Begin function _ZL30rocblas_trmm_outofplace_kernelIdLi32ELi2ELb0ELb1ELb1ELb1EdKddEv17rocblas_diagonal_iiT6_lPT7_lllS4_lllPT8_llli
	.p2align	8
	.type	_ZL30rocblas_trmm_outofplace_kernelIdLi32ELi2ELb0ELb1ELb1ELb1EdKddEv17rocblas_diagonal_iiT6_lPT7_lllS4_lllPT8_llli,@function
_ZL30rocblas_trmm_outofplace_kernelIdLi32ELi2ELb0ELb1ELb1ELb1EdKddEv17rocblas_diagonal_iiT6_lPT7_lllS4_lllPT8_llli: ; @_ZL30rocblas_trmm_outofplace_kernelIdLi32ELi2ELb0ELb1ELb1ELb1EdKddEv17rocblas_diagonal_iiT6_lPT7_lllS4_lllPT8_llli
; %bb.0:
	s_load_dwordx2 s[34:35], s[4:5], 0x10
	s_mov_b64 s[66:67], s[2:3]
	s_mov_b64 s[64:65], s[0:1]
	s_add_u32 s64, s64, s9
	s_addc_u32 s65, s65, 0
	s_waitcnt lgkmcnt(0)
	v_cmp_eq_f64_e64 s[0:1], s[34:35], 0
	s_and_b64 vcc, exec, s[0:1]
	s_cbranch_vccnz .LBB59_52
; %bb.1:
	s_load_dwordx4 s[28:31], s[4:5], 0x0
	s_waitcnt lgkmcnt(0)
	s_add_i32 s0, s30, -1
	s_ashr_i32 s1, s0, 31
	s_lshr_b32 s1, s1, 27
	s_add_i32 s0, s0, s1
	s_ashr_i32 s33, s0, 5
	s_cmp_gt_i32 s7, s33
	s_cbranch_scc1 .LBB59_52
; %bb.2:
	s_load_dwordx8 s[20:27], s[4:5], 0x60
	s_load_dwordx16 s[36:51], s[4:5], 0x20
	v_lshl_add_u32 v2, s6, 5, v0
	s_load_dword s6, s[4:5], 0x8c
	v_ashrrev_i32_e32 v3, 31, v2
	s_waitcnt lgkmcnt(0)
	s_mul_i32 s1, s27, s8
	s_mul_hi_u32 s2, s26, s8
	s_mul_i32 s0, s26, s8
	s_add_i32 s1, s2, s1
	s_lshl_b64 s[0:1], s[0:1], 3
	s_add_u32 s2, s20, s0
	s_addc_u32 s3, s21, s1
	s_lshl_b64 s[0:1], s[22:23], 3
	s_add_u32 s60, s2, s0
	s_addc_u32 s61, s3, s1
	s_cmpk_eq_i32 s28, 0x84
	s_cselect_b64 s[26:27], -1, 0
	s_ashr_i32 s31, s30, 31
	s_ashr_i32 s0, s29, 31
	s_lshl_b64 s[52:53], s[40:41], 8
	s_lshl_b64 s[54:55], s[48:49], 8
	v_mov_b32_e32 v5, s0
	v_sub_co_u32_e32 v4, vcc, s29, v2
	s_add_u32 s56, s30, -16
	v_subb_co_u32_e32 v5, vcc, v5, v3, vcc
	s_addc_u32 s57, s31, -1
	s_lshl_b32 s9, s7, 5
	s_lshl_b32 s62, s6, 5
	v_cmp_gt_i64_e64 s[0:1], 1, v[4:5]
	v_cmp_gt_i64_e64 s[2:3], 17, v[4:5]
	v_add_u32_e32 v4, 16, v2
	v_add_u32_e32 v12, s9, v0
	;; [unrolled: 1-line block ×3, first 2 shown]
	s_add_u32 s28, s44, 0x80
	s_mul_i32 s9, s51, s8
	s_mul_hi_u32 s10, s50, s8
	v_cmp_gt_i32_e64 s[4:5], s29, v2
	v_cmp_gt_i32_e64 s[20:21], s29, v4
	s_addc_u32 s29, s45, 0
	s_add_i32 s11, s10, s9
	s_mul_i32 s10, s50, s8
	v_ashrrev_i32_e32 v5, 31, v4
	s_lshl_b64 s[58:59], s[48:49], 3
	s_lshl_b64 s[10:11], s[10:11], 3
	;; [unrolled: 1-line block ×3, first 2 shown]
	v_lshlrev_b64 v[2:3], 3, v[2:3]
	buffer_store_dword v4, off, s[64:67], 0 ; 4-byte Folded Spill
	s_nop 0
	buffer_store_dword v5, off, s[64:67], 0 offset:4 ; 4-byte Folded Spill
	s_add_u32 s9, s10, s12
	v_add_co_u32_e32 v4, vcc, s9, v2
	buffer_store_dword v2, off, s[64:67], 0 offset:8 ; 4-byte Folded Spill
	s_nop 0
	buffer_store_dword v3, off, s[64:67], 0 offset:12 ; 4-byte Folded Spill
	s_addc_u32 s10, s11, s13
	v_lshlrev_b32_e32 v6, 3, v0
	v_mov_b32_e32 v0, s10
	s_mul_i32 s9, s43, s8
	s_mul_hi_u32 s10, s42, s8
	s_add_i32 s9, s10, s9
	s_mul_i32 s8, s42, s8
	s_lshl_b64 s[8:9], s[8:9], 3
	s_lshl_b64 s[10:11], s[38:39], 3
	s_add_u32 s8, s8, s10
	s_addc_u32 s9, s9, s11
	v_lshlrev_b32_e32 v52, 8, v1
	v_or_b32_e32 v54, 0x2000, v6
	s_add_u32 s36, s36, s8
	v_add_u32_e32 v53, v52, v6
	v_add_u32_e32 v55, v54, v52
	s_addc_u32 s37, s37, s9
	s_lshl_b64 s[38:39], s[40:41], 3
	v_mov_b32_e32 v20, 0
	s_movk_i32 s50, 0x80
	v_addc_co_u32_e32 v5, vcc, v0, v3, vcc
	v_mov_b32_e32 v0, 0x3ff00000
	buffer_store_dword v4, off, s[64:67], 0 offset:16 ; 4-byte Folded Spill
	s_nop 0
	buffer_store_dword v5, off, s[64:67], 0 offset:20 ; 4-byte Folded Spill
	s_branch .LBB59_4
.LBB59_3:                               ;   in Loop: Header=BB59_4 Depth=1
	s_or_b64 exec, exec, s[8:9]
	s_add_i32 s7, s6, s7
	v_add_u32_e32 v12, s62, v12
	s_cmp_le_i32 s7, s33
	v_add_u32_e32 v14, s62, v14
	s_cbranch_scc0 .LBB59_52
.LBB59_4:                               ; =>This Loop Header: Depth=1
                                        ;     Child Loop BB59_7 Depth 2
	s_lshl_b32 s8, s7, 5
	v_add_u32_e32 v22, s8, v1
	s_sub_i32 s51, s30, s8
	v_ashrrev_i32_e32 v13, 31, v12
	v_ashrrev_i32_e32 v15, 31, v14
	s_cmp_lt_i32 s51, 1
	v_ashrrev_i32_e32 v23, 31, v22
	s_cbranch_scc1 .LBB59_43
; %bb.5:                                ;   in Loop: Header=BB59_4 Depth=1
	buffer_load_dword v42, off, s[64:67], 0 offset:16 ; 4-byte Folded Reload
	buffer_load_dword v43, off, s[64:67], 0 offset:20 ; 4-byte Folded Reload
	v_mov_b32_e32 v2, s28
	v_mov_b32_e32 v3, s29
	v_sub_co_u32_e32 v24, vcc, v14, v12
	v_mad_u64_u32 v[26:27], s[8:9], s58, v14, v[2:3]
	v_lshlrev_b64 v[2:3], 3, v[12:13]
	v_subb_co_u32_e32 v25, vcc, v15, v13, vcc
	v_add_co_u32_e32 v6, vcc, 0x80, v2
	v_lshlrev_b64 v[28:29], 3, v[14:15]
	v_addc_co_u32_e32 v2, vcc, 0, v3, vcc
	v_mul_lo_u32 v7, s40, v2
	v_mov_b32_e32 v2, s36
	v_mov_b32_e32 v3, s37
	v_add_co_u32_e32 v10, vcc, s50, v28
	v_mad_u64_u32 v[30:31], s[8:9], s40, v6, v[2:3]
	v_mad_u64_u32 v[32:33], s[8:9], s38, v12, v[2:3]
	v_addc_co_u32_e32 v2, vcc, 0, v29, vcc
	v_mul_lo_u32 v11, s48, v2
	v_mov_b32_e32 v2, s44
	v_mov_b32_e32 v3, s45
	v_mul_lo_u32 v4, s58, v15
	v_mul_lo_u32 v5, s59, v14
	v_mul_lo_u32 v8, s41, v6
	v_mul_lo_u32 v6, s38, v13
	v_mul_lo_u32 v9, s39, v12
	v_mad_u64_u32 v[34:35], s[8:9], s48, v10, v[2:3]
	v_mul_lo_u32 v2, s49, v10
	v_add_co_u32_e64 v36, s[8:9], 16, v22
	v_add_co_u32_e64 v38, s[10:11], 16, v24
	v_addc_co_u32_e64 v37, s[8:9], 0, v23, s[8:9]
	v_addc_co_u32_e64 v39, s[10:11], 0, v25, s[10:11]
	v_cmp_le_i64_e64 s[8:9], s[30:31], v[36:37]
	v_add_co_u32_e64 v40, s[10:11], -16, v24
	v_mov_b32_e32 v44, 0
	v_mov_b32_e32 v46, 0
	;; [unrolled: 1-line block ×4, first 2 shown]
	v_add3_u32 v27, v5, v27, v4
	v_add3_u32 v31, v8, v31, v7
	;; [unrolled: 1-line block ×4, first 2 shown]
	v_cmp_le_i32_e32 vcc, s30, v22
	v_addc_co_u32_e64 v41, s[10:11], -1, v25, s[10:11]
	v_mov_b32_e32 v45, 0
	s_mov_b64 s[42:43], 0
	v_mov_b32_e32 v47, 0
	v_mov_b32_e32 v49, 0
	;; [unrolled: 1-line block ×3, first 2 shown]
	s_branch .LBB59_7
.LBB59_6:                               ;   in Loop: Header=BB59_7 Depth=2
	s_or_b64 exec, exec, s[10:11]
	s_waitcnt lgkmcnt(0)
	s_barrier
	ds_read_b128 v[56:59], v52
	ds_read_b128 v[60:63], v52 offset:16
	ds_read_b128 v[6:9], v52 offset:32
	;; [unrolled: 1-line block ×3, first 2 shown]
	ds_read2_b64 v[16:19], v54 offset1:16
	v_add_co_u32_e64 v42, s[10:11], s54, v42
	s_add_u32 s42, s42, 32
	s_addc_u32 s43, s43, 0
	s_waitcnt lgkmcnt(0)
	v_fma_f64 v[10:11], v[16:17], v[56:57], v[50:51]
	v_fma_f64 v[56:57], v[18:19], v[56:57], v[48:49]
	ds_read_b128 v[48:51], v52 offset:4096
	s_cmp_ge_i32 s42, s51
	s_waitcnt lgkmcnt(0)
	v_fma_f64 v[46:47], v[16:17], v[48:49], v[46:47]
	v_fma_f64 v[44:45], v[18:19], v[48:49], v[44:45]
	ds_read2_b64 v[16:19], v54 offset0:32 offset1:48
	s_waitcnt lgkmcnt(0)
	v_fma_f64 v[10:11], v[16:17], v[58:59], v[10:11]
	v_fma_f64 v[48:49], v[18:19], v[58:59], v[56:57]
	v_fma_f64 v[56:57], v[16:17], v[50:51], v[46:47]
	v_fma_f64 v[50:51], v[18:19], v[50:51], v[44:45]
	ds_read2_b64 v[16:19], v54 offset0:64 offset1:80
	ds_read_b128 v[44:47], v52 offset:4112
	s_waitcnt lgkmcnt(1)
	v_fma_f64 v[10:11], v[16:17], v[60:61], v[10:11]
	v_fma_f64 v[48:49], v[18:19], v[60:61], v[48:49]
	s_waitcnt lgkmcnt(0)
	v_fma_f64 v[56:57], v[16:17], v[44:45], v[56:57]
	v_fma_f64 v[44:45], v[18:19], v[44:45], v[50:51]
	ds_read2_b64 v[16:19], v54 offset0:96 offset1:112
	s_waitcnt lgkmcnt(0)
	v_fma_f64 v[10:11], v[16:17], v[62:63], v[10:11]
	v_fma_f64 v[48:49], v[18:19], v[62:63], v[48:49]
	v_fma_f64 v[50:51], v[16:17], v[46:47], v[56:57]
	v_fma_f64 v[56:57], v[18:19], v[46:47], v[44:45]
	ds_read2_b64 v[16:19], v54 offset0:128 offset1:144
	ds_read_b128 v[44:47], v52 offset:4128
	s_waitcnt lgkmcnt(1)
	v_fma_f64 v[10:11], v[16:17], v[6:7], v[10:11]
	v_fma_f64 v[6:7], v[18:19], v[6:7], v[48:49]
	;; [unrolled: 14-line block ×3, first 2 shown]
	s_waitcnt lgkmcnt(0)
	v_fma_f64 v[46:47], v[6:7], v[16:17], v[48:49]
	v_fma_f64 v[16:17], v[8:9], v[16:17], v[44:45]
	ds_read2_b64 v[6:9], v54 offset0:224 offset1:240
	s_waitcnt lgkmcnt(0)
	v_fma_f64 v[10:11], v[6:7], v[4:5], v[10:11]
	v_fma_f64 v[44:45], v[8:9], v[4:5], v[2:3]
	v_add_u32_e32 v2, 0x800, v54
	v_fma_f64 v[48:49], v[6:7], v[18:19], v[46:47]
	v_fma_f64 v[7:8], v[8:9], v[18:19], v[16:17]
	ds_read_b128 v[3:6], v52 offset:64
	ds_read2_b64 v[16:19], v2 offset1:16
	s_waitcnt lgkmcnt(0)
	v_fma_f64 v[9:10], v[16:17], v[3:4], v[10:11]
	v_fma_f64 v[3:4], v[18:19], v[3:4], v[44:45]
	ds_read_b128 v[44:47], v52 offset:4160
	s_waitcnt lgkmcnt(0)
	v_fma_f64 v[48:49], v[16:17], v[44:45], v[48:49]
	v_fma_f64 v[7:8], v[18:19], v[44:45], v[7:8]
	ds_read2_b64 v[16:19], v2 offset0:32 offset1:48
	s_waitcnt lgkmcnt(0)
	v_fma_f64 v[9:10], v[16:17], v[5:6], v[9:10]
	v_fma_f64 v[44:45], v[18:19], v[5:6], v[3:4]
	v_fma_f64 v[48:49], v[16:17], v[46:47], v[48:49]
	v_fma_f64 v[7:8], v[18:19], v[46:47], v[7:8]
	ds_read_b128 v[3:6], v52 offset:80
	ds_read2_b64 v[16:19], v2 offset0:64 offset1:80
	s_waitcnt lgkmcnt(0)
	v_fma_f64 v[9:10], v[16:17], v[3:4], v[9:10]
	v_fma_f64 v[3:4], v[18:19], v[3:4], v[44:45]
	ds_read_b128 v[44:47], v52 offset:4176
	s_waitcnt lgkmcnt(0)
	v_fma_f64 v[48:49], v[16:17], v[44:45], v[48:49]
	v_fma_f64 v[7:8], v[18:19], v[44:45], v[7:8]
	ds_read2_b64 v[16:19], v2 offset0:96 offset1:112
	s_waitcnt lgkmcnt(0)
	v_fma_f64 v[9:10], v[16:17], v[5:6], v[9:10]
	v_fma_f64 v[44:45], v[18:19], v[5:6], v[3:4]
	v_fma_f64 v[48:49], v[16:17], v[46:47], v[48:49]
	v_fma_f64 v[7:8], v[18:19], v[46:47], v[7:8]
	ds_read_b128 v[3:6], v52 offset:96
	ds_read2_b64 v[16:19], v2 offset0:128 offset1:144
	s_waitcnt lgkmcnt(0)
	v_fma_f64 v[9:10], v[16:17], v[3:4], v[9:10]
	v_fma_f64 v[3:4], v[18:19], v[3:4], v[44:45]
	ds_read_b128 v[44:47], v52 offset:4192
	s_waitcnt lgkmcnt(0)
	v_fma_f64 v[48:49], v[16:17], v[44:45], v[48:49]
	v_fma_f64 v[7:8], v[18:19], v[44:45], v[7:8]
	ds_read2_b64 v[16:19], v2 offset0:160 offset1:176
	s_waitcnt lgkmcnt(0)
	v_fma_f64 v[9:10], v[16:17], v[5:6], v[9:10]
	v_fma_f64 v[44:45], v[18:19], v[5:6], v[3:4]
	v_fma_f64 v[48:49], v[16:17], v[46:47], v[48:49]
	v_fma_f64 v[7:8], v[18:19], v[46:47], v[7:8]
	ds_read_b128 v[3:6], v52 offset:112
	ds_read2_b64 v[16:19], v2 offset0:192 offset1:208
	s_waitcnt lgkmcnt(0)
	v_fma_f64 v[9:10], v[16:17], v[3:4], v[9:10]
	v_fma_f64 v[3:4], v[18:19], v[3:4], v[44:45]
	ds_read_b128 v[44:47], v52 offset:4208
	s_waitcnt lgkmcnt(0)
	v_fma_f64 v[48:49], v[16:17], v[44:45], v[48:49]
	v_fma_f64 v[7:8], v[18:19], v[44:45], v[7:8]
	ds_read2_b64 v[16:19], v2 offset0:224 offset1:240
	v_add_u32_e32 v2, 0x1000, v54
	s_waitcnt lgkmcnt(0)
	v_fma_f64 v[9:10], v[16:17], v[5:6], v[9:10]
	v_fma_f64 v[44:45], v[18:19], v[5:6], v[3:4]
	;; [unrolled: 1-line block ×4, first 2 shown]
	ds_read_b128 v[3:6], v52 offset:128
	ds_read2_b64 v[16:19], v2 offset1:16
	s_waitcnt lgkmcnt(0)
	v_fma_f64 v[9:10], v[16:17], v[3:4], v[9:10]
	v_fma_f64 v[3:4], v[18:19], v[3:4], v[44:45]
	ds_read_b128 v[44:47], v52 offset:4224
	s_waitcnt lgkmcnt(0)
	v_fma_f64 v[48:49], v[16:17], v[44:45], v[48:49]
	v_fma_f64 v[7:8], v[18:19], v[44:45], v[7:8]
	ds_read2_b64 v[16:19], v2 offset0:32 offset1:48
	s_waitcnt lgkmcnt(0)
	v_fma_f64 v[9:10], v[16:17], v[5:6], v[9:10]
	v_fma_f64 v[44:45], v[18:19], v[5:6], v[3:4]
	v_fma_f64 v[48:49], v[16:17], v[46:47], v[48:49]
	v_fma_f64 v[7:8], v[18:19], v[46:47], v[7:8]
	ds_read_b128 v[3:6], v52 offset:144
	ds_read2_b64 v[16:19], v2 offset0:64 offset1:80
	s_waitcnt lgkmcnt(0)
	v_fma_f64 v[9:10], v[16:17], v[3:4], v[9:10]
	v_fma_f64 v[3:4], v[18:19], v[3:4], v[44:45]
	ds_read_b128 v[44:47], v52 offset:4240
	s_waitcnt lgkmcnt(0)
	v_fma_f64 v[48:49], v[16:17], v[44:45], v[48:49]
	v_fma_f64 v[7:8], v[18:19], v[44:45], v[7:8]
	ds_read2_b64 v[16:19], v2 offset0:96 offset1:112
	s_waitcnt lgkmcnt(0)
	v_fma_f64 v[9:10], v[16:17], v[5:6], v[9:10]
	v_fma_f64 v[44:45], v[18:19], v[5:6], v[3:4]
	v_fma_f64 v[48:49], v[16:17], v[46:47], v[48:49]
	v_fma_f64 v[7:8], v[18:19], v[46:47], v[7:8]
	ds_read_b128 v[3:6], v52 offset:160
	ds_read2_b64 v[16:19], v2 offset0:128 offset1:144
	;; [unrolled: 15-line block ×3, first 2 shown]
	s_waitcnt lgkmcnt(0)
	v_fma_f64 v[9:10], v[16:17], v[3:4], v[9:10]
	v_fma_f64 v[3:4], v[18:19], v[3:4], v[44:45]
	ds_read_b128 v[44:47], v52 offset:4272
	s_waitcnt lgkmcnt(0)
	v_fma_f64 v[48:49], v[16:17], v[44:45], v[48:49]
	v_fma_f64 v[7:8], v[18:19], v[44:45], v[7:8]
	ds_read2_b64 v[16:19], v2 offset0:224 offset1:240
	v_add_u32_e32 v2, 0x1800, v54
	s_waitcnt lgkmcnt(0)
	v_fma_f64 v[9:10], v[16:17], v[5:6], v[9:10]
	v_fma_f64 v[44:45], v[18:19], v[5:6], v[3:4]
	;; [unrolled: 1-line block ×4, first 2 shown]
	ds_read_b128 v[3:6], v52 offset:192
	ds_read2_b64 v[16:19], v2 offset1:16
	s_waitcnt lgkmcnt(0)
	v_fma_f64 v[9:10], v[16:17], v[3:4], v[9:10]
	v_fma_f64 v[3:4], v[18:19], v[3:4], v[44:45]
	ds_read_b128 v[44:47], v52 offset:4288
	s_waitcnt lgkmcnt(0)
	v_fma_f64 v[48:49], v[16:17], v[44:45], v[48:49]
	v_fma_f64 v[7:8], v[18:19], v[44:45], v[7:8]
	ds_read2_b64 v[16:19], v2 offset0:32 offset1:48
	s_waitcnt lgkmcnt(0)
	v_fma_f64 v[9:10], v[16:17], v[5:6], v[9:10]
	v_fma_f64 v[44:45], v[18:19], v[5:6], v[3:4]
	v_fma_f64 v[48:49], v[16:17], v[46:47], v[48:49]
	v_fma_f64 v[7:8], v[18:19], v[46:47], v[7:8]
	ds_read_b128 v[3:6], v52 offset:208
	ds_read2_b64 v[16:19], v2 offset0:64 offset1:80
	s_waitcnt lgkmcnt(0)
	v_fma_f64 v[9:10], v[16:17], v[3:4], v[9:10]
	v_fma_f64 v[3:4], v[18:19], v[3:4], v[44:45]
	ds_read_b128 v[44:47], v52 offset:4304
	s_waitcnt lgkmcnt(0)
	v_fma_f64 v[48:49], v[16:17], v[44:45], v[48:49]
	v_fma_f64 v[7:8], v[18:19], v[44:45], v[7:8]
	ds_read2_b64 v[16:19], v2 offset0:96 offset1:112
	s_waitcnt lgkmcnt(0)
	v_fma_f64 v[9:10], v[16:17], v[5:6], v[9:10]
	v_fma_f64 v[44:45], v[18:19], v[5:6], v[3:4]
	v_fma_f64 v[48:49], v[16:17], v[46:47], v[48:49]
	v_fma_f64 v[7:8], v[18:19], v[46:47], v[7:8]
	ds_read_b128 v[3:6], v52 offset:224
	ds_read2_b64 v[16:19], v2 offset0:128 offset1:144
	;; [unrolled: 15-line block ×3, first 2 shown]
	ds_read_b128 v[56:59], v52 offset:4336
	s_waitcnt lgkmcnt(1)
	v_fma_f64 v[9:10], v[16:17], v[3:4], v[9:10]
	v_fma_f64 v[3:4], v[18:19], v[3:4], v[44:45]
	s_waitcnt lgkmcnt(0)
	v_fma_f64 v[44:45], v[16:17], v[56:57], v[48:49]
	v_fma_f64 v[7:8], v[18:19], v[56:57], v[7:8]
	ds_read2_b64 v[16:19], v2 offset0:224 offset1:240
	v_mov_b32_e32 v2, s55
	v_addc_co_u32_e64 v43, s[10:11], v43, v2, s[10:11]
	v_add_co_u32_e64 v30, s[10:11], s52, v30
	s_waitcnt lgkmcnt(0)
	v_fma_f64 v[50:51], v[16:17], v[5:6], v[9:10]
	v_fma_f64 v[48:49], v[18:19], v[5:6], v[3:4]
	;; [unrolled: 1-line block ×4, first 2 shown]
	v_mov_b32_e32 v2, s53
	v_addc_co_u32_e64 v31, s[10:11], v31, v2, s[10:11]
	v_add_co_u32_e64 v32, s[10:11], s52, v32
	v_addc_co_u32_e64 v33, s[10:11], v33, v2, s[10:11]
	s_barrier
	s_cbranch_scc1 .LBB59_44
.LBB59_7:                               ;   Parent Loop BB59_4 Depth=1
                                        ; =>  This Inner Loop Header: Depth=2
	v_mov_b32_e32 v2, s43
	v_add_co_u32_e64 v4, s[10:11], s42, v12
	v_addc_co_u32_e64 v5, s[10:11], v13, v2, s[10:11]
	v_add_co_u32_e64 v2, s[12:13], v32, v28
	v_addc_co_u32_e64 v3, s[12:13], v33, v29, s[12:13]
	v_cmp_lt_i64_e64 s[12:13], v[4:5], v[22:23]
	v_cmp_eq_u64_e64 s[10:11], s[42:43], v[24:25]
	v_cmp_le_i64_e64 s[14:15], s[30:31], v[4:5]
	s_or_b64 s[16:17], vcc, s[12:13]
	s_and_b64 s[10:11], s[26:27], s[10:11]
	s_or_b64 s[16:17], s[14:15], s[16:17]
	s_nor_b64 s[16:17], s[16:17], s[10:11]
                                        ; implicit-def: $vgpr6_vgpr7
	s_and_saveexec_b64 s[18:19], s[16:17]
	s_xor_b64 s[16:17], exec, s[18:19]
	s_cbranch_execz .LBB59_9
; %bb.8:                                ;   in Loop: Header=BB59_7 Depth=2
	global_load_dwordx2 v[6:7], v[2:3], off
.LBB59_9:                               ;   in Loop: Header=BB59_7 Depth=2
	s_andn2_saveexec_b64 s[16:17], s[16:17]
	s_cbranch_execz .LBB59_11
; %bb.10:                               ;   in Loop: Header=BB59_7 Depth=2
	v_cndmask_b32_e64 v21, 0, v0, s[10:11]
	s_waitcnt vmcnt(0)
	v_mov_b32_e32 v6, v20
	v_mov_b32_e32 v7, v21
.LBB59_11:                              ;   in Loop: Header=BB59_7 Depth=2
	s_or_b64 exec, exec, s[16:17]
	s_waitcnt vmcnt(0)
	ds_write_b64 v53, v[6:7]
	v_add_co_u32_e64 v6, s[18:19], 16, v4
	v_cmp_eq_u64_e64 s[16:17], s[42:43], v[40:41]
	v_addc_co_u32_e64 v7, s[18:19], 0, v5, s[18:19]
	v_cmp_lt_i64_e64 s[18:19], v[6:7], v[22:23]
	s_and_b64 s[22:23], s[26:27], s[16:17]
	v_cmp_le_i64_e64 s[16:17], s[30:31], v[6:7]
	s_or_b64 s[18:19], vcc, s[18:19]
	s_or_b64 s[18:19], s[16:17], s[18:19]
	s_nor_b64 s[18:19], s[18:19], s[22:23]
	s_and_saveexec_b64 s[46:47], s[18:19]
	s_xor_b64 s[46:47], exec, s[46:47]
	s_cbranch_execz .LBB59_13
; %bb.12:                               ;   in Loop: Header=BB59_7 Depth=2
	v_add_co_u32_e64 v6, s[18:19], v30, v28
	v_addc_co_u32_e64 v7, s[18:19], v31, v29, s[18:19]
	global_load_dwordx2 v[6:7], v[6:7], off
	s_waitcnt vmcnt(0)
	ds_write_b64 v53, v[6:7] offset:128
.LBB59_13:                              ;   in Loop: Header=BB59_7 Depth=2
	s_andn2_saveexec_b64 s[18:19], s[46:47]
	s_cbranch_execz .LBB59_19
; %bb.14:                               ;   in Loop: Header=BB59_7 Depth=2
	s_xor_b64 s[22:23], s[22:23], -1
	s_and_saveexec_b64 s[46:47], s[22:23]
	s_xor_b64 s[22:23], exec, s[46:47]
; %bb.15:                               ;   in Loop: Header=BB59_7 Depth=2
	v_mov_b32_e32 v21, v20
	ds_write_b64 v53, v[20:21] offset:128
; %bb.16:                               ;   in Loop: Header=BB59_7 Depth=2
	s_andn2_saveexec_b64 s[22:23], s[22:23]
; %bb.17:                               ;   in Loop: Header=BB59_7 Depth=2
	v_mov_b32_e32 v21, v0
	ds_write_b64 v53, v[20:21] offset:128
; %bb.18:                               ;   in Loop: Header=BB59_7 Depth=2
	s_or_b64 exec, exec, s[22:23]
.LBB59_19:                              ;   in Loop: Header=BB59_7 Depth=2
	s_or_b64 exec, exec, s[18:19]
	v_cmp_eq_u64_e64 s[18:19], s[42:43], v[38:39]
	v_cmp_lt_i64_e64 s[22:23], v[4:5], v[36:37]
	s_and_b64 s[18:19], s[26:27], s[18:19]
	s_or_b64 s[22:23], s[8:9], s[22:23]
	s_or_b64 s[22:23], s[22:23], s[18:19]
	s_nor_b64 s[14:15], s[14:15], s[22:23]
                                        ; implicit-def: $vgpr4_vgpr5
	s_and_saveexec_b64 s[22:23], s[14:15]
	s_xor_b64 s[14:15], exec, s[22:23]
	s_cbranch_execz .LBB59_21
; %bb.20:                               ;   in Loop: Header=BB59_7 Depth=2
	global_load_dwordx2 v[4:5], v[2:3], off offset:128
.LBB59_21:                              ;   in Loop: Header=BB59_7 Depth=2
	s_andn2_saveexec_b64 s[14:15], s[14:15]
	s_cbranch_execz .LBB59_23
; %bb.22:                               ;   in Loop: Header=BB59_7 Depth=2
	v_cndmask_b32_e64 v21, 0, v0, s[18:19]
	s_waitcnt vmcnt(0)
	v_mov_b32_e32 v4, v20
	v_mov_b32_e32 v5, v21
.LBB59_23:                              ;   in Loop: Header=BB59_7 Depth=2
	s_or_b64 exec, exec, s[14:15]
	s_or_b64 s[12:13], s[8:9], s[12:13]
	s_or_b64 s[12:13], s[16:17], s[12:13]
	s_nor_b64 s[12:13], s[12:13], s[10:11]
	s_waitcnt vmcnt(0)
	ds_write_b64 v53, v[4:5] offset:4096
	s_and_saveexec_b64 s[14:15], s[12:13]
	s_xor_b64 s[14:15], exec, s[14:15]
	s_cbranch_execz .LBB59_25
; %bb.24:                               ;   in Loop: Header=BB59_7 Depth=2
	v_add_co_u32_e64 v2, s[12:13], v30, v28
	v_addc_co_u32_e64 v3, s[12:13], v31, v29, s[12:13]
	global_load_dwordx2 v[2:3], v[2:3], off offset:128
	s_waitcnt vmcnt(0)
	ds_write_b64 v53, v[2:3] offset:4224
.LBB59_25:                              ;   in Loop: Header=BB59_7 Depth=2
	s_andn2_saveexec_b64 s[12:13], s[14:15]
	s_cbranch_execz .LBB59_31
; %bb.26:                               ;   in Loop: Header=BB59_7 Depth=2
	s_xor_b64 s[10:11], s[10:11], -1
	s_and_saveexec_b64 s[14:15], s[10:11]
	s_xor_b64 s[10:11], exec, s[14:15]
; %bb.27:                               ;   in Loop: Header=BB59_7 Depth=2
	v_mov_b32_e32 v21, v20
	ds_write_b64 v53, v[20:21] offset:4224
; %bb.28:                               ;   in Loop: Header=BB59_7 Depth=2
	s_andn2_saveexec_b64 s[10:11], s[10:11]
; %bb.29:                               ;   in Loop: Header=BB59_7 Depth=2
	v_mov_b32_e32 v21, v0
	ds_write_b64 v53, v[20:21] offset:4224
; %bb.30:                               ;   in Loop: Header=BB59_7 Depth=2
	s_or_b64 exec, exec, s[10:11]
.LBB59_31:                              ;   in Loop: Header=BB59_7 Depth=2
	s_or_b64 exec, exec, s[12:13]
	v_mov_b32_e32 v3, s43
	v_add_co_u32_e64 v2, s[10:11], s42, v14
	v_addc_co_u32_e64 v3, s[10:11], v15, v3, s[10:11]
	v_add_co_u32_e64 v4, s[10:11], v26, v42
	v_addc_co_u32_e64 v5, s[10:11], v27, v43, s[10:11]
	v_cmp_le_i64_e64 s[10:11], s[30:31], v[2:3]
	v_mov_b32_e32 v6, 0
	v_mov_b32_e32 v7, 0
	s_nor_b64 s[14:15], s[10:11], s[0:1]
	s_and_saveexec_b64 s[12:13], s[14:15]
	s_cbranch_execz .LBB59_33
; %bb.32:                               ;   in Loop: Header=BB59_7 Depth=2
	global_load_dwordx2 v[6:7], v[4:5], off offset:-128
.LBB59_33:                              ;   in Loop: Header=BB59_7 Depth=2
	s_or_b64 exec, exec, s[12:13]
	s_nor_b64 s[10:11], s[10:11], s[2:3]
	s_waitcnt vmcnt(0)
	ds_write_b64 v55, v[6:7]
	s_and_saveexec_b64 s[12:13], s[10:11]
	s_xor_b64 s[10:11], exec, s[12:13]
	s_cbranch_execz .LBB59_35
; %bb.34:                               ;   in Loop: Header=BB59_7 Depth=2
	global_load_dwordx2 v[4:5], v[4:5], off
	s_waitcnt vmcnt(0)
	ds_write_b64 v55, v[4:5] offset:128
.LBB59_35:                              ;   in Loop: Header=BB59_7 Depth=2
	s_andn2_saveexec_b64 s[10:11], s[10:11]
; %bb.36:                               ;   in Loop: Header=BB59_7 Depth=2
	v_mov_b32_e32 v21, v20
	ds_write_b64 v55, v[20:21] offset:128
; %bb.37:                               ;   in Loop: Header=BB59_7 Depth=2
	s_or_b64 exec, exec, s[10:11]
	v_cmp_le_i64_e64 s[10:11], s[56:57], v[2:3]
	v_add_co_u32_e64 v2, s[12:13], v34, v42
	v_mov_b32_e32 v4, 0
	v_addc_co_u32_e64 v3, s[12:13], v35, v43, s[12:13]
	v_mov_b32_e32 v5, 0
	s_nor_b64 s[14:15], s[10:11], s[0:1]
	s_and_saveexec_b64 s[12:13], s[14:15]
	s_cbranch_execz .LBB59_39
; %bb.38:                               ;   in Loop: Header=BB59_7 Depth=2
	global_load_dwordx2 v[4:5], v[2:3], off
.LBB59_39:                              ;   in Loop: Header=BB59_7 Depth=2
	s_or_b64 exec, exec, s[12:13]
	s_nor_b64 s[10:11], s[10:11], s[2:3]
	s_waitcnt vmcnt(0)
	ds_write_b64 v55, v[4:5] offset:4096
	s_and_saveexec_b64 s[12:13], s[10:11]
	s_xor_b64 s[10:11], exec, s[12:13]
	s_cbranch_execz .LBB59_41
; %bb.40:                               ;   in Loop: Header=BB59_7 Depth=2
	global_load_dwordx2 v[2:3], v[2:3], off offset:128
	s_waitcnt vmcnt(0)
	ds_write_b64 v55, v[2:3] offset:4224
.LBB59_41:                              ;   in Loop: Header=BB59_7 Depth=2
	s_andn2_saveexec_b64 s[10:11], s[10:11]
	s_cbranch_execz .LBB59_6
; %bb.42:                               ;   in Loop: Header=BB59_7 Depth=2
	v_mov_b32_e32 v21, v20
	ds_write_b64 v55, v[20:21] offset:4224
	s_branch .LBB59_6
.LBB59_43:                              ;   in Loop: Header=BB59_4 Depth=1
	v_mov_b32_e32 v50, 0
	v_mov_b32_e32 v48, 0
	;; [unrolled: 1-line block ×8, first 2 shown]
.LBB59_44:                              ;   in Loop: Header=BB59_4 Depth=1
	v_mul_lo_u32 v4, s25, v22
	v_mul_lo_u32 v5, s24, v23
	v_mad_u64_u32 v[2:3], s[8:9], s24, v22, 0
	v_cmp_gt_i32_e32 vcc, s30, v22
	v_add3_u32 v3, v3, v5, v4
	v_lshlrev_b64 v[2:3], 3, v[2:3]
	v_mov_b32_e32 v4, s61
	v_add_co_u32_e64 v2, s[8:9], s60, v2
	v_addc_co_u32_e64 v3, s[8:9], v4, v3, s[8:9]
	s_and_b64 s[8:9], s[4:5], vcc
	s_and_saveexec_b64 s[10:11], s[8:9]
	s_cbranch_execz .LBB59_46
; %bb.45:                               ;   in Loop: Header=BB59_4 Depth=1
	buffer_load_dword v4, off, s[64:67], 0 offset:8 ; 4-byte Folded Reload
	buffer_load_dword v5, off, s[64:67], 0 offset:12 ; 4-byte Folded Reload
	s_waitcnt vmcnt(1)
	v_add_co_u32_e64 v4, s[8:9], v2, v4
	s_waitcnt vmcnt(0)
	v_addc_co_u32_e64 v5, s[8:9], v3, v5, s[8:9]
	global_load_dwordx2 v[6:7], v[4:5], off
	s_waitcnt vmcnt(0)
	v_fma_f64 v[6:7], s[34:35], v[50:51], v[6:7]
	global_store_dwordx2 v[4:5], v[6:7], off
.LBB59_46:                              ;   in Loop: Header=BB59_4 Depth=1
	s_or_b64 exec, exec, s[10:11]
	s_and_b64 s[10:11], s[20:21], vcc
	s_and_saveexec_b64 s[8:9], s[10:11]
	s_cbranch_execz .LBB59_48
; %bb.47:                               ;   in Loop: Header=BB59_4 Depth=1
	buffer_load_dword v4, off, s[64:67], 0  ; 4-byte Folded Reload
	buffer_load_dword v5, off, s[64:67], 0 offset:4 ; 4-byte Folded Reload
	s_waitcnt vmcnt(0)
	v_lshlrev_b64 v[4:5], 3, v[4:5]
	v_add_co_u32_e32 v2, vcc, v2, v4
	v_addc_co_u32_e32 v3, vcc, v3, v5, vcc
	global_load_dwordx2 v[4:5], v[2:3], off
	s_waitcnt vmcnt(0)
	v_fma_f64 v[4:5], s[34:35], v[48:49], v[4:5]
	global_store_dwordx2 v[2:3], v[4:5], off
.LBB59_48:                              ;   in Loop: Header=BB59_4 Depth=1
	s_or_b64 exec, exec, s[8:9]
	v_add_u32_e32 v4, 16, v22
	v_ashrrev_i32_e32 v2, 31, v4
	v_mul_lo_u32 v5, s24, v2
	v_mul_lo_u32 v6, s25, v4
	v_mad_u64_u32 v[2:3], s[8:9], s24, v4, 0
	v_cmp_gt_i32_e32 vcc, s30, v4
	v_mov_b32_e32 v4, s61
	v_add3_u32 v3, v3, v5, v6
	v_lshlrev_b64 v[2:3], 3, v[2:3]
	v_add_co_u32_e64 v2, s[8:9], s60, v2
	v_addc_co_u32_e64 v3, s[8:9], v4, v3, s[8:9]
	s_and_b64 s[8:9], s[4:5], vcc
	s_and_saveexec_b64 s[10:11], s[8:9]
	s_cbranch_execz .LBB59_50
; %bb.49:                               ;   in Loop: Header=BB59_4 Depth=1
	buffer_load_dword v4, off, s[64:67], 0 offset:8 ; 4-byte Folded Reload
	buffer_load_dword v5, off, s[64:67], 0 offset:12 ; 4-byte Folded Reload
	s_waitcnt vmcnt(1)
	v_add_co_u32_e64 v4, s[8:9], v2, v4
	s_waitcnt vmcnt(0)
	v_addc_co_u32_e64 v5, s[8:9], v3, v5, s[8:9]
	global_load_dwordx2 v[6:7], v[4:5], off
	s_waitcnt vmcnt(0)
	v_fma_f64 v[6:7], s[34:35], v[46:47], v[6:7]
	global_store_dwordx2 v[4:5], v[6:7], off
.LBB59_50:                              ;   in Loop: Header=BB59_4 Depth=1
	s_or_b64 exec, exec, s[10:11]
	s_and_b64 s[10:11], s[20:21], vcc
	s_and_saveexec_b64 s[8:9], s[10:11]
	s_cbranch_execz .LBB59_3
; %bb.51:                               ;   in Loop: Header=BB59_4 Depth=1
	buffer_load_dword v4, off, s[64:67], 0  ; 4-byte Folded Reload
	buffer_load_dword v5, off, s[64:67], 0 offset:4 ; 4-byte Folded Reload
	s_waitcnt vmcnt(0)
	v_lshlrev_b64 v[4:5], 3, v[4:5]
	v_add_co_u32_e32 v2, vcc, v2, v4
	v_addc_co_u32_e32 v3, vcc, v3, v5, vcc
	global_load_dwordx2 v[4:5], v[2:3], off
	s_waitcnt vmcnt(0)
	v_fma_f64 v[4:5], s[34:35], v[44:45], v[4:5]
	global_store_dwordx2 v[2:3], v[4:5], off
	s_branch .LBB59_3
.LBB59_52:
	s_endpgm
	.section	.rodata,"a",@progbits
	.p2align	6, 0x0
	.amdhsa_kernel _ZL30rocblas_trmm_outofplace_kernelIdLi32ELi2ELb0ELb1ELb1ELb1EdKddEv17rocblas_diagonal_iiT6_lPT7_lllS4_lllPT8_llli
		.amdhsa_group_segment_fixed_size 16384
		.amdhsa_private_segment_fixed_size 28
		.amdhsa_kernarg_size 392
		.amdhsa_user_sgpr_count 6
		.amdhsa_user_sgpr_private_segment_buffer 1
		.amdhsa_user_sgpr_dispatch_ptr 0
		.amdhsa_user_sgpr_queue_ptr 0
		.amdhsa_user_sgpr_kernarg_segment_ptr 1
		.amdhsa_user_sgpr_dispatch_id 0
		.amdhsa_user_sgpr_flat_scratch_init 0
		.amdhsa_user_sgpr_private_segment_size 0
		.amdhsa_uses_dynamic_stack 0
		.amdhsa_system_sgpr_private_segment_wavefront_offset 1
		.amdhsa_system_sgpr_workgroup_id_x 1
		.amdhsa_system_sgpr_workgroup_id_y 1
		.amdhsa_system_sgpr_workgroup_id_z 1
		.amdhsa_system_sgpr_workgroup_info 0
		.amdhsa_system_vgpr_workitem_id 1
		.amdhsa_next_free_vgpr 64
		.amdhsa_next_free_sgpr 68
		.amdhsa_reserve_vcc 1
		.amdhsa_reserve_flat_scratch 0
		.amdhsa_float_round_mode_32 0
		.amdhsa_float_round_mode_16_64 0
		.amdhsa_float_denorm_mode_32 3
		.amdhsa_float_denorm_mode_16_64 3
		.amdhsa_dx10_clamp 1
		.amdhsa_ieee_mode 1
		.amdhsa_fp16_overflow 0
		.amdhsa_exception_fp_ieee_invalid_op 0
		.amdhsa_exception_fp_denorm_src 0
		.amdhsa_exception_fp_ieee_div_zero 0
		.amdhsa_exception_fp_ieee_overflow 0
		.amdhsa_exception_fp_ieee_underflow 0
		.amdhsa_exception_fp_ieee_inexact 0
		.amdhsa_exception_int_div_zero 0
	.end_amdhsa_kernel
	.section	.text._ZL30rocblas_trmm_outofplace_kernelIdLi32ELi2ELb0ELb1ELb1ELb1EdKddEv17rocblas_diagonal_iiT6_lPT7_lllS4_lllPT8_llli,"axG",@progbits,_ZL30rocblas_trmm_outofplace_kernelIdLi32ELi2ELb0ELb1ELb1ELb1EdKddEv17rocblas_diagonal_iiT6_lPT7_lllS4_lllPT8_llli,comdat
.Lfunc_end59:
	.size	_ZL30rocblas_trmm_outofplace_kernelIdLi32ELi2ELb0ELb1ELb1ELb1EdKddEv17rocblas_diagonal_iiT6_lPT7_lllS4_lllPT8_llli, .Lfunc_end59-_ZL30rocblas_trmm_outofplace_kernelIdLi32ELi2ELb0ELb1ELb1ELb1EdKddEv17rocblas_diagonal_iiT6_lPT7_lllS4_lllPT8_llli
                                        ; -- End function
	.set _ZL30rocblas_trmm_outofplace_kernelIdLi32ELi2ELb0ELb1ELb1ELb1EdKddEv17rocblas_diagonal_iiT6_lPT7_lllS4_lllPT8_llli.num_vgpr, 64
	.set _ZL30rocblas_trmm_outofplace_kernelIdLi32ELi2ELb0ELb1ELb1ELb1EdKddEv17rocblas_diagonal_iiT6_lPT7_lllS4_lllPT8_llli.num_agpr, 0
	.set _ZL30rocblas_trmm_outofplace_kernelIdLi32ELi2ELb0ELb1ELb1ELb1EdKddEv17rocblas_diagonal_iiT6_lPT7_lllS4_lllPT8_llli.numbered_sgpr, 68
	.set _ZL30rocblas_trmm_outofplace_kernelIdLi32ELi2ELb0ELb1ELb1ELb1EdKddEv17rocblas_diagonal_iiT6_lPT7_lllS4_lllPT8_llli.num_named_barrier, 0
	.set _ZL30rocblas_trmm_outofplace_kernelIdLi32ELi2ELb0ELb1ELb1ELb1EdKddEv17rocblas_diagonal_iiT6_lPT7_lllS4_lllPT8_llli.private_seg_size, 28
	.set _ZL30rocblas_trmm_outofplace_kernelIdLi32ELi2ELb0ELb1ELb1ELb1EdKddEv17rocblas_diagonal_iiT6_lPT7_lllS4_lllPT8_llli.uses_vcc, 1
	.set _ZL30rocblas_trmm_outofplace_kernelIdLi32ELi2ELb0ELb1ELb1ELb1EdKddEv17rocblas_diagonal_iiT6_lPT7_lllS4_lllPT8_llli.uses_flat_scratch, 0
	.set _ZL30rocblas_trmm_outofplace_kernelIdLi32ELi2ELb0ELb1ELb1ELb1EdKddEv17rocblas_diagonal_iiT6_lPT7_lllS4_lllPT8_llli.has_dyn_sized_stack, 0
	.set _ZL30rocblas_trmm_outofplace_kernelIdLi32ELi2ELb0ELb1ELb1ELb1EdKddEv17rocblas_diagonal_iiT6_lPT7_lllS4_lllPT8_llli.has_recursion, 0
	.set _ZL30rocblas_trmm_outofplace_kernelIdLi32ELi2ELb0ELb1ELb1ELb1EdKddEv17rocblas_diagonal_iiT6_lPT7_lllS4_lllPT8_llli.has_indirect_call, 0
	.section	.AMDGPU.csdata,"",@progbits
; Kernel info:
; codeLenInByte = 3972
; TotalNumSgprs: 72
; NumVgprs: 64
; ScratchSize: 28
; MemoryBound: 0
; FloatMode: 240
; IeeeMode: 1
; LDSByteSize: 16384 bytes/workgroup (compile time only)
; SGPRBlocks: 8
; VGPRBlocks: 15
; NumSGPRsForWavesPerEU: 72
; NumVGPRsForWavesPerEU: 64
; Occupancy: 4
; WaveLimiterHint : 0
; COMPUTE_PGM_RSRC2:SCRATCH_EN: 1
; COMPUTE_PGM_RSRC2:USER_SGPR: 6
; COMPUTE_PGM_RSRC2:TRAP_HANDLER: 0
; COMPUTE_PGM_RSRC2:TGID_X_EN: 1
; COMPUTE_PGM_RSRC2:TGID_Y_EN: 1
; COMPUTE_PGM_RSRC2:TGID_Z_EN: 1
; COMPUTE_PGM_RSRC2:TIDIG_COMP_CNT: 1
	.section	.text._ZL23rocblas_trmm_lNx_kernelILi32EdPKdS0_dEv13rocblas_fill_17rocblas_diagonal_iiT1_lPT2_llS6_llPT3_lli,"axG",@progbits,_ZL23rocblas_trmm_lNx_kernelILi32EdPKdS0_dEv13rocblas_fill_17rocblas_diagonal_iiT1_lPT2_llS6_llPT3_lli,comdat
	.globl	_ZL23rocblas_trmm_lNx_kernelILi32EdPKdS0_dEv13rocblas_fill_17rocblas_diagonal_iiT1_lPT2_llS6_llPT3_lli ; -- Begin function _ZL23rocblas_trmm_lNx_kernelILi32EdPKdS0_dEv13rocblas_fill_17rocblas_diagonal_iiT1_lPT2_llS6_llPT3_lli
	.p2align	8
	.type	_ZL23rocblas_trmm_lNx_kernelILi32EdPKdS0_dEv13rocblas_fill_17rocblas_diagonal_iiT1_lPT2_llS6_llPT3_lli,@function
_ZL23rocblas_trmm_lNx_kernelILi32EdPKdS0_dEv13rocblas_fill_17rocblas_diagonal_iiT1_lPT2_llS6_llPT3_lli: ; @_ZL23rocblas_trmm_lNx_kernelILi32EdPKdS0_dEv13rocblas_fill_17rocblas_diagonal_iiT1_lPT2_llS6_llPT3_lli
; %bb.0:
	s_load_dwordx16 s[8:23], s[4:5], 0x10
	s_waitcnt lgkmcnt(0)
	s_mul_i32 s0, s11, s7
	s_mul_hi_u32 s1, s10, s7
	s_add_i32 s1, s1, s0
	s_mul_i32 s0, s10, s7
	s_lshl_b64 s[0:1], s[0:1], 3
	s_add_u32 s0, s8, s0
	s_addc_u32 s1, s9, s1
	s_load_dwordx2 s[2:3], s[0:1], 0x0
	s_waitcnt lgkmcnt(0)
	v_cmp_eq_f64_e64 s[0:1], s[2:3], 0
	s_and_b64 vcc, exec, s[0:1]
	s_cbranch_vccnz .LBB60_15
; %bb.1:
	s_load_dwordx4 s[8:11], s[4:5], 0x0
	s_mov_b32 s0, 0
	s_mov_b32 s1, s0
	v_mov_b32_e32 v6, s1
	v_lshlrev_b32_e32 v3, 5, v1
	v_mov_b32_e32 v5, s0
	s_waitcnt lgkmcnt(0)
	v_cmp_gt_i32_e64 s[0:1], s10, v1
	v_cmp_gt_i32_e32 vcc, s10, v0
	v_add_lshl_u32 v4, v3, v0, 3
	s_and_b64 s[0:1], s[0:1], vcc
	v_lshlrev_b32_e32 v2, 3, v0
	ds_write2st64_b64 v4, v[5:6], v[5:6] offset1:16
	s_and_saveexec_b64 s[24:25], s[0:1]
	s_cbranch_execz .LBB60_3
; %bb.2:
	v_mad_u64_u32 v[5:6], s[0:1], s14, v1, 0
	s_mul_i32 s10, s17, s7
	s_mul_hi_u32 s0, s16, s7
	v_mad_u64_u32 v[6:7], s[14:15], s15, v1, v[6:7]
	s_add_i32 s1, s0, s10
	s_mul_i32 s0, s16, s7
	s_lshl_b64 s[0:1], s[0:1], 3
	s_add_u32 s0, s12, s0
	v_lshlrev_b64 v[5:6], 3, v[5:6]
	s_addc_u32 s1, s13, s1
	v_mov_b32_e32 v7, s1
	v_add_co_u32_e64 v5, s[0:1], s0, v5
	v_addc_co_u32_e64 v6, s[0:1], v7, v6, s[0:1]
	v_add_co_u32_e64 v5, s[0:1], v5, v2
	v_addc_co_u32_e64 v6, s[0:1], 0, v6, s[0:1]
	global_load_dwordx2 v[5:6], v[5:6], off
	s_waitcnt vmcnt(0)
	ds_write_b64 v4, v[5:6]
.LBB60_3:
	s_or_b64 exec, exec, s[24:25]
	s_add_i32 s0, s11, -1
	s_ashr_i32 s1, s0, 31
	s_lshr_b32 s1, s1, 27
	s_add_i32 s0, s0, s1
	s_ashr_i32 s1, s0, 5
	s_andn2_b32 s0, s0, 31
	s_sub_i32 s0, s11, s0
	s_cmp_ge_i32 s6, s1
	s_cselect_b32 s0, s0, 32
	s_lshl_b32 s6, s6, 5
	v_cmp_gt_i32_e64 s[0:1], s0, v1
	s_ashr_i32 s12, s6, 31
	s_and_b64 s[0:1], vcc, s[0:1]
	s_and_saveexec_b64 s[10:11], s[0:1]
	s_cbranch_execz .LBB60_5
; %bb.4:
	s_mul_i32 s13, s23, s7
	s_mul_hi_u32 s14, s22, s7
	s_add_i32 s15, s14, s13
	s_mul_i32 s14, s22, s7
	s_lshl_b64 s[14:15], s[14:15], 3
	s_add_u32 s13, s18, s14
	s_addc_u32 s18, s19, s15
	s_mul_i32 s14, s20, s12
	s_mul_hi_u32 s15, s20, s6
	s_add_i32 s16, s15, s14
	v_mad_u64_u32 v[5:6], s[14:15], s20, v1, 0
	s_mul_i32 s14, s21, s6
	s_add_i32 s15, s16, s14
	v_mad_u64_u32 v[6:7], s[16:17], s21, v1, v[6:7]
	s_mul_i32 s14, s20, s6
	s_lshl_b64 s[14:15], s[14:15], 3
	s_add_u32 s13, s13, s14
	v_lshlrev_b64 v[5:6], 3, v[5:6]
	s_addc_u32 s14, s18, s15
	v_mov_b32_e32 v7, s14
	v_add_co_u32_e32 v5, vcc, s13, v5
	v_addc_co_u32_e32 v6, vcc, v7, v6, vcc
	v_add_co_u32_e32 v5, vcc, v5, v2
	v_addc_co_u32_e32 v6, vcc, 0, v6, vcc
	global_load_dwordx2 v[5:6], v[5:6], off
	v_add_u32_e32 v7, 0x2000, v4
	s_waitcnt vmcnt(0)
	ds_write_b64 v7, v[5:6]
.LBB60_5:
	s_or_b64 exec, exec, s[10:11]
	s_cmpk_eq_i32 s9, 0x84
	s_cselect_b64 s[10:11], -1, 0
	v_cmp_eq_u32_e32 vcc, v1, v0
	s_and_b64 s[14:15], vcc, s[10:11]
	s_and_saveexec_b64 s[10:11], s[14:15]
; %bb.6:
	v_mov_b32_e32 v5, 0
	v_mov_b32_e32 v6, 0x3ff00000
	ds_write_b64 v4, v[5:6]
; %bb.7:
	s_or_b64 exec, exec, s[10:11]
	s_cmpk_lg_i32 s8, 0x79
	s_cbranch_scc0 .LBB60_9
; %bb.8:
	v_cmp_lt_u32_e32 vcc, v0, v1
	s_and_b64 s[8:9], vcc, exec
	s_cbranch_execz .LBB60_10
	s_branch .LBB60_11
.LBB60_9:
	s_mov_b64 s[8:9], 0
.LBB60_10:
	v_cmp_gt_u32_e32 vcc, v0, v1
	s_andn2_b64 s[8:9], s[8:9], exec
	s_and_b64 s[10:11], vcc, exec
	s_or_b64 s[8:9], s[8:9], s[10:11]
.LBB60_11:
	s_and_saveexec_b64 s[10:11], s[8:9]
; %bb.12:
	v_mov_b32_e32 v5, 0
	v_mov_b32_e32 v6, v5
	ds_write_b64 v4, v[5:6]
; %bb.13:
	s_or_b64 exec, exec, s[10:11]
	s_waitcnt lgkmcnt(0)
	s_barrier
	s_and_saveexec_b64 s[8:9], s[0:1]
	s_cbranch_execz .LBB60_15
; %bb.14:
	ds_read2_b64 v[4:7], v2 offset1:32
	v_lshlrev_b32_e32 v0, 3, v3
	ds_read_b128 v[8:11], v0 offset:8192
	ds_read_b128 v[12:15], v0 offset:8208
	v_add_u32_e32 v17, 0x800, v2
	s_waitcnt lgkmcnt(1)
	v_fma_f64 v[3:4], v[4:5], v[8:9], 0
	v_fma_f64 v[7:8], v[6:7], v[10:11], v[3:4]
	ds_read2_b64 v[3:6], v2 offset0:64 offset1:96
	s_waitcnt lgkmcnt(0)
	v_fma_f64 v[3:4], v[3:4], v[12:13], v[7:8]
	v_fma_f64 v[15:16], v[5:6], v[14:15], v[3:4]
	ds_read2_b64 v[3:6], v2 offset0:128 offset1:160
	ds_read_b128 v[7:10], v0 offset:8224
	ds_read_b128 v[11:14], v0 offset:8240
	s_waitcnt lgkmcnt(1)
	v_fma_f64 v[3:4], v[3:4], v[7:8], v[15:16]
	v_fma_f64 v[7:8], v[5:6], v[9:10], v[3:4]
	ds_read2_b64 v[3:6], v2 offset0:192 offset1:224
	s_waitcnt lgkmcnt(0)
	v_fma_f64 v[3:4], v[3:4], v[11:12], v[7:8]
	v_fma_f64 v[15:16], v[5:6], v[13:14], v[3:4]
	ds_read2_b64 v[3:6], v17 offset1:32
	ds_read_b128 v[7:10], v0 offset:8256
	ds_read_b128 v[11:14], v0 offset:8272
	s_waitcnt lgkmcnt(1)
	v_fma_f64 v[3:4], v[3:4], v[7:8], v[15:16]
	v_fma_f64 v[7:8], v[5:6], v[9:10], v[3:4]
	ds_read2_b64 v[3:6], v17 offset0:64 offset1:96
	s_waitcnt lgkmcnt(0)
	v_fma_f64 v[3:4], v[3:4], v[11:12], v[7:8]
	v_fma_f64 v[15:16], v[5:6], v[13:14], v[3:4]
	ds_read2_b64 v[3:6], v17 offset0:128 offset1:160
	ds_read_b128 v[7:10], v0 offset:8288
	ds_read_b128 v[11:14], v0 offset:8304
	s_waitcnt lgkmcnt(1)
	v_fma_f64 v[3:4], v[3:4], v[7:8], v[15:16]
	v_fma_f64 v[7:8], v[5:6], v[9:10], v[3:4]
	ds_read2_b64 v[3:6], v17 offset0:192 offset1:224
	v_add_u32_e32 v17, 0x1000, v2
	s_waitcnt lgkmcnt(0)
	v_fma_f64 v[3:4], v[3:4], v[11:12], v[7:8]
	v_fma_f64 v[15:16], v[5:6], v[13:14], v[3:4]
	ds_read2_b64 v[3:6], v17 offset1:32
	ds_read_b128 v[7:10], v0 offset:8320
	ds_read_b128 v[11:14], v0 offset:8336
	s_waitcnt lgkmcnt(1)
	v_fma_f64 v[3:4], v[3:4], v[7:8], v[15:16]
	v_fma_f64 v[7:8], v[5:6], v[9:10], v[3:4]
	ds_read2_b64 v[3:6], v17 offset0:64 offset1:96
	s_waitcnt lgkmcnt(0)
	v_fma_f64 v[3:4], v[3:4], v[11:12], v[7:8]
	v_fma_f64 v[15:16], v[5:6], v[13:14], v[3:4]
	ds_read2_b64 v[3:6], v17 offset0:128 offset1:160
	ds_read_b128 v[7:10], v0 offset:8352
	ds_read_b128 v[11:14], v0 offset:8368
	s_waitcnt lgkmcnt(1)
	v_fma_f64 v[3:4], v[3:4], v[7:8], v[15:16]
	v_fma_f64 v[7:8], v[5:6], v[9:10], v[3:4]
	ds_read2_b64 v[3:6], v17 offset0:192 offset1:224
	v_add_u32_e32 v17, 0x1800, v2
	s_waitcnt lgkmcnt(0)
	v_fma_f64 v[3:4], v[3:4], v[11:12], v[7:8]
	v_fma_f64 v[15:16], v[5:6], v[13:14], v[3:4]
	ds_read2_b64 v[3:6], v17 offset1:32
	ds_read_b128 v[7:10], v0 offset:8384
	ds_read_b128 v[11:14], v0 offset:8400
	s_waitcnt lgkmcnt(1)
	v_fma_f64 v[3:4], v[3:4], v[7:8], v[15:16]
	v_fma_f64 v[7:8], v[5:6], v[9:10], v[3:4]
	ds_read2_b64 v[3:6], v17 offset0:64 offset1:96
	s_waitcnt lgkmcnt(0)
	v_fma_f64 v[3:4], v[3:4], v[11:12], v[7:8]
	v_fma_f64 v[15:16], v[5:6], v[13:14], v[3:4]
	ds_read2_b64 v[3:6], v17 offset0:128 offset1:160
	ds_read_b128 v[7:10], v0 offset:8416
	ds_read_b128 v[11:14], v0 offset:8432
	s_load_dwordx2 s[0:1], s[4:5], 0x60
	s_load_dwordx4 s[8:11], s[4:5], 0x50
	s_waitcnt lgkmcnt(0)
	s_mul_i32 s1, s1, s7
	s_mul_hi_u32 s5, s0, s7
	v_fma_f64 v[3:4], v[3:4], v[7:8], v[15:16]
	ds_read2_b64 v[15:18], v17 offset0:192 offset1:224
	s_mul_i32 s0, s0, s7
	s_mul_hi_u32 s13, s10, s6
	s_mul_i32 s14, s11, s6
	s_mul_i32 s4, s10, s6
	s_add_i32 s1, s5, s1
	s_lshl_b64 s[0:1], s[0:1], 3
	v_fma_f64 v[3:4], v[5:6], v[9:10], v[3:4]
	v_mad_u64_u32 v[5:6], s[6:7], s10, v1, 0
	s_mul_i32 s12, s10, s12
	s_add_u32 s6, s8, s0
	s_addc_u32 s7, s9, s1
	s_add_i32 s0, s13, s12
	v_mov_b32_e32 v0, v6
	s_waitcnt lgkmcnt(0)
	v_fma_f64 v[3:4], v[15:16], v[11:12], v[3:4]
	s_add_i32 s5, s0, s14
	v_mad_u64_u32 v[0:1], s[0:1], s11, v1, v[0:1]
	s_lshl_b64 s[0:1], s[4:5], 3
	s_add_u32 s0, s6, s0
	v_mov_b32_e32 v6, v0
	v_lshlrev_b64 v[0:1], 3, v[5:6]
	v_fma_f64 v[3:4], v[17:18], v[13:14], v[3:4]
	s_addc_u32 s1, s7, s1
	v_mov_b32_e32 v7, s1
	v_add_co_u32_e32 v0, vcc, s0, v0
	v_addc_co_u32_e32 v1, vcc, v7, v1, vcc
	v_add_co_u32_e32 v0, vcc, v0, v2
	v_mul_f64 v[3:4], s[2:3], v[3:4]
	v_addc_co_u32_e32 v1, vcc, 0, v1, vcc
	global_store_dwordx2 v[0:1], v[3:4], off
.LBB60_15:
	s_endpgm
	.section	.rodata,"a",@progbits
	.p2align	6, 0x0
	.amdhsa_kernel _ZL23rocblas_trmm_lNx_kernelILi32EdPKdS0_dEv13rocblas_fill_17rocblas_diagonal_iiT1_lPT2_llS6_llPT3_lli
		.amdhsa_group_segment_fixed_size 16384
		.amdhsa_private_segment_fixed_size 0
		.amdhsa_kernarg_size 108
		.amdhsa_user_sgpr_count 6
		.amdhsa_user_sgpr_private_segment_buffer 1
		.amdhsa_user_sgpr_dispatch_ptr 0
		.amdhsa_user_sgpr_queue_ptr 0
		.amdhsa_user_sgpr_kernarg_segment_ptr 1
		.amdhsa_user_sgpr_dispatch_id 0
		.amdhsa_user_sgpr_flat_scratch_init 0
		.amdhsa_user_sgpr_private_segment_size 0
		.amdhsa_uses_dynamic_stack 0
		.amdhsa_system_sgpr_private_segment_wavefront_offset 0
		.amdhsa_system_sgpr_workgroup_id_x 1
		.amdhsa_system_sgpr_workgroup_id_y 0
		.amdhsa_system_sgpr_workgroup_id_z 1
		.amdhsa_system_sgpr_workgroup_info 0
		.amdhsa_system_vgpr_workitem_id 1
		.amdhsa_next_free_vgpr 29
		.amdhsa_next_free_sgpr 61
		.amdhsa_reserve_vcc 1
		.amdhsa_reserve_flat_scratch 0
		.amdhsa_float_round_mode_32 0
		.amdhsa_float_round_mode_16_64 0
		.amdhsa_float_denorm_mode_32 3
		.amdhsa_float_denorm_mode_16_64 3
		.amdhsa_dx10_clamp 1
		.amdhsa_ieee_mode 1
		.amdhsa_fp16_overflow 0
		.amdhsa_exception_fp_ieee_invalid_op 0
		.amdhsa_exception_fp_denorm_src 0
		.amdhsa_exception_fp_ieee_div_zero 0
		.amdhsa_exception_fp_ieee_overflow 0
		.amdhsa_exception_fp_ieee_underflow 0
		.amdhsa_exception_fp_ieee_inexact 0
		.amdhsa_exception_int_div_zero 0
	.end_amdhsa_kernel
	.section	.text._ZL23rocblas_trmm_lNx_kernelILi32EdPKdS0_dEv13rocblas_fill_17rocblas_diagonal_iiT1_lPT2_llS6_llPT3_lli,"axG",@progbits,_ZL23rocblas_trmm_lNx_kernelILi32EdPKdS0_dEv13rocblas_fill_17rocblas_diagonal_iiT1_lPT2_llS6_llPT3_lli,comdat
.Lfunc_end60:
	.size	_ZL23rocblas_trmm_lNx_kernelILi32EdPKdS0_dEv13rocblas_fill_17rocblas_diagonal_iiT1_lPT2_llS6_llPT3_lli, .Lfunc_end60-_ZL23rocblas_trmm_lNx_kernelILi32EdPKdS0_dEv13rocblas_fill_17rocblas_diagonal_iiT1_lPT2_llS6_llPT3_lli
                                        ; -- End function
	.set _ZL23rocblas_trmm_lNx_kernelILi32EdPKdS0_dEv13rocblas_fill_17rocblas_diagonal_iiT1_lPT2_llS6_llPT3_lli.num_vgpr, 19
	.set _ZL23rocblas_trmm_lNx_kernelILi32EdPKdS0_dEv13rocblas_fill_17rocblas_diagonal_iiT1_lPT2_llS6_llPT3_lli.num_agpr, 0
	.set _ZL23rocblas_trmm_lNx_kernelILi32EdPKdS0_dEv13rocblas_fill_17rocblas_diagonal_iiT1_lPT2_llS6_llPT3_lli.numbered_sgpr, 26
	.set _ZL23rocblas_trmm_lNx_kernelILi32EdPKdS0_dEv13rocblas_fill_17rocblas_diagonal_iiT1_lPT2_llS6_llPT3_lli.num_named_barrier, 0
	.set _ZL23rocblas_trmm_lNx_kernelILi32EdPKdS0_dEv13rocblas_fill_17rocblas_diagonal_iiT1_lPT2_llS6_llPT3_lli.private_seg_size, 0
	.set _ZL23rocblas_trmm_lNx_kernelILi32EdPKdS0_dEv13rocblas_fill_17rocblas_diagonal_iiT1_lPT2_llS6_llPT3_lli.uses_vcc, 1
	.set _ZL23rocblas_trmm_lNx_kernelILi32EdPKdS0_dEv13rocblas_fill_17rocblas_diagonal_iiT1_lPT2_llS6_llPT3_lli.uses_flat_scratch, 0
	.set _ZL23rocblas_trmm_lNx_kernelILi32EdPKdS0_dEv13rocblas_fill_17rocblas_diagonal_iiT1_lPT2_llS6_llPT3_lli.has_dyn_sized_stack, 0
	.set _ZL23rocblas_trmm_lNx_kernelILi32EdPKdS0_dEv13rocblas_fill_17rocblas_diagonal_iiT1_lPT2_llS6_llPT3_lli.has_recursion, 0
	.set _ZL23rocblas_trmm_lNx_kernelILi32EdPKdS0_dEv13rocblas_fill_17rocblas_diagonal_iiT1_lPT2_llS6_llPT3_lli.has_indirect_call, 0
	.section	.AMDGPU.csdata,"",@progbits
; Kernel info:
; codeLenInByte = 1344
; TotalNumSgprs: 30
; NumVgprs: 19
; ScratchSize: 0
; MemoryBound: 0
; FloatMode: 240
; IeeeMode: 1
; LDSByteSize: 16384 bytes/workgroup (compile time only)
; SGPRBlocks: 8
; VGPRBlocks: 7
; NumSGPRsForWavesPerEU: 65
; NumVGPRsForWavesPerEU: 29
; Occupancy: 8
; WaveLimiterHint : 0
; COMPUTE_PGM_RSRC2:SCRATCH_EN: 0
; COMPUTE_PGM_RSRC2:USER_SGPR: 6
; COMPUTE_PGM_RSRC2:TRAP_HANDLER: 0
; COMPUTE_PGM_RSRC2:TGID_X_EN: 1
; COMPUTE_PGM_RSRC2:TGID_Y_EN: 0
; COMPUTE_PGM_RSRC2:TGID_Z_EN: 1
; COMPUTE_PGM_RSRC2:TIDIG_COMP_CNT: 1
	.section	.text._ZL23rocblas_trmm_lNx_kernelILi32EddKddEv13rocblas_fill_17rocblas_diagonal_iiT1_lPT2_llS5_llPT3_lli,"axG",@progbits,_ZL23rocblas_trmm_lNx_kernelILi32EddKddEv13rocblas_fill_17rocblas_diagonal_iiT1_lPT2_llS5_llPT3_lli,comdat
	.globl	_ZL23rocblas_trmm_lNx_kernelILi32EddKddEv13rocblas_fill_17rocblas_diagonal_iiT1_lPT2_llS5_llPT3_lli ; -- Begin function _ZL23rocblas_trmm_lNx_kernelILi32EddKddEv13rocblas_fill_17rocblas_diagonal_iiT1_lPT2_llS5_llPT3_lli
	.p2align	8
	.type	_ZL23rocblas_trmm_lNx_kernelILi32EddKddEv13rocblas_fill_17rocblas_diagonal_iiT1_lPT2_llS5_llPT3_lli,@function
_ZL23rocblas_trmm_lNx_kernelILi32EddKddEv13rocblas_fill_17rocblas_diagonal_iiT1_lPT2_llS5_llPT3_lli: ; @_ZL23rocblas_trmm_lNx_kernelILi32EddKddEv13rocblas_fill_17rocblas_diagonal_iiT1_lPT2_llS5_llPT3_lli
; %bb.0:
	s_load_dwordx2 s[2:3], s[4:5], 0x10
	s_waitcnt lgkmcnt(0)
	v_cmp_eq_f64_e64 s[0:1], s[2:3], 0
	s_and_b64 vcc, exec, s[0:1]
	s_cbranch_vccnz .LBB61_15
; %bb.1:
	s_load_dwordx4 s[24:27], s[4:5], 0x0
	s_load_dwordx16 s[8:23], s[4:5], 0x20
	s_mov_b32 s0, 0
	s_mov_b32 s1, s0
	v_mov_b32_e32 v6, s1
	v_lshlrev_b32_e32 v3, 5, v1
	v_mov_b32_e32 v5, s0
	s_waitcnt lgkmcnt(0)
	v_cmp_gt_i32_e64 s[0:1], s26, v1
	v_cmp_gt_i32_e32 vcc, s26, v0
	v_add_lshl_u32 v4, v3, v0, 3
	s_and_b64 s[0:1], s[0:1], vcc
	v_lshlrev_b32_e32 v2, 3, v0
	ds_write2st64_b64 v4, v[5:6], v[5:6] offset1:16
	s_and_saveexec_b64 s[28:29], s[0:1]
	s_cbranch_execz .LBB61_3
; %bb.2:
	v_mad_u64_u32 v[5:6], s[0:1], s10, v1, 0
	s_mul_i32 s13, s13, s7
	s_mul_hi_u32 s0, s12, s7
	v_mad_u64_u32 v[6:7], s[10:11], s11, v1, v[6:7]
	s_add_i32 s1, s0, s13
	s_mul_i32 s0, s12, s7
	s_lshl_b64 s[0:1], s[0:1], 3
	s_add_u32 s0, s8, s0
	v_lshlrev_b64 v[5:6], 3, v[5:6]
	s_addc_u32 s1, s9, s1
	v_mov_b32_e32 v7, s1
	v_add_co_u32_e64 v5, s[0:1], s0, v5
	v_addc_co_u32_e64 v6, s[0:1], v7, v6, s[0:1]
	v_add_co_u32_e64 v5, s[0:1], v5, v2
	v_addc_co_u32_e64 v6, s[0:1], 0, v6, s[0:1]
	global_load_dwordx2 v[5:6], v[5:6], off
	s_waitcnt vmcnt(0)
	ds_write_b64 v4, v[5:6]
.LBB61_3:
	s_or_b64 exec, exec, s[28:29]
	s_add_i32 s0, s27, -1
	s_ashr_i32 s1, s0, 31
	s_lshr_b32 s1, s1, 27
	s_add_i32 s0, s0, s1
	s_ashr_i32 s1, s0, 5
	s_andn2_b32 s0, s0, 31
	s_sub_i32 s0, s27, s0
	s_cmp_ge_i32 s6, s1
	s_cselect_b32 s0, s0, 32
	s_lshl_b32 s6, s6, 5
	v_cmp_gt_i32_e64 s[0:1], s0, v1
	s_ashr_i32 s12, s6, 31
	s_and_b64 s[0:1], vcc, s[0:1]
	s_and_saveexec_b64 s[8:9], s[0:1]
	s_cbranch_execz .LBB61_5
; %bb.4:
	s_mul_i32 s10, s19, s7
	s_mul_hi_u32 s11, s18, s7
	s_add_i32 s11, s11, s10
	s_mul_i32 s10, s18, s7
	s_lshl_b64 s[10:11], s[10:11], 3
	s_add_u32 s13, s14, s10
	s_addc_u32 s18, s15, s11
	s_mul_i32 s10, s16, s12
	s_mul_hi_u32 s11, s16, s6
	s_add_i32 s14, s11, s10
	v_mad_u64_u32 v[5:6], s[10:11], s16, v1, 0
	s_mul_i32 s10, s17, s6
	s_add_i32 s11, s14, s10
	v_mad_u64_u32 v[6:7], s[14:15], s17, v1, v[6:7]
	s_mul_i32 s10, s16, s6
	s_lshl_b64 s[10:11], s[10:11], 3
	s_add_u32 s10, s13, s10
	v_lshlrev_b64 v[5:6], 3, v[5:6]
	s_addc_u32 s11, s18, s11
	v_mov_b32_e32 v7, s11
	v_add_co_u32_e32 v5, vcc, s10, v5
	v_addc_co_u32_e32 v6, vcc, v7, v6, vcc
	v_add_co_u32_e32 v5, vcc, v5, v2
	v_addc_co_u32_e32 v6, vcc, 0, v6, vcc
	global_load_dwordx2 v[5:6], v[5:6], off
	v_add_u32_e32 v7, 0x2000, v4
	s_waitcnt vmcnt(0)
	ds_write_b64 v7, v[5:6]
.LBB61_5:
	s_or_b64 exec, exec, s[8:9]
	s_cmpk_eq_i32 s25, 0x84
	s_cselect_b64 s[8:9], -1, 0
	v_cmp_eq_u32_e32 vcc, v1, v0
	s_and_b64 s[10:11], vcc, s[8:9]
	s_and_saveexec_b64 s[8:9], s[10:11]
; %bb.6:
	v_mov_b32_e32 v5, 0
	v_mov_b32_e32 v6, 0x3ff00000
	ds_write_b64 v4, v[5:6]
; %bb.7:
	s_or_b64 exec, exec, s[8:9]
	s_cmpk_lg_i32 s24, 0x79
	s_cbranch_scc0 .LBB61_9
; %bb.8:
	v_cmp_lt_u32_e32 vcc, v0, v1
	s_and_b64 s[8:9], vcc, exec
	s_cbranch_execz .LBB61_10
	s_branch .LBB61_11
.LBB61_9:
	s_mov_b64 s[8:9], 0
.LBB61_10:
	v_cmp_gt_u32_e32 vcc, v0, v1
	s_andn2_b64 s[8:9], s[8:9], exec
	s_and_b64 s[10:11], vcc, exec
	s_or_b64 s[8:9], s[8:9], s[10:11]
.LBB61_11:
	s_and_saveexec_b64 s[10:11], s[8:9]
; %bb.12:
	v_mov_b32_e32 v5, 0
	v_mov_b32_e32 v6, v5
	ds_write_b64 v4, v[5:6]
; %bb.13:
	s_or_b64 exec, exec, s[10:11]
	s_waitcnt lgkmcnt(0)
	s_barrier
	s_and_saveexec_b64 s[8:9], s[0:1]
	s_cbranch_execz .LBB61_15
; %bb.14:
	ds_read2_b64 v[4:7], v2 offset1:32
	v_lshlrev_b32_e32 v0, 3, v3
	ds_read_b128 v[8:11], v0 offset:8192
	ds_read_b128 v[12:15], v0 offset:8208
	v_add_u32_e32 v17, 0x800, v2
	s_load_dwordx2 s[0:1], s[4:5], 0x60
	s_mul_hi_u32 s9, s22, s6
	s_waitcnt lgkmcnt(0)
	v_fma_f64 v[3:4], v[4:5], v[8:9], 0
	s_mul_i32 s8, s22, s12
	s_mul_i32 s1, s1, s7
	s_mul_hi_u32 s10, s0, s7
	s_mul_i32 s0, s0, s7
	s_add_i32 s1, s10, s1
	s_lshl_b64 s[0:1], s[0:1], 3
	v_fma_f64 v[7:8], v[6:7], v[10:11], v[3:4]
	ds_read2_b64 v[3:6], v2 offset0:64 offset1:96
	s_waitcnt lgkmcnt(0)
	v_fma_f64 v[3:4], v[3:4], v[12:13], v[7:8]
	v_fma_f64 v[15:16], v[5:6], v[14:15], v[3:4]
	ds_read2_b64 v[3:6], v2 offset0:128 offset1:160
	ds_read_b128 v[7:10], v0 offset:8224
	ds_read_b128 v[11:14], v0 offset:8240
	s_waitcnt lgkmcnt(1)
	v_fma_f64 v[3:4], v[3:4], v[7:8], v[15:16]
	v_fma_f64 v[7:8], v[5:6], v[9:10], v[3:4]
	ds_read2_b64 v[3:6], v2 offset0:192 offset1:224
	s_waitcnt lgkmcnt(0)
	v_fma_f64 v[3:4], v[3:4], v[11:12], v[7:8]
	v_fma_f64 v[15:16], v[5:6], v[13:14], v[3:4]
	ds_read2_b64 v[3:6], v17 offset1:32
	ds_read_b128 v[7:10], v0 offset:8256
	ds_read_b128 v[11:14], v0 offset:8272
	s_waitcnt lgkmcnt(1)
	v_fma_f64 v[3:4], v[3:4], v[7:8], v[15:16]
	v_fma_f64 v[7:8], v[5:6], v[9:10], v[3:4]
	ds_read2_b64 v[3:6], v17 offset0:64 offset1:96
	s_waitcnt lgkmcnt(0)
	v_fma_f64 v[3:4], v[3:4], v[11:12], v[7:8]
	v_fma_f64 v[15:16], v[5:6], v[13:14], v[3:4]
	ds_read2_b64 v[3:6], v17 offset0:128 offset1:160
	ds_read_b128 v[7:10], v0 offset:8288
	ds_read_b128 v[11:14], v0 offset:8304
	s_waitcnt lgkmcnt(1)
	v_fma_f64 v[3:4], v[3:4], v[7:8], v[15:16]
	v_fma_f64 v[7:8], v[5:6], v[9:10], v[3:4]
	ds_read2_b64 v[3:6], v17 offset0:192 offset1:224
	v_add_u32_e32 v17, 0x1000, v2
	s_waitcnt lgkmcnt(0)
	v_fma_f64 v[3:4], v[3:4], v[11:12], v[7:8]
	v_fma_f64 v[15:16], v[5:6], v[13:14], v[3:4]
	ds_read2_b64 v[3:6], v17 offset1:32
	ds_read_b128 v[7:10], v0 offset:8320
	ds_read_b128 v[11:14], v0 offset:8336
	s_waitcnt lgkmcnt(1)
	v_fma_f64 v[3:4], v[3:4], v[7:8], v[15:16]
	v_fma_f64 v[7:8], v[5:6], v[9:10], v[3:4]
	ds_read2_b64 v[3:6], v17 offset0:64 offset1:96
	s_waitcnt lgkmcnt(0)
	v_fma_f64 v[3:4], v[3:4], v[11:12], v[7:8]
	v_fma_f64 v[15:16], v[5:6], v[13:14], v[3:4]
	ds_read2_b64 v[3:6], v17 offset0:128 offset1:160
	ds_read_b128 v[7:10], v0 offset:8352
	ds_read_b128 v[11:14], v0 offset:8368
	s_waitcnt lgkmcnt(1)
	v_fma_f64 v[3:4], v[3:4], v[7:8], v[15:16]
	v_fma_f64 v[7:8], v[5:6], v[9:10], v[3:4]
	ds_read2_b64 v[3:6], v17 offset0:192 offset1:224
	v_add_u32_e32 v17, 0x1800, v2
	s_waitcnt lgkmcnt(0)
	v_fma_f64 v[3:4], v[3:4], v[11:12], v[7:8]
	v_fma_f64 v[15:16], v[5:6], v[13:14], v[3:4]
	ds_read2_b64 v[3:6], v17 offset1:32
	ds_read_b128 v[7:10], v0 offset:8384
	ds_read_b128 v[11:14], v0 offset:8400
	s_waitcnt lgkmcnt(1)
	v_fma_f64 v[3:4], v[3:4], v[7:8], v[15:16]
	v_fma_f64 v[7:8], v[5:6], v[9:10], v[3:4]
	ds_read2_b64 v[3:6], v17 offset0:64 offset1:96
	s_waitcnt lgkmcnt(0)
	v_fma_f64 v[3:4], v[3:4], v[11:12], v[7:8]
	v_fma_f64 v[15:16], v[5:6], v[13:14], v[3:4]
	ds_read2_b64 v[3:6], v17 offset0:128 offset1:160
	ds_read_b128 v[7:10], v0 offset:8416
	ds_read_b128 v[11:14], v0 offset:8432
	s_waitcnt lgkmcnt(1)
	v_fma_f64 v[3:4], v[3:4], v[7:8], v[15:16]
	v_mad_u64_u32 v[7:8], s[4:5], s22, v1, 0
	s_mul_i32 s5, s23, s6
	s_mul_i32 s4, s22, s6
	v_mov_b32_e32 v0, v8
	v_mad_u64_u32 v[0:1], s[6:7], s23, v1, v[0:1]
	v_fma_f64 v[9:10], v[5:6], v[9:10], v[3:4]
	ds_read2_b64 v[3:6], v17 offset0:192 offset1:224
	s_add_u32 s6, s20, s0
	s_addc_u32 s7, s21, s1
	s_add_i32 s0, s9, s8
	s_add_i32 s5, s0, s5
	v_mov_b32_e32 v8, v0
	s_lshl_b64 s[0:1], s[4:5], 3
	s_waitcnt lgkmcnt(0)
	v_fma_f64 v[3:4], v[3:4], v[11:12], v[9:10]
	v_lshlrev_b64 v[0:1], 3, v[7:8]
	s_add_u32 s0, s6, s0
	s_addc_u32 s1, s7, s1
	v_add_co_u32_e32 v0, vcc, s0, v0
	v_fma_f64 v[3:4], v[5:6], v[13:14], v[3:4]
	v_mov_b32_e32 v5, s1
	v_addc_co_u32_e32 v1, vcc, v5, v1, vcc
	v_add_co_u32_e32 v0, vcc, v0, v2
	v_addc_co_u32_e32 v1, vcc, 0, v1, vcc
	v_mul_f64 v[3:4], s[2:3], v[3:4]
	global_store_dwordx2 v[0:1], v[3:4], off
.LBB61_15:
	s_endpgm
	.section	.rodata,"a",@progbits
	.p2align	6, 0x0
	.amdhsa_kernel _ZL23rocblas_trmm_lNx_kernelILi32EddKddEv13rocblas_fill_17rocblas_diagonal_iiT1_lPT2_llS5_llPT3_lli
		.amdhsa_group_segment_fixed_size 16384
		.amdhsa_private_segment_fixed_size 0
		.amdhsa_kernarg_size 108
		.amdhsa_user_sgpr_count 6
		.amdhsa_user_sgpr_private_segment_buffer 1
		.amdhsa_user_sgpr_dispatch_ptr 0
		.amdhsa_user_sgpr_queue_ptr 0
		.amdhsa_user_sgpr_kernarg_segment_ptr 1
		.amdhsa_user_sgpr_dispatch_id 0
		.amdhsa_user_sgpr_flat_scratch_init 0
		.amdhsa_user_sgpr_private_segment_size 0
		.amdhsa_uses_dynamic_stack 0
		.amdhsa_system_sgpr_private_segment_wavefront_offset 0
		.amdhsa_system_sgpr_workgroup_id_x 1
		.amdhsa_system_sgpr_workgroup_id_y 0
		.amdhsa_system_sgpr_workgroup_id_z 1
		.amdhsa_system_sgpr_workgroup_info 0
		.amdhsa_system_vgpr_workitem_id 1
		.amdhsa_next_free_vgpr 29
		.amdhsa_next_free_sgpr 61
		.amdhsa_reserve_vcc 1
		.amdhsa_reserve_flat_scratch 0
		.amdhsa_float_round_mode_32 0
		.amdhsa_float_round_mode_16_64 0
		.amdhsa_float_denorm_mode_32 3
		.amdhsa_float_denorm_mode_16_64 3
		.amdhsa_dx10_clamp 1
		.amdhsa_ieee_mode 1
		.amdhsa_fp16_overflow 0
		.amdhsa_exception_fp_ieee_invalid_op 0
		.amdhsa_exception_fp_denorm_src 0
		.amdhsa_exception_fp_ieee_div_zero 0
		.amdhsa_exception_fp_ieee_overflow 0
		.amdhsa_exception_fp_ieee_underflow 0
		.amdhsa_exception_fp_ieee_inexact 0
		.amdhsa_exception_int_div_zero 0
	.end_amdhsa_kernel
	.section	.text._ZL23rocblas_trmm_lNx_kernelILi32EddKddEv13rocblas_fill_17rocblas_diagonal_iiT1_lPT2_llS5_llPT3_lli,"axG",@progbits,_ZL23rocblas_trmm_lNx_kernelILi32EddKddEv13rocblas_fill_17rocblas_diagonal_iiT1_lPT2_llS5_llPT3_lli,comdat
.Lfunc_end61:
	.size	_ZL23rocblas_trmm_lNx_kernelILi32EddKddEv13rocblas_fill_17rocblas_diagonal_iiT1_lPT2_llS5_llPT3_lli, .Lfunc_end61-_ZL23rocblas_trmm_lNx_kernelILi32EddKddEv13rocblas_fill_17rocblas_diagonal_iiT1_lPT2_llS5_llPT3_lli
                                        ; -- End function
	.set _ZL23rocblas_trmm_lNx_kernelILi32EddKddEv13rocblas_fill_17rocblas_diagonal_iiT1_lPT2_llS5_llPT3_lli.num_vgpr, 18
	.set _ZL23rocblas_trmm_lNx_kernelILi32EddKddEv13rocblas_fill_17rocblas_diagonal_iiT1_lPT2_llS5_llPT3_lli.num_agpr, 0
	.set _ZL23rocblas_trmm_lNx_kernelILi32EddKddEv13rocblas_fill_17rocblas_diagonal_iiT1_lPT2_llS5_llPT3_lli.numbered_sgpr, 30
	.set _ZL23rocblas_trmm_lNx_kernelILi32EddKddEv13rocblas_fill_17rocblas_diagonal_iiT1_lPT2_llS5_llPT3_lli.num_named_barrier, 0
	.set _ZL23rocblas_trmm_lNx_kernelILi32EddKddEv13rocblas_fill_17rocblas_diagonal_iiT1_lPT2_llS5_llPT3_lli.private_seg_size, 0
	.set _ZL23rocblas_trmm_lNx_kernelILi32EddKddEv13rocblas_fill_17rocblas_diagonal_iiT1_lPT2_llS5_llPT3_lli.uses_vcc, 1
	.set _ZL23rocblas_trmm_lNx_kernelILi32EddKddEv13rocblas_fill_17rocblas_diagonal_iiT1_lPT2_llS5_llPT3_lli.uses_flat_scratch, 0
	.set _ZL23rocblas_trmm_lNx_kernelILi32EddKddEv13rocblas_fill_17rocblas_diagonal_iiT1_lPT2_llS5_llPT3_lli.has_dyn_sized_stack, 0
	.set _ZL23rocblas_trmm_lNx_kernelILi32EddKddEv13rocblas_fill_17rocblas_diagonal_iiT1_lPT2_llS5_llPT3_lli.has_recursion, 0
	.set _ZL23rocblas_trmm_lNx_kernelILi32EddKddEv13rocblas_fill_17rocblas_diagonal_iiT1_lPT2_llS5_llPT3_lli.has_indirect_call, 0
	.section	.AMDGPU.csdata,"",@progbits
; Kernel info:
; codeLenInByte = 1304
; TotalNumSgprs: 34
; NumVgprs: 18
; ScratchSize: 0
; MemoryBound: 0
; FloatMode: 240
; IeeeMode: 1
; LDSByteSize: 16384 bytes/workgroup (compile time only)
; SGPRBlocks: 8
; VGPRBlocks: 7
; NumSGPRsForWavesPerEU: 65
; NumVGPRsForWavesPerEU: 29
; Occupancy: 8
; WaveLimiterHint : 0
; COMPUTE_PGM_RSRC2:SCRATCH_EN: 0
; COMPUTE_PGM_RSRC2:USER_SGPR: 6
; COMPUTE_PGM_RSRC2:TRAP_HANDLER: 0
; COMPUTE_PGM_RSRC2:TGID_X_EN: 1
; COMPUTE_PGM_RSRC2:TGID_Y_EN: 0
; COMPUTE_PGM_RSRC2:TGID_Z_EN: 1
; COMPUTE_PGM_RSRC2:TIDIG_COMP_CNT: 1
	.section	.text._ZL23rocblas_trmm_lTx_kernelILi32ELb0EdPKdS0_dEv13rocblas_fill_17rocblas_diagonal_iiT2_lPT3_llS6_llPT4_lli,"axG",@progbits,_ZL23rocblas_trmm_lTx_kernelILi32ELb0EdPKdS0_dEv13rocblas_fill_17rocblas_diagonal_iiT2_lPT3_llS6_llPT4_lli,comdat
	.globl	_ZL23rocblas_trmm_lTx_kernelILi32ELb0EdPKdS0_dEv13rocblas_fill_17rocblas_diagonal_iiT2_lPT3_llS6_llPT4_lli ; -- Begin function _ZL23rocblas_trmm_lTx_kernelILi32ELb0EdPKdS0_dEv13rocblas_fill_17rocblas_diagonal_iiT2_lPT3_llS6_llPT4_lli
	.p2align	8
	.type	_ZL23rocblas_trmm_lTx_kernelILi32ELb0EdPKdS0_dEv13rocblas_fill_17rocblas_diagonal_iiT2_lPT3_llS6_llPT4_lli,@function
_ZL23rocblas_trmm_lTx_kernelILi32ELb0EdPKdS0_dEv13rocblas_fill_17rocblas_diagonal_iiT2_lPT3_llS6_llPT4_lli: ; @_ZL23rocblas_trmm_lTx_kernelILi32ELb0EdPKdS0_dEv13rocblas_fill_17rocblas_diagonal_iiT2_lPT3_llS6_llPT4_lli
; %bb.0:
	s_load_dwordx16 s[8:23], s[4:5], 0x10
	s_waitcnt lgkmcnt(0)
	s_mul_i32 s0, s11, s7
	s_mul_hi_u32 s1, s10, s7
	s_add_i32 s1, s1, s0
	s_mul_i32 s0, s10, s7
	s_lshl_b64 s[0:1], s[0:1], 3
	s_add_u32 s0, s8, s0
	s_addc_u32 s1, s9, s1
	s_load_dwordx2 s[2:3], s[0:1], 0x0
	s_waitcnt lgkmcnt(0)
	v_cmp_eq_f64_e64 s[0:1], s[2:3], 0
	s_and_b64 vcc, exec, s[0:1]
	s_cbranch_vccnz .LBB62_15
; %bb.1:
	s_load_dwordx4 s[8:11], s[4:5], 0x0
	s_mov_b32 s0, 0
	s_mov_b32 s1, s0
	v_mov_b32_e32 v6, s1
	v_lshlrev_b32_e32 v3, 5, v1
	v_mov_b32_e32 v5, s0
	s_waitcnt lgkmcnt(0)
	v_cmp_gt_i32_e64 s[0:1], s10, v1
	v_cmp_gt_i32_e32 vcc, s10, v0
	v_add_lshl_u32 v4, v3, v0, 3
	s_and_b64 s[0:1], s[0:1], vcc
	v_lshlrev_b32_e32 v2, 3, v0
	ds_write2st64_b64 v4, v[5:6], v[5:6] offset1:16
	s_waitcnt lgkmcnt(0)
	s_barrier
	s_and_saveexec_b64 s[24:25], s[0:1]
	s_cbranch_execz .LBB62_3
; %bb.2:
	v_mad_u64_u32 v[5:6], s[0:1], s14, v1, 0
	s_mul_i32 s10, s17, s7
	s_mul_hi_u32 s0, s16, s7
	v_mad_u64_u32 v[6:7], s[14:15], s15, v1, v[6:7]
	s_add_i32 s1, s0, s10
	s_mul_i32 s0, s16, s7
	s_lshl_b64 s[0:1], s[0:1], 3
	s_add_u32 s0, s12, s0
	v_lshlrev_b64 v[5:6], 3, v[5:6]
	s_addc_u32 s1, s13, s1
	v_mov_b32_e32 v7, s1
	v_add_co_u32_e64 v5, s[0:1], s0, v5
	v_addc_co_u32_e64 v6, s[0:1], v7, v6, s[0:1]
	v_add_co_u32_e64 v5, s[0:1], v5, v2
	v_addc_co_u32_e64 v6, s[0:1], 0, v6, s[0:1]
	global_load_dwordx2 v[5:6], v[5:6], off
	v_lshlrev_b32_e32 v7, 3, v1
	v_lshl_add_u32 v7, v0, 8, v7
	s_waitcnt vmcnt(0)
	ds_write_b64 v7, v[5:6]
.LBB62_3:
	s_or_b64 exec, exec, s[24:25]
	s_add_i32 s0, s11, -1
	s_ashr_i32 s1, s0, 31
	s_lshr_b32 s1, s1, 27
	s_add_i32 s0, s0, s1
	s_ashr_i32 s1, s0, 5
	s_andn2_b32 s0, s0, 31
	s_sub_i32 s0, s11, s0
	s_cmp_ge_i32 s6, s1
	s_cselect_b32 s0, s0, 32
	s_lshl_b32 s6, s6, 5
	v_cmp_gt_i32_e64 s[0:1], s0, v1
	s_ashr_i32 s12, s6, 31
	s_and_b64 s[0:1], vcc, s[0:1]
	s_and_saveexec_b64 s[10:11], s[0:1]
	s_cbranch_execz .LBB62_5
; %bb.4:
	s_mul_i32 s13, s23, s7
	s_mul_hi_u32 s14, s22, s7
	s_add_i32 s15, s14, s13
	s_mul_i32 s14, s22, s7
	s_lshl_b64 s[14:15], s[14:15], 3
	s_add_u32 s13, s18, s14
	s_addc_u32 s18, s19, s15
	s_mul_i32 s14, s20, s12
	s_mul_hi_u32 s15, s20, s6
	s_add_i32 s16, s15, s14
	v_mad_u64_u32 v[5:6], s[14:15], s20, v1, 0
	s_mul_i32 s14, s21, s6
	s_add_i32 s15, s16, s14
	v_mad_u64_u32 v[6:7], s[16:17], s21, v1, v[6:7]
	s_mul_i32 s14, s20, s6
	s_lshl_b64 s[14:15], s[14:15], 3
	s_add_u32 s13, s13, s14
	v_lshlrev_b64 v[5:6], 3, v[5:6]
	s_addc_u32 s14, s18, s15
	v_mov_b32_e32 v7, s14
	v_add_co_u32_e32 v5, vcc, s13, v5
	v_addc_co_u32_e32 v6, vcc, v7, v6, vcc
	v_add_co_u32_e32 v5, vcc, v5, v2
	v_addc_co_u32_e32 v6, vcc, 0, v6, vcc
	global_load_dwordx2 v[5:6], v[5:6], off
	v_add_u32_e32 v7, 0x2000, v4
	s_waitcnt vmcnt(0)
	ds_write_b64 v7, v[5:6]
.LBB62_5:
	s_or_b64 exec, exec, s[10:11]
	s_cmpk_eq_i32 s9, 0x84
	s_cselect_b64 s[10:11], -1, 0
	v_cmp_eq_u32_e32 vcc, v1, v0
	s_and_b64 s[14:15], vcc, s[10:11]
	s_and_saveexec_b64 s[10:11], s[14:15]
; %bb.6:
	v_mov_b32_e32 v5, 0
	v_mov_b32_e32 v6, 0x3ff00000
	ds_write_b64 v4, v[5:6]
; %bb.7:
	s_or_b64 exec, exec, s[10:11]
	s_cmpk_lg_i32 s8, 0x7a
	s_waitcnt lgkmcnt(0)
	s_barrier
	s_cbranch_scc0 .LBB62_9
; %bb.8:
	v_cmp_lt_u32_e32 vcc, v0, v1
	s_and_b64 s[8:9], vcc, exec
	s_cbranch_execz .LBB62_10
	s_branch .LBB62_11
.LBB62_9:
	s_mov_b64 s[8:9], 0
.LBB62_10:
	v_cmp_gt_u32_e32 vcc, v0, v1
	s_andn2_b64 s[8:9], s[8:9], exec
	s_and_b64 s[10:11], vcc, exec
	s_or_b64 s[8:9], s[8:9], s[10:11]
.LBB62_11:
	s_and_saveexec_b64 s[10:11], s[8:9]
; %bb.12:
	v_mov_b32_e32 v5, 0
	v_mov_b32_e32 v6, v5
	ds_write_b64 v4, v[5:6]
; %bb.13:
	s_or_b64 exec, exec, s[10:11]
	s_waitcnt lgkmcnt(0)
	s_barrier
	s_and_saveexec_b64 s[8:9], s[0:1]
	s_cbranch_execz .LBB62_15
; %bb.14:
	ds_read2_b64 v[4:7], v2 offset1:32
	v_lshlrev_b32_e32 v0, 3, v3
	ds_read_b128 v[8:11], v0 offset:8192
	ds_read_b128 v[12:15], v0 offset:8208
	v_add_u32_e32 v17, 0x800, v2
	s_waitcnt lgkmcnt(1)
	v_fma_f64 v[3:4], v[4:5], v[8:9], 0
	v_fma_f64 v[7:8], v[6:7], v[10:11], v[3:4]
	ds_read2_b64 v[3:6], v2 offset0:64 offset1:96
	s_waitcnt lgkmcnt(0)
	v_fma_f64 v[3:4], v[3:4], v[12:13], v[7:8]
	v_fma_f64 v[15:16], v[5:6], v[14:15], v[3:4]
	ds_read2_b64 v[3:6], v2 offset0:128 offset1:160
	ds_read_b128 v[7:10], v0 offset:8224
	ds_read_b128 v[11:14], v0 offset:8240
	s_waitcnt lgkmcnt(1)
	v_fma_f64 v[3:4], v[3:4], v[7:8], v[15:16]
	v_fma_f64 v[7:8], v[5:6], v[9:10], v[3:4]
	ds_read2_b64 v[3:6], v2 offset0:192 offset1:224
	s_waitcnt lgkmcnt(0)
	v_fma_f64 v[3:4], v[3:4], v[11:12], v[7:8]
	v_fma_f64 v[15:16], v[5:6], v[13:14], v[3:4]
	ds_read2_b64 v[3:6], v17 offset1:32
	ds_read_b128 v[7:10], v0 offset:8256
	ds_read_b128 v[11:14], v0 offset:8272
	s_waitcnt lgkmcnt(1)
	v_fma_f64 v[3:4], v[3:4], v[7:8], v[15:16]
	v_fma_f64 v[7:8], v[5:6], v[9:10], v[3:4]
	ds_read2_b64 v[3:6], v17 offset0:64 offset1:96
	s_waitcnt lgkmcnt(0)
	v_fma_f64 v[3:4], v[3:4], v[11:12], v[7:8]
	v_fma_f64 v[15:16], v[5:6], v[13:14], v[3:4]
	ds_read2_b64 v[3:6], v17 offset0:128 offset1:160
	ds_read_b128 v[7:10], v0 offset:8288
	ds_read_b128 v[11:14], v0 offset:8304
	s_waitcnt lgkmcnt(1)
	v_fma_f64 v[3:4], v[3:4], v[7:8], v[15:16]
	v_fma_f64 v[7:8], v[5:6], v[9:10], v[3:4]
	ds_read2_b64 v[3:6], v17 offset0:192 offset1:224
	v_add_u32_e32 v17, 0x1000, v2
	s_waitcnt lgkmcnt(0)
	v_fma_f64 v[3:4], v[3:4], v[11:12], v[7:8]
	v_fma_f64 v[15:16], v[5:6], v[13:14], v[3:4]
	ds_read2_b64 v[3:6], v17 offset1:32
	ds_read_b128 v[7:10], v0 offset:8320
	ds_read_b128 v[11:14], v0 offset:8336
	s_waitcnt lgkmcnt(1)
	v_fma_f64 v[3:4], v[3:4], v[7:8], v[15:16]
	v_fma_f64 v[7:8], v[5:6], v[9:10], v[3:4]
	ds_read2_b64 v[3:6], v17 offset0:64 offset1:96
	s_waitcnt lgkmcnt(0)
	v_fma_f64 v[3:4], v[3:4], v[11:12], v[7:8]
	v_fma_f64 v[15:16], v[5:6], v[13:14], v[3:4]
	ds_read2_b64 v[3:6], v17 offset0:128 offset1:160
	ds_read_b128 v[7:10], v0 offset:8352
	ds_read_b128 v[11:14], v0 offset:8368
	s_waitcnt lgkmcnt(1)
	v_fma_f64 v[3:4], v[3:4], v[7:8], v[15:16]
	v_fma_f64 v[7:8], v[5:6], v[9:10], v[3:4]
	ds_read2_b64 v[3:6], v17 offset0:192 offset1:224
	v_add_u32_e32 v17, 0x1800, v2
	s_waitcnt lgkmcnt(0)
	v_fma_f64 v[3:4], v[3:4], v[11:12], v[7:8]
	v_fma_f64 v[15:16], v[5:6], v[13:14], v[3:4]
	ds_read2_b64 v[3:6], v17 offset1:32
	ds_read_b128 v[7:10], v0 offset:8384
	ds_read_b128 v[11:14], v0 offset:8400
	s_waitcnt lgkmcnt(1)
	v_fma_f64 v[3:4], v[3:4], v[7:8], v[15:16]
	v_fma_f64 v[7:8], v[5:6], v[9:10], v[3:4]
	ds_read2_b64 v[3:6], v17 offset0:64 offset1:96
	s_waitcnt lgkmcnt(0)
	v_fma_f64 v[3:4], v[3:4], v[11:12], v[7:8]
	v_fma_f64 v[15:16], v[5:6], v[13:14], v[3:4]
	ds_read2_b64 v[3:6], v17 offset0:128 offset1:160
	ds_read_b128 v[7:10], v0 offset:8416
	ds_read_b128 v[11:14], v0 offset:8432
	s_load_dwordx2 s[0:1], s[4:5], 0x60
	s_load_dwordx4 s[8:11], s[4:5], 0x50
	s_waitcnt lgkmcnt(0)
	s_mul_i32 s1, s1, s7
	s_mul_hi_u32 s5, s0, s7
	v_fma_f64 v[3:4], v[3:4], v[7:8], v[15:16]
	ds_read2_b64 v[15:18], v17 offset0:192 offset1:224
	s_mul_i32 s0, s0, s7
	s_mul_hi_u32 s13, s10, s6
	s_mul_i32 s14, s11, s6
	s_mul_i32 s4, s10, s6
	s_add_i32 s1, s5, s1
	s_lshl_b64 s[0:1], s[0:1], 3
	v_fma_f64 v[3:4], v[5:6], v[9:10], v[3:4]
	v_mad_u64_u32 v[5:6], s[6:7], s10, v1, 0
	s_mul_i32 s12, s10, s12
	s_add_u32 s6, s8, s0
	s_addc_u32 s7, s9, s1
	s_add_i32 s0, s13, s12
	v_mov_b32_e32 v0, v6
	s_waitcnt lgkmcnt(0)
	v_fma_f64 v[3:4], v[15:16], v[11:12], v[3:4]
	s_add_i32 s5, s0, s14
	v_mad_u64_u32 v[0:1], s[0:1], s11, v1, v[0:1]
	s_lshl_b64 s[0:1], s[4:5], 3
	s_add_u32 s0, s6, s0
	v_mov_b32_e32 v6, v0
	v_lshlrev_b64 v[0:1], 3, v[5:6]
	v_fma_f64 v[3:4], v[17:18], v[13:14], v[3:4]
	s_addc_u32 s1, s7, s1
	v_mov_b32_e32 v7, s1
	v_add_co_u32_e32 v0, vcc, s0, v0
	v_addc_co_u32_e32 v1, vcc, v7, v1, vcc
	v_add_co_u32_e32 v0, vcc, v0, v2
	v_mul_f64 v[3:4], s[2:3], v[3:4]
	v_addc_co_u32_e32 v1, vcc, 0, v1, vcc
	global_store_dwordx2 v[0:1], v[3:4], off
.LBB62_15:
	s_endpgm
	.section	.rodata,"a",@progbits
	.p2align	6, 0x0
	.amdhsa_kernel _ZL23rocblas_trmm_lTx_kernelILi32ELb0EdPKdS0_dEv13rocblas_fill_17rocblas_diagonal_iiT2_lPT3_llS6_llPT4_lli
		.amdhsa_group_segment_fixed_size 16384
		.amdhsa_private_segment_fixed_size 0
		.amdhsa_kernarg_size 108
		.amdhsa_user_sgpr_count 6
		.amdhsa_user_sgpr_private_segment_buffer 1
		.amdhsa_user_sgpr_dispatch_ptr 0
		.amdhsa_user_sgpr_queue_ptr 0
		.amdhsa_user_sgpr_kernarg_segment_ptr 1
		.amdhsa_user_sgpr_dispatch_id 0
		.amdhsa_user_sgpr_flat_scratch_init 0
		.amdhsa_user_sgpr_private_segment_size 0
		.amdhsa_uses_dynamic_stack 0
		.amdhsa_system_sgpr_private_segment_wavefront_offset 0
		.amdhsa_system_sgpr_workgroup_id_x 1
		.amdhsa_system_sgpr_workgroup_id_y 0
		.amdhsa_system_sgpr_workgroup_id_z 1
		.amdhsa_system_sgpr_workgroup_info 0
		.amdhsa_system_vgpr_workitem_id 1
		.amdhsa_next_free_vgpr 29
		.amdhsa_next_free_sgpr 61
		.amdhsa_reserve_vcc 1
		.amdhsa_reserve_flat_scratch 0
		.amdhsa_float_round_mode_32 0
		.amdhsa_float_round_mode_16_64 0
		.amdhsa_float_denorm_mode_32 3
		.amdhsa_float_denorm_mode_16_64 3
		.amdhsa_dx10_clamp 1
		.amdhsa_ieee_mode 1
		.amdhsa_fp16_overflow 0
		.amdhsa_exception_fp_ieee_invalid_op 0
		.amdhsa_exception_fp_denorm_src 0
		.amdhsa_exception_fp_ieee_div_zero 0
		.amdhsa_exception_fp_ieee_overflow 0
		.amdhsa_exception_fp_ieee_underflow 0
		.amdhsa_exception_fp_ieee_inexact 0
		.amdhsa_exception_int_div_zero 0
	.end_amdhsa_kernel
	.section	.text._ZL23rocblas_trmm_lTx_kernelILi32ELb0EdPKdS0_dEv13rocblas_fill_17rocblas_diagonal_iiT2_lPT3_llS6_llPT4_lli,"axG",@progbits,_ZL23rocblas_trmm_lTx_kernelILi32ELb0EdPKdS0_dEv13rocblas_fill_17rocblas_diagonal_iiT2_lPT3_llS6_llPT4_lli,comdat
.Lfunc_end62:
	.size	_ZL23rocblas_trmm_lTx_kernelILi32ELb0EdPKdS0_dEv13rocblas_fill_17rocblas_diagonal_iiT2_lPT3_llS6_llPT4_lli, .Lfunc_end62-_ZL23rocblas_trmm_lTx_kernelILi32ELb0EdPKdS0_dEv13rocblas_fill_17rocblas_diagonal_iiT2_lPT3_llS6_llPT4_lli
                                        ; -- End function
	.set _ZL23rocblas_trmm_lTx_kernelILi32ELb0EdPKdS0_dEv13rocblas_fill_17rocblas_diagonal_iiT2_lPT3_llS6_llPT4_lli.num_vgpr, 19
	.set _ZL23rocblas_trmm_lTx_kernelILi32ELb0EdPKdS0_dEv13rocblas_fill_17rocblas_diagonal_iiT2_lPT3_llS6_llPT4_lli.num_agpr, 0
	.set _ZL23rocblas_trmm_lTx_kernelILi32ELb0EdPKdS0_dEv13rocblas_fill_17rocblas_diagonal_iiT2_lPT3_llS6_llPT4_lli.numbered_sgpr, 26
	.set _ZL23rocblas_trmm_lTx_kernelILi32ELb0EdPKdS0_dEv13rocblas_fill_17rocblas_diagonal_iiT2_lPT3_llS6_llPT4_lli.num_named_barrier, 0
	.set _ZL23rocblas_trmm_lTx_kernelILi32ELb0EdPKdS0_dEv13rocblas_fill_17rocblas_diagonal_iiT2_lPT3_llS6_llPT4_lli.private_seg_size, 0
	.set _ZL23rocblas_trmm_lTx_kernelILi32ELb0EdPKdS0_dEv13rocblas_fill_17rocblas_diagonal_iiT2_lPT3_llS6_llPT4_lli.uses_vcc, 1
	.set _ZL23rocblas_trmm_lTx_kernelILi32ELb0EdPKdS0_dEv13rocblas_fill_17rocblas_diagonal_iiT2_lPT3_llS6_llPT4_lli.uses_flat_scratch, 0
	.set _ZL23rocblas_trmm_lTx_kernelILi32ELb0EdPKdS0_dEv13rocblas_fill_17rocblas_diagonal_iiT2_lPT3_llS6_llPT4_lli.has_dyn_sized_stack, 0
	.set _ZL23rocblas_trmm_lTx_kernelILi32ELb0EdPKdS0_dEv13rocblas_fill_17rocblas_diagonal_iiT2_lPT3_llS6_llPT4_lli.has_recursion, 0
	.set _ZL23rocblas_trmm_lTx_kernelILi32ELb0EdPKdS0_dEv13rocblas_fill_17rocblas_diagonal_iiT2_lPT3_llS6_llPT4_lli.has_indirect_call, 0
	.section	.AMDGPU.csdata,"",@progbits
; Kernel info:
; codeLenInByte = 1372
; TotalNumSgprs: 30
; NumVgprs: 19
; ScratchSize: 0
; MemoryBound: 0
; FloatMode: 240
; IeeeMode: 1
; LDSByteSize: 16384 bytes/workgroup (compile time only)
; SGPRBlocks: 8
; VGPRBlocks: 7
; NumSGPRsForWavesPerEU: 65
; NumVGPRsForWavesPerEU: 29
; Occupancy: 8
; WaveLimiterHint : 0
; COMPUTE_PGM_RSRC2:SCRATCH_EN: 0
; COMPUTE_PGM_RSRC2:USER_SGPR: 6
; COMPUTE_PGM_RSRC2:TRAP_HANDLER: 0
; COMPUTE_PGM_RSRC2:TGID_X_EN: 1
; COMPUTE_PGM_RSRC2:TGID_Y_EN: 0
; COMPUTE_PGM_RSRC2:TGID_Z_EN: 1
; COMPUTE_PGM_RSRC2:TIDIG_COMP_CNT: 1
	.section	.text._ZL23rocblas_trmm_lTx_kernelILi32ELb0EddKddEv13rocblas_fill_17rocblas_diagonal_iiT2_lPT3_llS5_llPT4_lli,"axG",@progbits,_ZL23rocblas_trmm_lTx_kernelILi32ELb0EddKddEv13rocblas_fill_17rocblas_diagonal_iiT2_lPT3_llS5_llPT4_lli,comdat
	.globl	_ZL23rocblas_trmm_lTx_kernelILi32ELb0EddKddEv13rocblas_fill_17rocblas_diagonal_iiT2_lPT3_llS5_llPT4_lli ; -- Begin function _ZL23rocblas_trmm_lTx_kernelILi32ELb0EddKddEv13rocblas_fill_17rocblas_diagonal_iiT2_lPT3_llS5_llPT4_lli
	.p2align	8
	.type	_ZL23rocblas_trmm_lTx_kernelILi32ELb0EddKddEv13rocblas_fill_17rocblas_diagonal_iiT2_lPT3_llS5_llPT4_lli,@function
_ZL23rocblas_trmm_lTx_kernelILi32ELb0EddKddEv13rocblas_fill_17rocblas_diagonal_iiT2_lPT3_llS5_llPT4_lli: ; @_ZL23rocblas_trmm_lTx_kernelILi32ELb0EddKddEv13rocblas_fill_17rocblas_diagonal_iiT2_lPT3_llS5_llPT4_lli
; %bb.0:
	s_load_dwordx2 s[2:3], s[4:5], 0x10
	s_waitcnt lgkmcnt(0)
	v_cmp_eq_f64_e64 s[0:1], s[2:3], 0
	s_and_b64 vcc, exec, s[0:1]
	s_cbranch_vccnz .LBB63_15
; %bb.1:
	s_load_dwordx4 s[24:27], s[4:5], 0x0
	s_load_dwordx16 s[8:23], s[4:5], 0x20
	s_mov_b32 s0, 0
	s_mov_b32 s1, s0
	v_mov_b32_e32 v6, s1
	v_lshlrev_b32_e32 v3, 5, v1
	v_mov_b32_e32 v5, s0
	s_waitcnt lgkmcnt(0)
	v_cmp_gt_i32_e64 s[0:1], s26, v1
	v_cmp_gt_i32_e32 vcc, s26, v0
	v_add_lshl_u32 v4, v3, v0, 3
	s_and_b64 s[0:1], s[0:1], vcc
	v_lshlrev_b32_e32 v2, 3, v0
	ds_write2st64_b64 v4, v[5:6], v[5:6] offset1:16
	s_waitcnt lgkmcnt(0)
	s_barrier
	s_and_saveexec_b64 s[28:29], s[0:1]
	s_cbranch_execz .LBB63_3
; %bb.2:
	v_mad_u64_u32 v[5:6], s[0:1], s10, v1, 0
	s_mul_i32 s13, s13, s7
	s_mul_hi_u32 s0, s12, s7
	v_mad_u64_u32 v[6:7], s[10:11], s11, v1, v[6:7]
	s_add_i32 s1, s0, s13
	s_mul_i32 s0, s12, s7
	s_lshl_b64 s[0:1], s[0:1], 3
	s_add_u32 s0, s8, s0
	v_lshlrev_b64 v[5:6], 3, v[5:6]
	s_addc_u32 s1, s9, s1
	v_mov_b32_e32 v7, s1
	v_add_co_u32_e64 v5, s[0:1], s0, v5
	v_addc_co_u32_e64 v6, s[0:1], v7, v6, s[0:1]
	v_add_co_u32_e64 v5, s[0:1], v5, v2
	v_addc_co_u32_e64 v6, s[0:1], 0, v6, s[0:1]
	global_load_dwordx2 v[5:6], v[5:6], off
	v_lshlrev_b32_e32 v7, 3, v1
	v_lshl_add_u32 v7, v0, 8, v7
	s_waitcnt vmcnt(0)
	ds_write_b64 v7, v[5:6]
.LBB63_3:
	s_or_b64 exec, exec, s[28:29]
	s_add_i32 s0, s27, -1
	s_ashr_i32 s1, s0, 31
	s_lshr_b32 s1, s1, 27
	s_add_i32 s0, s0, s1
	s_ashr_i32 s1, s0, 5
	s_andn2_b32 s0, s0, 31
	s_sub_i32 s0, s27, s0
	s_cmp_ge_i32 s6, s1
	s_cselect_b32 s0, s0, 32
	s_lshl_b32 s6, s6, 5
	v_cmp_gt_i32_e64 s[0:1], s0, v1
	s_ashr_i32 s12, s6, 31
	s_and_b64 s[0:1], vcc, s[0:1]
	s_and_saveexec_b64 s[8:9], s[0:1]
	s_cbranch_execz .LBB63_5
; %bb.4:
	s_mul_i32 s10, s19, s7
	s_mul_hi_u32 s11, s18, s7
	s_add_i32 s11, s11, s10
	s_mul_i32 s10, s18, s7
	s_lshl_b64 s[10:11], s[10:11], 3
	s_add_u32 s13, s14, s10
	s_addc_u32 s18, s15, s11
	s_mul_i32 s10, s16, s12
	s_mul_hi_u32 s11, s16, s6
	s_add_i32 s14, s11, s10
	v_mad_u64_u32 v[5:6], s[10:11], s16, v1, 0
	s_mul_i32 s10, s17, s6
	s_add_i32 s11, s14, s10
	v_mad_u64_u32 v[6:7], s[14:15], s17, v1, v[6:7]
	s_mul_i32 s10, s16, s6
	s_lshl_b64 s[10:11], s[10:11], 3
	s_add_u32 s10, s13, s10
	v_lshlrev_b64 v[5:6], 3, v[5:6]
	s_addc_u32 s11, s18, s11
	v_mov_b32_e32 v7, s11
	v_add_co_u32_e32 v5, vcc, s10, v5
	v_addc_co_u32_e32 v6, vcc, v7, v6, vcc
	v_add_co_u32_e32 v5, vcc, v5, v2
	v_addc_co_u32_e32 v6, vcc, 0, v6, vcc
	global_load_dwordx2 v[5:6], v[5:6], off
	v_add_u32_e32 v7, 0x2000, v4
	s_waitcnt vmcnt(0)
	ds_write_b64 v7, v[5:6]
.LBB63_5:
	s_or_b64 exec, exec, s[8:9]
	s_cmpk_eq_i32 s25, 0x84
	s_cselect_b64 s[8:9], -1, 0
	v_cmp_eq_u32_e32 vcc, v1, v0
	s_and_b64 s[10:11], vcc, s[8:9]
	s_and_saveexec_b64 s[8:9], s[10:11]
; %bb.6:
	v_mov_b32_e32 v5, 0
	v_mov_b32_e32 v6, 0x3ff00000
	ds_write_b64 v4, v[5:6]
; %bb.7:
	s_or_b64 exec, exec, s[8:9]
	s_cmpk_lg_i32 s24, 0x7a
	s_waitcnt lgkmcnt(0)
	s_barrier
	s_cbranch_scc0 .LBB63_9
; %bb.8:
	v_cmp_lt_u32_e32 vcc, v0, v1
	s_and_b64 s[8:9], vcc, exec
	s_cbranch_execz .LBB63_10
	s_branch .LBB63_11
.LBB63_9:
	s_mov_b64 s[8:9], 0
.LBB63_10:
	v_cmp_gt_u32_e32 vcc, v0, v1
	s_andn2_b64 s[8:9], s[8:9], exec
	s_and_b64 s[10:11], vcc, exec
	s_or_b64 s[8:9], s[8:9], s[10:11]
.LBB63_11:
	s_and_saveexec_b64 s[10:11], s[8:9]
; %bb.12:
	v_mov_b32_e32 v5, 0
	v_mov_b32_e32 v6, v5
	ds_write_b64 v4, v[5:6]
; %bb.13:
	s_or_b64 exec, exec, s[10:11]
	s_waitcnt lgkmcnt(0)
	s_barrier
	s_and_saveexec_b64 s[8:9], s[0:1]
	s_cbranch_execz .LBB63_15
; %bb.14:
	ds_read2_b64 v[4:7], v2 offset1:32
	v_lshlrev_b32_e32 v0, 3, v3
	ds_read_b128 v[8:11], v0 offset:8192
	ds_read_b128 v[12:15], v0 offset:8208
	v_add_u32_e32 v17, 0x800, v2
	s_load_dwordx2 s[0:1], s[4:5], 0x60
	s_mul_hi_u32 s9, s22, s6
	s_waitcnt lgkmcnt(0)
	v_fma_f64 v[3:4], v[4:5], v[8:9], 0
	s_mul_i32 s8, s22, s12
	s_mul_i32 s1, s1, s7
	s_mul_hi_u32 s10, s0, s7
	s_mul_i32 s0, s0, s7
	s_add_i32 s1, s10, s1
	s_lshl_b64 s[0:1], s[0:1], 3
	v_fma_f64 v[7:8], v[6:7], v[10:11], v[3:4]
	ds_read2_b64 v[3:6], v2 offset0:64 offset1:96
	s_waitcnt lgkmcnt(0)
	v_fma_f64 v[3:4], v[3:4], v[12:13], v[7:8]
	v_fma_f64 v[15:16], v[5:6], v[14:15], v[3:4]
	ds_read2_b64 v[3:6], v2 offset0:128 offset1:160
	ds_read_b128 v[7:10], v0 offset:8224
	ds_read_b128 v[11:14], v0 offset:8240
	s_waitcnt lgkmcnt(1)
	v_fma_f64 v[3:4], v[3:4], v[7:8], v[15:16]
	v_fma_f64 v[7:8], v[5:6], v[9:10], v[3:4]
	ds_read2_b64 v[3:6], v2 offset0:192 offset1:224
	s_waitcnt lgkmcnt(0)
	v_fma_f64 v[3:4], v[3:4], v[11:12], v[7:8]
	v_fma_f64 v[15:16], v[5:6], v[13:14], v[3:4]
	ds_read2_b64 v[3:6], v17 offset1:32
	ds_read_b128 v[7:10], v0 offset:8256
	ds_read_b128 v[11:14], v0 offset:8272
	s_waitcnt lgkmcnt(1)
	v_fma_f64 v[3:4], v[3:4], v[7:8], v[15:16]
	v_fma_f64 v[7:8], v[5:6], v[9:10], v[3:4]
	ds_read2_b64 v[3:6], v17 offset0:64 offset1:96
	s_waitcnt lgkmcnt(0)
	v_fma_f64 v[3:4], v[3:4], v[11:12], v[7:8]
	v_fma_f64 v[15:16], v[5:6], v[13:14], v[3:4]
	ds_read2_b64 v[3:6], v17 offset0:128 offset1:160
	ds_read_b128 v[7:10], v0 offset:8288
	ds_read_b128 v[11:14], v0 offset:8304
	s_waitcnt lgkmcnt(1)
	v_fma_f64 v[3:4], v[3:4], v[7:8], v[15:16]
	v_fma_f64 v[7:8], v[5:6], v[9:10], v[3:4]
	ds_read2_b64 v[3:6], v17 offset0:192 offset1:224
	v_add_u32_e32 v17, 0x1000, v2
	s_waitcnt lgkmcnt(0)
	v_fma_f64 v[3:4], v[3:4], v[11:12], v[7:8]
	v_fma_f64 v[15:16], v[5:6], v[13:14], v[3:4]
	ds_read2_b64 v[3:6], v17 offset1:32
	ds_read_b128 v[7:10], v0 offset:8320
	ds_read_b128 v[11:14], v0 offset:8336
	s_waitcnt lgkmcnt(1)
	v_fma_f64 v[3:4], v[3:4], v[7:8], v[15:16]
	v_fma_f64 v[7:8], v[5:6], v[9:10], v[3:4]
	ds_read2_b64 v[3:6], v17 offset0:64 offset1:96
	s_waitcnt lgkmcnt(0)
	v_fma_f64 v[3:4], v[3:4], v[11:12], v[7:8]
	v_fma_f64 v[15:16], v[5:6], v[13:14], v[3:4]
	ds_read2_b64 v[3:6], v17 offset0:128 offset1:160
	ds_read_b128 v[7:10], v0 offset:8352
	ds_read_b128 v[11:14], v0 offset:8368
	s_waitcnt lgkmcnt(1)
	v_fma_f64 v[3:4], v[3:4], v[7:8], v[15:16]
	v_fma_f64 v[7:8], v[5:6], v[9:10], v[3:4]
	ds_read2_b64 v[3:6], v17 offset0:192 offset1:224
	v_add_u32_e32 v17, 0x1800, v2
	s_waitcnt lgkmcnt(0)
	v_fma_f64 v[3:4], v[3:4], v[11:12], v[7:8]
	v_fma_f64 v[15:16], v[5:6], v[13:14], v[3:4]
	ds_read2_b64 v[3:6], v17 offset1:32
	ds_read_b128 v[7:10], v0 offset:8384
	ds_read_b128 v[11:14], v0 offset:8400
	s_waitcnt lgkmcnt(1)
	v_fma_f64 v[3:4], v[3:4], v[7:8], v[15:16]
	v_fma_f64 v[7:8], v[5:6], v[9:10], v[3:4]
	ds_read2_b64 v[3:6], v17 offset0:64 offset1:96
	s_waitcnt lgkmcnt(0)
	v_fma_f64 v[3:4], v[3:4], v[11:12], v[7:8]
	v_fma_f64 v[15:16], v[5:6], v[13:14], v[3:4]
	ds_read2_b64 v[3:6], v17 offset0:128 offset1:160
	ds_read_b128 v[7:10], v0 offset:8416
	ds_read_b128 v[11:14], v0 offset:8432
	s_waitcnt lgkmcnt(1)
	v_fma_f64 v[3:4], v[3:4], v[7:8], v[15:16]
	v_mad_u64_u32 v[7:8], s[4:5], s22, v1, 0
	s_mul_i32 s5, s23, s6
	s_mul_i32 s4, s22, s6
	v_mov_b32_e32 v0, v8
	v_mad_u64_u32 v[0:1], s[6:7], s23, v1, v[0:1]
	v_fma_f64 v[9:10], v[5:6], v[9:10], v[3:4]
	ds_read2_b64 v[3:6], v17 offset0:192 offset1:224
	s_add_u32 s6, s20, s0
	s_addc_u32 s7, s21, s1
	s_add_i32 s0, s9, s8
	s_add_i32 s5, s0, s5
	v_mov_b32_e32 v8, v0
	s_lshl_b64 s[0:1], s[4:5], 3
	s_waitcnt lgkmcnt(0)
	v_fma_f64 v[3:4], v[3:4], v[11:12], v[9:10]
	v_lshlrev_b64 v[0:1], 3, v[7:8]
	s_add_u32 s0, s6, s0
	s_addc_u32 s1, s7, s1
	v_add_co_u32_e32 v0, vcc, s0, v0
	v_fma_f64 v[3:4], v[5:6], v[13:14], v[3:4]
	v_mov_b32_e32 v5, s1
	v_addc_co_u32_e32 v1, vcc, v5, v1, vcc
	v_add_co_u32_e32 v0, vcc, v0, v2
	v_addc_co_u32_e32 v1, vcc, 0, v1, vcc
	v_mul_f64 v[3:4], s[2:3], v[3:4]
	global_store_dwordx2 v[0:1], v[3:4], off
.LBB63_15:
	s_endpgm
	.section	.rodata,"a",@progbits
	.p2align	6, 0x0
	.amdhsa_kernel _ZL23rocblas_trmm_lTx_kernelILi32ELb0EddKddEv13rocblas_fill_17rocblas_diagonal_iiT2_lPT3_llS5_llPT4_lli
		.amdhsa_group_segment_fixed_size 16384
		.amdhsa_private_segment_fixed_size 0
		.amdhsa_kernarg_size 108
		.amdhsa_user_sgpr_count 6
		.amdhsa_user_sgpr_private_segment_buffer 1
		.amdhsa_user_sgpr_dispatch_ptr 0
		.amdhsa_user_sgpr_queue_ptr 0
		.amdhsa_user_sgpr_kernarg_segment_ptr 1
		.amdhsa_user_sgpr_dispatch_id 0
		.amdhsa_user_sgpr_flat_scratch_init 0
		.amdhsa_user_sgpr_private_segment_size 0
		.amdhsa_uses_dynamic_stack 0
		.amdhsa_system_sgpr_private_segment_wavefront_offset 0
		.amdhsa_system_sgpr_workgroup_id_x 1
		.amdhsa_system_sgpr_workgroup_id_y 0
		.amdhsa_system_sgpr_workgroup_id_z 1
		.amdhsa_system_sgpr_workgroup_info 0
		.amdhsa_system_vgpr_workitem_id 1
		.amdhsa_next_free_vgpr 29
		.amdhsa_next_free_sgpr 61
		.amdhsa_reserve_vcc 1
		.amdhsa_reserve_flat_scratch 0
		.amdhsa_float_round_mode_32 0
		.amdhsa_float_round_mode_16_64 0
		.amdhsa_float_denorm_mode_32 3
		.amdhsa_float_denorm_mode_16_64 3
		.amdhsa_dx10_clamp 1
		.amdhsa_ieee_mode 1
		.amdhsa_fp16_overflow 0
		.amdhsa_exception_fp_ieee_invalid_op 0
		.amdhsa_exception_fp_denorm_src 0
		.amdhsa_exception_fp_ieee_div_zero 0
		.amdhsa_exception_fp_ieee_overflow 0
		.amdhsa_exception_fp_ieee_underflow 0
		.amdhsa_exception_fp_ieee_inexact 0
		.amdhsa_exception_int_div_zero 0
	.end_amdhsa_kernel
	.section	.text._ZL23rocblas_trmm_lTx_kernelILi32ELb0EddKddEv13rocblas_fill_17rocblas_diagonal_iiT2_lPT3_llS5_llPT4_lli,"axG",@progbits,_ZL23rocblas_trmm_lTx_kernelILi32ELb0EddKddEv13rocblas_fill_17rocblas_diagonal_iiT2_lPT3_llS5_llPT4_lli,comdat
.Lfunc_end63:
	.size	_ZL23rocblas_trmm_lTx_kernelILi32ELb0EddKddEv13rocblas_fill_17rocblas_diagonal_iiT2_lPT3_llS5_llPT4_lli, .Lfunc_end63-_ZL23rocblas_trmm_lTx_kernelILi32ELb0EddKddEv13rocblas_fill_17rocblas_diagonal_iiT2_lPT3_llS5_llPT4_lli
                                        ; -- End function
	.set _ZL23rocblas_trmm_lTx_kernelILi32ELb0EddKddEv13rocblas_fill_17rocblas_diagonal_iiT2_lPT3_llS5_llPT4_lli.num_vgpr, 18
	.set _ZL23rocblas_trmm_lTx_kernelILi32ELb0EddKddEv13rocblas_fill_17rocblas_diagonal_iiT2_lPT3_llS5_llPT4_lli.num_agpr, 0
	.set _ZL23rocblas_trmm_lTx_kernelILi32ELb0EddKddEv13rocblas_fill_17rocblas_diagonal_iiT2_lPT3_llS5_llPT4_lli.numbered_sgpr, 30
	.set _ZL23rocblas_trmm_lTx_kernelILi32ELb0EddKddEv13rocblas_fill_17rocblas_diagonal_iiT2_lPT3_llS5_llPT4_lli.num_named_barrier, 0
	.set _ZL23rocblas_trmm_lTx_kernelILi32ELb0EddKddEv13rocblas_fill_17rocblas_diagonal_iiT2_lPT3_llS5_llPT4_lli.private_seg_size, 0
	.set _ZL23rocblas_trmm_lTx_kernelILi32ELb0EddKddEv13rocblas_fill_17rocblas_diagonal_iiT2_lPT3_llS5_llPT4_lli.uses_vcc, 1
	.set _ZL23rocblas_trmm_lTx_kernelILi32ELb0EddKddEv13rocblas_fill_17rocblas_diagonal_iiT2_lPT3_llS5_llPT4_lli.uses_flat_scratch, 0
	.set _ZL23rocblas_trmm_lTx_kernelILi32ELb0EddKddEv13rocblas_fill_17rocblas_diagonal_iiT2_lPT3_llS5_llPT4_lli.has_dyn_sized_stack, 0
	.set _ZL23rocblas_trmm_lTx_kernelILi32ELb0EddKddEv13rocblas_fill_17rocblas_diagonal_iiT2_lPT3_llS5_llPT4_lli.has_recursion, 0
	.set _ZL23rocblas_trmm_lTx_kernelILi32ELb0EddKddEv13rocblas_fill_17rocblas_diagonal_iiT2_lPT3_llS5_llPT4_lli.has_indirect_call, 0
	.section	.AMDGPU.csdata,"",@progbits
; Kernel info:
; codeLenInByte = 1332
; TotalNumSgprs: 34
; NumVgprs: 18
; ScratchSize: 0
; MemoryBound: 0
; FloatMode: 240
; IeeeMode: 1
; LDSByteSize: 16384 bytes/workgroup (compile time only)
; SGPRBlocks: 8
; VGPRBlocks: 7
; NumSGPRsForWavesPerEU: 65
; NumVGPRsForWavesPerEU: 29
; Occupancy: 8
; WaveLimiterHint : 0
; COMPUTE_PGM_RSRC2:SCRATCH_EN: 0
; COMPUTE_PGM_RSRC2:USER_SGPR: 6
; COMPUTE_PGM_RSRC2:TRAP_HANDLER: 0
; COMPUTE_PGM_RSRC2:TGID_X_EN: 1
; COMPUTE_PGM_RSRC2:TGID_Y_EN: 0
; COMPUTE_PGM_RSRC2:TGID_Z_EN: 1
; COMPUTE_PGM_RSRC2:TIDIG_COMP_CNT: 1
	.section	.text._ZL23rocblas_trmm_lTx_kernelILi32ELb1EdPKdS0_dEv13rocblas_fill_17rocblas_diagonal_iiT2_lPT3_llS6_llPT4_lli,"axG",@progbits,_ZL23rocblas_trmm_lTx_kernelILi32ELb1EdPKdS0_dEv13rocblas_fill_17rocblas_diagonal_iiT2_lPT3_llS6_llPT4_lli,comdat
	.globl	_ZL23rocblas_trmm_lTx_kernelILi32ELb1EdPKdS0_dEv13rocblas_fill_17rocblas_diagonal_iiT2_lPT3_llS6_llPT4_lli ; -- Begin function _ZL23rocblas_trmm_lTx_kernelILi32ELb1EdPKdS0_dEv13rocblas_fill_17rocblas_diagonal_iiT2_lPT3_llS6_llPT4_lli
	.p2align	8
	.type	_ZL23rocblas_trmm_lTx_kernelILi32ELb1EdPKdS0_dEv13rocblas_fill_17rocblas_diagonal_iiT2_lPT3_llS6_llPT4_lli,@function
_ZL23rocblas_trmm_lTx_kernelILi32ELb1EdPKdS0_dEv13rocblas_fill_17rocblas_diagonal_iiT2_lPT3_llS6_llPT4_lli: ; @_ZL23rocblas_trmm_lTx_kernelILi32ELb1EdPKdS0_dEv13rocblas_fill_17rocblas_diagonal_iiT2_lPT3_llS6_llPT4_lli
; %bb.0:
	s_load_dwordx16 s[8:23], s[4:5], 0x10
	s_waitcnt lgkmcnt(0)
	s_mul_i32 s0, s11, s7
	s_mul_hi_u32 s1, s10, s7
	s_add_i32 s1, s1, s0
	s_mul_i32 s0, s10, s7
	s_lshl_b64 s[0:1], s[0:1], 3
	s_add_u32 s0, s8, s0
	s_addc_u32 s1, s9, s1
	s_load_dwordx2 s[2:3], s[0:1], 0x0
	s_waitcnt lgkmcnt(0)
	v_cmp_eq_f64_e64 s[0:1], s[2:3], 0
	s_and_b64 vcc, exec, s[0:1]
	s_cbranch_vccnz .LBB64_15
; %bb.1:
	s_load_dwordx4 s[8:11], s[4:5], 0x0
	s_mov_b32 s0, 0
	s_mov_b32 s1, s0
	v_mov_b32_e32 v6, s1
	v_lshlrev_b32_e32 v3, 5, v1
	v_mov_b32_e32 v5, s0
	s_waitcnt lgkmcnt(0)
	v_cmp_gt_i32_e64 s[0:1], s10, v1
	v_cmp_gt_i32_e32 vcc, s10, v0
	v_add_lshl_u32 v4, v3, v0, 3
	s_and_b64 s[0:1], s[0:1], vcc
	v_lshlrev_b32_e32 v2, 3, v0
	ds_write2st64_b64 v4, v[5:6], v[5:6] offset1:16
	s_waitcnt lgkmcnt(0)
	s_barrier
	s_and_saveexec_b64 s[24:25], s[0:1]
	s_cbranch_execz .LBB64_3
; %bb.2:
	v_mad_u64_u32 v[5:6], s[0:1], s14, v1, 0
	s_mul_i32 s10, s17, s7
	s_mul_hi_u32 s0, s16, s7
	v_mad_u64_u32 v[6:7], s[14:15], s15, v1, v[6:7]
	s_add_i32 s1, s0, s10
	s_mul_i32 s0, s16, s7
	s_lshl_b64 s[0:1], s[0:1], 3
	s_add_u32 s0, s12, s0
	v_lshlrev_b64 v[5:6], 3, v[5:6]
	s_addc_u32 s1, s13, s1
	v_mov_b32_e32 v7, s1
	v_add_co_u32_e64 v5, s[0:1], s0, v5
	v_addc_co_u32_e64 v6, s[0:1], v7, v6, s[0:1]
	v_add_co_u32_e64 v5, s[0:1], v5, v2
	v_addc_co_u32_e64 v6, s[0:1], 0, v6, s[0:1]
	global_load_dwordx2 v[5:6], v[5:6], off
	v_lshlrev_b32_e32 v7, 3, v1
	v_lshl_add_u32 v7, v0, 8, v7
	s_waitcnt vmcnt(0)
	ds_write_b64 v7, v[5:6]
.LBB64_3:
	s_or_b64 exec, exec, s[24:25]
	s_add_i32 s0, s11, -1
	s_ashr_i32 s1, s0, 31
	s_lshr_b32 s1, s1, 27
	s_add_i32 s0, s0, s1
	s_ashr_i32 s1, s0, 5
	s_andn2_b32 s0, s0, 31
	s_sub_i32 s0, s11, s0
	s_cmp_ge_i32 s6, s1
	s_cselect_b32 s0, s0, 32
	s_lshl_b32 s6, s6, 5
	v_cmp_gt_i32_e64 s[0:1], s0, v1
	s_ashr_i32 s12, s6, 31
	s_and_b64 s[0:1], vcc, s[0:1]
	s_and_saveexec_b64 s[10:11], s[0:1]
	s_cbranch_execz .LBB64_5
; %bb.4:
	s_mul_i32 s13, s23, s7
	s_mul_hi_u32 s14, s22, s7
	s_add_i32 s15, s14, s13
	s_mul_i32 s14, s22, s7
	s_lshl_b64 s[14:15], s[14:15], 3
	s_add_u32 s13, s18, s14
	s_addc_u32 s18, s19, s15
	s_mul_i32 s14, s20, s12
	s_mul_hi_u32 s15, s20, s6
	s_add_i32 s16, s15, s14
	v_mad_u64_u32 v[5:6], s[14:15], s20, v1, 0
	s_mul_i32 s14, s21, s6
	s_add_i32 s15, s16, s14
	v_mad_u64_u32 v[6:7], s[16:17], s21, v1, v[6:7]
	s_mul_i32 s14, s20, s6
	s_lshl_b64 s[14:15], s[14:15], 3
	s_add_u32 s13, s13, s14
	v_lshlrev_b64 v[5:6], 3, v[5:6]
	s_addc_u32 s14, s18, s15
	v_mov_b32_e32 v7, s14
	v_add_co_u32_e32 v5, vcc, s13, v5
	v_addc_co_u32_e32 v6, vcc, v7, v6, vcc
	v_add_co_u32_e32 v5, vcc, v5, v2
	v_addc_co_u32_e32 v6, vcc, 0, v6, vcc
	global_load_dwordx2 v[5:6], v[5:6], off
	v_add_u32_e32 v7, 0x2000, v4
	s_waitcnt vmcnt(0)
	ds_write_b64 v7, v[5:6]
.LBB64_5:
	s_or_b64 exec, exec, s[10:11]
	s_cmpk_eq_i32 s9, 0x84
	s_cselect_b64 s[10:11], -1, 0
	v_cmp_eq_u32_e32 vcc, v1, v0
	s_and_b64 s[14:15], vcc, s[10:11]
	s_and_saveexec_b64 s[10:11], s[14:15]
; %bb.6:
	v_mov_b32_e32 v5, 0
	v_mov_b32_e32 v6, 0x3ff00000
	ds_write_b64 v4, v[5:6]
; %bb.7:
	s_or_b64 exec, exec, s[10:11]
	s_cmpk_lg_i32 s8, 0x7a
	s_waitcnt lgkmcnt(0)
	s_barrier
	s_cbranch_scc0 .LBB64_9
; %bb.8:
	v_cmp_lt_u32_e32 vcc, v0, v1
	s_and_b64 s[8:9], vcc, exec
	s_cbranch_execz .LBB64_10
	s_branch .LBB64_11
.LBB64_9:
	s_mov_b64 s[8:9], 0
.LBB64_10:
	v_cmp_gt_u32_e32 vcc, v0, v1
	s_andn2_b64 s[8:9], s[8:9], exec
	s_and_b64 s[10:11], vcc, exec
	s_or_b64 s[8:9], s[8:9], s[10:11]
.LBB64_11:
	s_and_saveexec_b64 s[10:11], s[8:9]
; %bb.12:
	v_mov_b32_e32 v5, 0
	v_mov_b32_e32 v6, v5
	ds_write_b64 v4, v[5:6]
; %bb.13:
	s_or_b64 exec, exec, s[10:11]
	s_waitcnt lgkmcnt(0)
	s_barrier
	s_and_saveexec_b64 s[8:9], s[0:1]
	s_cbranch_execz .LBB64_15
; %bb.14:
	ds_read2_b64 v[4:7], v2 offset1:32
	v_lshlrev_b32_e32 v0, 3, v3
	ds_read_b128 v[8:11], v0 offset:8192
	ds_read_b128 v[12:15], v0 offset:8208
	v_add_u32_e32 v17, 0x800, v2
	s_waitcnt lgkmcnt(1)
	v_fma_f64 v[3:4], v[4:5], v[8:9], 0
	v_fma_f64 v[7:8], v[6:7], v[10:11], v[3:4]
	ds_read2_b64 v[3:6], v2 offset0:64 offset1:96
	s_waitcnt lgkmcnt(0)
	v_fma_f64 v[3:4], v[3:4], v[12:13], v[7:8]
	v_fma_f64 v[15:16], v[5:6], v[14:15], v[3:4]
	ds_read2_b64 v[3:6], v2 offset0:128 offset1:160
	ds_read_b128 v[7:10], v0 offset:8224
	ds_read_b128 v[11:14], v0 offset:8240
	s_waitcnt lgkmcnt(1)
	v_fma_f64 v[3:4], v[3:4], v[7:8], v[15:16]
	v_fma_f64 v[7:8], v[5:6], v[9:10], v[3:4]
	ds_read2_b64 v[3:6], v2 offset0:192 offset1:224
	s_waitcnt lgkmcnt(0)
	v_fma_f64 v[3:4], v[3:4], v[11:12], v[7:8]
	v_fma_f64 v[15:16], v[5:6], v[13:14], v[3:4]
	ds_read2_b64 v[3:6], v17 offset1:32
	ds_read_b128 v[7:10], v0 offset:8256
	ds_read_b128 v[11:14], v0 offset:8272
	s_waitcnt lgkmcnt(1)
	v_fma_f64 v[3:4], v[3:4], v[7:8], v[15:16]
	v_fma_f64 v[7:8], v[5:6], v[9:10], v[3:4]
	ds_read2_b64 v[3:6], v17 offset0:64 offset1:96
	s_waitcnt lgkmcnt(0)
	v_fma_f64 v[3:4], v[3:4], v[11:12], v[7:8]
	v_fma_f64 v[15:16], v[5:6], v[13:14], v[3:4]
	ds_read2_b64 v[3:6], v17 offset0:128 offset1:160
	ds_read_b128 v[7:10], v0 offset:8288
	ds_read_b128 v[11:14], v0 offset:8304
	s_waitcnt lgkmcnt(1)
	v_fma_f64 v[3:4], v[3:4], v[7:8], v[15:16]
	v_fma_f64 v[7:8], v[5:6], v[9:10], v[3:4]
	ds_read2_b64 v[3:6], v17 offset0:192 offset1:224
	v_add_u32_e32 v17, 0x1000, v2
	s_waitcnt lgkmcnt(0)
	v_fma_f64 v[3:4], v[3:4], v[11:12], v[7:8]
	v_fma_f64 v[15:16], v[5:6], v[13:14], v[3:4]
	ds_read2_b64 v[3:6], v17 offset1:32
	ds_read_b128 v[7:10], v0 offset:8320
	ds_read_b128 v[11:14], v0 offset:8336
	s_waitcnt lgkmcnt(1)
	v_fma_f64 v[3:4], v[3:4], v[7:8], v[15:16]
	v_fma_f64 v[7:8], v[5:6], v[9:10], v[3:4]
	ds_read2_b64 v[3:6], v17 offset0:64 offset1:96
	s_waitcnt lgkmcnt(0)
	v_fma_f64 v[3:4], v[3:4], v[11:12], v[7:8]
	v_fma_f64 v[15:16], v[5:6], v[13:14], v[3:4]
	ds_read2_b64 v[3:6], v17 offset0:128 offset1:160
	ds_read_b128 v[7:10], v0 offset:8352
	ds_read_b128 v[11:14], v0 offset:8368
	s_waitcnt lgkmcnt(1)
	v_fma_f64 v[3:4], v[3:4], v[7:8], v[15:16]
	v_fma_f64 v[7:8], v[5:6], v[9:10], v[3:4]
	ds_read2_b64 v[3:6], v17 offset0:192 offset1:224
	v_add_u32_e32 v17, 0x1800, v2
	s_waitcnt lgkmcnt(0)
	v_fma_f64 v[3:4], v[3:4], v[11:12], v[7:8]
	v_fma_f64 v[15:16], v[5:6], v[13:14], v[3:4]
	ds_read2_b64 v[3:6], v17 offset1:32
	ds_read_b128 v[7:10], v0 offset:8384
	ds_read_b128 v[11:14], v0 offset:8400
	s_waitcnt lgkmcnt(1)
	v_fma_f64 v[3:4], v[3:4], v[7:8], v[15:16]
	v_fma_f64 v[7:8], v[5:6], v[9:10], v[3:4]
	ds_read2_b64 v[3:6], v17 offset0:64 offset1:96
	s_waitcnt lgkmcnt(0)
	v_fma_f64 v[3:4], v[3:4], v[11:12], v[7:8]
	v_fma_f64 v[15:16], v[5:6], v[13:14], v[3:4]
	ds_read2_b64 v[3:6], v17 offset0:128 offset1:160
	ds_read_b128 v[7:10], v0 offset:8416
	ds_read_b128 v[11:14], v0 offset:8432
	s_load_dwordx2 s[0:1], s[4:5], 0x60
	s_load_dwordx4 s[8:11], s[4:5], 0x50
	s_waitcnt lgkmcnt(0)
	s_mul_i32 s1, s1, s7
	s_mul_hi_u32 s5, s0, s7
	v_fma_f64 v[3:4], v[3:4], v[7:8], v[15:16]
	ds_read2_b64 v[15:18], v17 offset0:192 offset1:224
	s_mul_i32 s0, s0, s7
	s_mul_hi_u32 s13, s10, s6
	s_mul_i32 s14, s11, s6
	s_mul_i32 s4, s10, s6
	s_add_i32 s1, s5, s1
	s_lshl_b64 s[0:1], s[0:1], 3
	v_fma_f64 v[3:4], v[5:6], v[9:10], v[3:4]
	v_mad_u64_u32 v[5:6], s[6:7], s10, v1, 0
	s_mul_i32 s12, s10, s12
	s_add_u32 s6, s8, s0
	s_addc_u32 s7, s9, s1
	s_add_i32 s0, s13, s12
	v_mov_b32_e32 v0, v6
	s_waitcnt lgkmcnt(0)
	v_fma_f64 v[3:4], v[15:16], v[11:12], v[3:4]
	s_add_i32 s5, s0, s14
	v_mad_u64_u32 v[0:1], s[0:1], s11, v1, v[0:1]
	s_lshl_b64 s[0:1], s[4:5], 3
	s_add_u32 s0, s6, s0
	v_mov_b32_e32 v6, v0
	v_lshlrev_b64 v[0:1], 3, v[5:6]
	v_fma_f64 v[3:4], v[17:18], v[13:14], v[3:4]
	s_addc_u32 s1, s7, s1
	v_mov_b32_e32 v7, s1
	v_add_co_u32_e32 v0, vcc, s0, v0
	v_addc_co_u32_e32 v1, vcc, v7, v1, vcc
	v_add_co_u32_e32 v0, vcc, v0, v2
	v_mul_f64 v[3:4], s[2:3], v[3:4]
	v_addc_co_u32_e32 v1, vcc, 0, v1, vcc
	global_store_dwordx2 v[0:1], v[3:4], off
.LBB64_15:
	s_endpgm
	.section	.rodata,"a",@progbits
	.p2align	6, 0x0
	.amdhsa_kernel _ZL23rocblas_trmm_lTx_kernelILi32ELb1EdPKdS0_dEv13rocblas_fill_17rocblas_diagonal_iiT2_lPT3_llS6_llPT4_lli
		.amdhsa_group_segment_fixed_size 16384
		.amdhsa_private_segment_fixed_size 0
		.amdhsa_kernarg_size 108
		.amdhsa_user_sgpr_count 6
		.amdhsa_user_sgpr_private_segment_buffer 1
		.amdhsa_user_sgpr_dispatch_ptr 0
		.amdhsa_user_sgpr_queue_ptr 0
		.amdhsa_user_sgpr_kernarg_segment_ptr 1
		.amdhsa_user_sgpr_dispatch_id 0
		.amdhsa_user_sgpr_flat_scratch_init 0
		.amdhsa_user_sgpr_private_segment_size 0
		.amdhsa_uses_dynamic_stack 0
		.amdhsa_system_sgpr_private_segment_wavefront_offset 0
		.amdhsa_system_sgpr_workgroup_id_x 1
		.amdhsa_system_sgpr_workgroup_id_y 0
		.amdhsa_system_sgpr_workgroup_id_z 1
		.amdhsa_system_sgpr_workgroup_info 0
		.amdhsa_system_vgpr_workitem_id 1
		.amdhsa_next_free_vgpr 29
		.amdhsa_next_free_sgpr 61
		.amdhsa_reserve_vcc 1
		.amdhsa_reserve_flat_scratch 0
		.amdhsa_float_round_mode_32 0
		.amdhsa_float_round_mode_16_64 0
		.amdhsa_float_denorm_mode_32 3
		.amdhsa_float_denorm_mode_16_64 3
		.amdhsa_dx10_clamp 1
		.amdhsa_ieee_mode 1
		.amdhsa_fp16_overflow 0
		.amdhsa_exception_fp_ieee_invalid_op 0
		.amdhsa_exception_fp_denorm_src 0
		.amdhsa_exception_fp_ieee_div_zero 0
		.amdhsa_exception_fp_ieee_overflow 0
		.amdhsa_exception_fp_ieee_underflow 0
		.amdhsa_exception_fp_ieee_inexact 0
		.amdhsa_exception_int_div_zero 0
	.end_amdhsa_kernel
	.section	.text._ZL23rocblas_trmm_lTx_kernelILi32ELb1EdPKdS0_dEv13rocblas_fill_17rocblas_diagonal_iiT2_lPT3_llS6_llPT4_lli,"axG",@progbits,_ZL23rocblas_trmm_lTx_kernelILi32ELb1EdPKdS0_dEv13rocblas_fill_17rocblas_diagonal_iiT2_lPT3_llS6_llPT4_lli,comdat
.Lfunc_end64:
	.size	_ZL23rocblas_trmm_lTx_kernelILi32ELb1EdPKdS0_dEv13rocblas_fill_17rocblas_diagonal_iiT2_lPT3_llS6_llPT4_lli, .Lfunc_end64-_ZL23rocblas_trmm_lTx_kernelILi32ELb1EdPKdS0_dEv13rocblas_fill_17rocblas_diagonal_iiT2_lPT3_llS6_llPT4_lli
                                        ; -- End function
	.set _ZL23rocblas_trmm_lTx_kernelILi32ELb1EdPKdS0_dEv13rocblas_fill_17rocblas_diagonal_iiT2_lPT3_llS6_llPT4_lli.num_vgpr, 19
	.set _ZL23rocblas_trmm_lTx_kernelILi32ELb1EdPKdS0_dEv13rocblas_fill_17rocblas_diagonal_iiT2_lPT3_llS6_llPT4_lli.num_agpr, 0
	.set _ZL23rocblas_trmm_lTx_kernelILi32ELb1EdPKdS0_dEv13rocblas_fill_17rocblas_diagonal_iiT2_lPT3_llS6_llPT4_lli.numbered_sgpr, 26
	.set _ZL23rocblas_trmm_lTx_kernelILi32ELb1EdPKdS0_dEv13rocblas_fill_17rocblas_diagonal_iiT2_lPT3_llS6_llPT4_lli.num_named_barrier, 0
	.set _ZL23rocblas_trmm_lTx_kernelILi32ELb1EdPKdS0_dEv13rocblas_fill_17rocblas_diagonal_iiT2_lPT3_llS6_llPT4_lli.private_seg_size, 0
	.set _ZL23rocblas_trmm_lTx_kernelILi32ELb1EdPKdS0_dEv13rocblas_fill_17rocblas_diagonal_iiT2_lPT3_llS6_llPT4_lli.uses_vcc, 1
	.set _ZL23rocblas_trmm_lTx_kernelILi32ELb1EdPKdS0_dEv13rocblas_fill_17rocblas_diagonal_iiT2_lPT3_llS6_llPT4_lli.uses_flat_scratch, 0
	.set _ZL23rocblas_trmm_lTx_kernelILi32ELb1EdPKdS0_dEv13rocblas_fill_17rocblas_diagonal_iiT2_lPT3_llS6_llPT4_lli.has_dyn_sized_stack, 0
	.set _ZL23rocblas_trmm_lTx_kernelILi32ELb1EdPKdS0_dEv13rocblas_fill_17rocblas_diagonal_iiT2_lPT3_llS6_llPT4_lli.has_recursion, 0
	.set _ZL23rocblas_trmm_lTx_kernelILi32ELb1EdPKdS0_dEv13rocblas_fill_17rocblas_diagonal_iiT2_lPT3_llS6_llPT4_lli.has_indirect_call, 0
	.section	.AMDGPU.csdata,"",@progbits
; Kernel info:
; codeLenInByte = 1372
; TotalNumSgprs: 30
; NumVgprs: 19
; ScratchSize: 0
; MemoryBound: 0
; FloatMode: 240
; IeeeMode: 1
; LDSByteSize: 16384 bytes/workgroup (compile time only)
; SGPRBlocks: 8
; VGPRBlocks: 7
; NumSGPRsForWavesPerEU: 65
; NumVGPRsForWavesPerEU: 29
; Occupancy: 8
; WaveLimiterHint : 0
; COMPUTE_PGM_RSRC2:SCRATCH_EN: 0
; COMPUTE_PGM_RSRC2:USER_SGPR: 6
; COMPUTE_PGM_RSRC2:TRAP_HANDLER: 0
; COMPUTE_PGM_RSRC2:TGID_X_EN: 1
; COMPUTE_PGM_RSRC2:TGID_Y_EN: 0
; COMPUTE_PGM_RSRC2:TGID_Z_EN: 1
; COMPUTE_PGM_RSRC2:TIDIG_COMP_CNT: 1
	.section	.text._ZL23rocblas_trmm_lTx_kernelILi32ELb1EddKddEv13rocblas_fill_17rocblas_diagonal_iiT2_lPT3_llS5_llPT4_lli,"axG",@progbits,_ZL23rocblas_trmm_lTx_kernelILi32ELb1EddKddEv13rocblas_fill_17rocblas_diagonal_iiT2_lPT3_llS5_llPT4_lli,comdat
	.globl	_ZL23rocblas_trmm_lTx_kernelILi32ELb1EddKddEv13rocblas_fill_17rocblas_diagonal_iiT2_lPT3_llS5_llPT4_lli ; -- Begin function _ZL23rocblas_trmm_lTx_kernelILi32ELb1EddKddEv13rocblas_fill_17rocblas_diagonal_iiT2_lPT3_llS5_llPT4_lli
	.p2align	8
	.type	_ZL23rocblas_trmm_lTx_kernelILi32ELb1EddKddEv13rocblas_fill_17rocblas_diagonal_iiT2_lPT3_llS5_llPT4_lli,@function
_ZL23rocblas_trmm_lTx_kernelILi32ELb1EddKddEv13rocblas_fill_17rocblas_diagonal_iiT2_lPT3_llS5_llPT4_lli: ; @_ZL23rocblas_trmm_lTx_kernelILi32ELb1EddKddEv13rocblas_fill_17rocblas_diagonal_iiT2_lPT3_llS5_llPT4_lli
; %bb.0:
	s_load_dwordx2 s[2:3], s[4:5], 0x10
	s_waitcnt lgkmcnt(0)
	v_cmp_eq_f64_e64 s[0:1], s[2:3], 0
	s_and_b64 vcc, exec, s[0:1]
	s_cbranch_vccnz .LBB65_15
; %bb.1:
	s_load_dwordx4 s[24:27], s[4:5], 0x0
	s_load_dwordx16 s[8:23], s[4:5], 0x20
	s_mov_b32 s0, 0
	s_mov_b32 s1, s0
	v_mov_b32_e32 v6, s1
	v_lshlrev_b32_e32 v3, 5, v1
	v_mov_b32_e32 v5, s0
	s_waitcnt lgkmcnt(0)
	v_cmp_gt_i32_e64 s[0:1], s26, v1
	v_cmp_gt_i32_e32 vcc, s26, v0
	v_add_lshl_u32 v4, v3, v0, 3
	s_and_b64 s[0:1], s[0:1], vcc
	v_lshlrev_b32_e32 v2, 3, v0
	ds_write2st64_b64 v4, v[5:6], v[5:6] offset1:16
	s_waitcnt lgkmcnt(0)
	s_barrier
	s_and_saveexec_b64 s[28:29], s[0:1]
	s_cbranch_execz .LBB65_3
; %bb.2:
	v_mad_u64_u32 v[5:6], s[0:1], s10, v1, 0
	s_mul_i32 s13, s13, s7
	s_mul_hi_u32 s0, s12, s7
	v_mad_u64_u32 v[6:7], s[10:11], s11, v1, v[6:7]
	s_add_i32 s1, s0, s13
	s_mul_i32 s0, s12, s7
	s_lshl_b64 s[0:1], s[0:1], 3
	s_add_u32 s0, s8, s0
	v_lshlrev_b64 v[5:6], 3, v[5:6]
	s_addc_u32 s1, s9, s1
	v_mov_b32_e32 v7, s1
	v_add_co_u32_e64 v5, s[0:1], s0, v5
	v_addc_co_u32_e64 v6, s[0:1], v7, v6, s[0:1]
	v_add_co_u32_e64 v5, s[0:1], v5, v2
	v_addc_co_u32_e64 v6, s[0:1], 0, v6, s[0:1]
	global_load_dwordx2 v[5:6], v[5:6], off
	v_lshlrev_b32_e32 v7, 3, v1
	v_lshl_add_u32 v7, v0, 8, v7
	s_waitcnt vmcnt(0)
	ds_write_b64 v7, v[5:6]
.LBB65_3:
	s_or_b64 exec, exec, s[28:29]
	s_add_i32 s0, s27, -1
	s_ashr_i32 s1, s0, 31
	s_lshr_b32 s1, s1, 27
	s_add_i32 s0, s0, s1
	s_ashr_i32 s1, s0, 5
	s_andn2_b32 s0, s0, 31
	s_sub_i32 s0, s27, s0
	s_cmp_ge_i32 s6, s1
	s_cselect_b32 s0, s0, 32
	s_lshl_b32 s6, s6, 5
	v_cmp_gt_i32_e64 s[0:1], s0, v1
	s_ashr_i32 s12, s6, 31
	s_and_b64 s[0:1], vcc, s[0:1]
	s_and_saveexec_b64 s[8:9], s[0:1]
	s_cbranch_execz .LBB65_5
; %bb.4:
	s_mul_i32 s10, s19, s7
	s_mul_hi_u32 s11, s18, s7
	s_add_i32 s11, s11, s10
	s_mul_i32 s10, s18, s7
	s_lshl_b64 s[10:11], s[10:11], 3
	s_add_u32 s13, s14, s10
	s_addc_u32 s18, s15, s11
	s_mul_i32 s10, s16, s12
	s_mul_hi_u32 s11, s16, s6
	s_add_i32 s14, s11, s10
	v_mad_u64_u32 v[5:6], s[10:11], s16, v1, 0
	s_mul_i32 s10, s17, s6
	s_add_i32 s11, s14, s10
	v_mad_u64_u32 v[6:7], s[14:15], s17, v1, v[6:7]
	s_mul_i32 s10, s16, s6
	s_lshl_b64 s[10:11], s[10:11], 3
	s_add_u32 s10, s13, s10
	v_lshlrev_b64 v[5:6], 3, v[5:6]
	s_addc_u32 s11, s18, s11
	v_mov_b32_e32 v7, s11
	v_add_co_u32_e32 v5, vcc, s10, v5
	v_addc_co_u32_e32 v6, vcc, v7, v6, vcc
	v_add_co_u32_e32 v5, vcc, v5, v2
	v_addc_co_u32_e32 v6, vcc, 0, v6, vcc
	global_load_dwordx2 v[5:6], v[5:6], off
	v_add_u32_e32 v7, 0x2000, v4
	s_waitcnt vmcnt(0)
	ds_write_b64 v7, v[5:6]
.LBB65_5:
	s_or_b64 exec, exec, s[8:9]
	s_cmpk_eq_i32 s25, 0x84
	s_cselect_b64 s[8:9], -1, 0
	v_cmp_eq_u32_e32 vcc, v1, v0
	s_and_b64 s[10:11], vcc, s[8:9]
	s_and_saveexec_b64 s[8:9], s[10:11]
; %bb.6:
	v_mov_b32_e32 v5, 0
	v_mov_b32_e32 v6, 0x3ff00000
	ds_write_b64 v4, v[5:6]
; %bb.7:
	s_or_b64 exec, exec, s[8:9]
	s_cmpk_lg_i32 s24, 0x7a
	s_waitcnt lgkmcnt(0)
	s_barrier
	s_cbranch_scc0 .LBB65_9
; %bb.8:
	v_cmp_lt_u32_e32 vcc, v0, v1
	s_and_b64 s[8:9], vcc, exec
	s_cbranch_execz .LBB65_10
	s_branch .LBB65_11
.LBB65_9:
	s_mov_b64 s[8:9], 0
.LBB65_10:
	v_cmp_gt_u32_e32 vcc, v0, v1
	s_andn2_b64 s[8:9], s[8:9], exec
	s_and_b64 s[10:11], vcc, exec
	s_or_b64 s[8:9], s[8:9], s[10:11]
.LBB65_11:
	s_and_saveexec_b64 s[10:11], s[8:9]
; %bb.12:
	v_mov_b32_e32 v5, 0
	v_mov_b32_e32 v6, v5
	ds_write_b64 v4, v[5:6]
; %bb.13:
	s_or_b64 exec, exec, s[10:11]
	s_waitcnt lgkmcnt(0)
	s_barrier
	s_and_saveexec_b64 s[8:9], s[0:1]
	s_cbranch_execz .LBB65_15
; %bb.14:
	ds_read2_b64 v[4:7], v2 offset1:32
	v_lshlrev_b32_e32 v0, 3, v3
	ds_read_b128 v[8:11], v0 offset:8192
	ds_read_b128 v[12:15], v0 offset:8208
	v_add_u32_e32 v17, 0x800, v2
	s_load_dwordx2 s[0:1], s[4:5], 0x60
	s_mul_hi_u32 s9, s22, s6
	s_waitcnt lgkmcnt(0)
	v_fma_f64 v[3:4], v[4:5], v[8:9], 0
	s_mul_i32 s8, s22, s12
	s_mul_i32 s1, s1, s7
	s_mul_hi_u32 s10, s0, s7
	s_mul_i32 s0, s0, s7
	s_add_i32 s1, s10, s1
	s_lshl_b64 s[0:1], s[0:1], 3
	v_fma_f64 v[7:8], v[6:7], v[10:11], v[3:4]
	ds_read2_b64 v[3:6], v2 offset0:64 offset1:96
	s_waitcnt lgkmcnt(0)
	v_fma_f64 v[3:4], v[3:4], v[12:13], v[7:8]
	v_fma_f64 v[15:16], v[5:6], v[14:15], v[3:4]
	ds_read2_b64 v[3:6], v2 offset0:128 offset1:160
	ds_read_b128 v[7:10], v0 offset:8224
	ds_read_b128 v[11:14], v0 offset:8240
	s_waitcnt lgkmcnt(1)
	v_fma_f64 v[3:4], v[3:4], v[7:8], v[15:16]
	v_fma_f64 v[7:8], v[5:6], v[9:10], v[3:4]
	ds_read2_b64 v[3:6], v2 offset0:192 offset1:224
	s_waitcnt lgkmcnt(0)
	v_fma_f64 v[3:4], v[3:4], v[11:12], v[7:8]
	v_fma_f64 v[15:16], v[5:6], v[13:14], v[3:4]
	ds_read2_b64 v[3:6], v17 offset1:32
	ds_read_b128 v[7:10], v0 offset:8256
	ds_read_b128 v[11:14], v0 offset:8272
	s_waitcnt lgkmcnt(1)
	v_fma_f64 v[3:4], v[3:4], v[7:8], v[15:16]
	v_fma_f64 v[7:8], v[5:6], v[9:10], v[3:4]
	ds_read2_b64 v[3:6], v17 offset0:64 offset1:96
	s_waitcnt lgkmcnt(0)
	v_fma_f64 v[3:4], v[3:4], v[11:12], v[7:8]
	v_fma_f64 v[15:16], v[5:6], v[13:14], v[3:4]
	ds_read2_b64 v[3:6], v17 offset0:128 offset1:160
	ds_read_b128 v[7:10], v0 offset:8288
	ds_read_b128 v[11:14], v0 offset:8304
	s_waitcnt lgkmcnt(1)
	v_fma_f64 v[3:4], v[3:4], v[7:8], v[15:16]
	v_fma_f64 v[7:8], v[5:6], v[9:10], v[3:4]
	ds_read2_b64 v[3:6], v17 offset0:192 offset1:224
	v_add_u32_e32 v17, 0x1000, v2
	s_waitcnt lgkmcnt(0)
	v_fma_f64 v[3:4], v[3:4], v[11:12], v[7:8]
	v_fma_f64 v[15:16], v[5:6], v[13:14], v[3:4]
	ds_read2_b64 v[3:6], v17 offset1:32
	ds_read_b128 v[7:10], v0 offset:8320
	ds_read_b128 v[11:14], v0 offset:8336
	s_waitcnt lgkmcnt(1)
	v_fma_f64 v[3:4], v[3:4], v[7:8], v[15:16]
	v_fma_f64 v[7:8], v[5:6], v[9:10], v[3:4]
	ds_read2_b64 v[3:6], v17 offset0:64 offset1:96
	s_waitcnt lgkmcnt(0)
	v_fma_f64 v[3:4], v[3:4], v[11:12], v[7:8]
	v_fma_f64 v[15:16], v[5:6], v[13:14], v[3:4]
	ds_read2_b64 v[3:6], v17 offset0:128 offset1:160
	ds_read_b128 v[7:10], v0 offset:8352
	ds_read_b128 v[11:14], v0 offset:8368
	s_waitcnt lgkmcnt(1)
	v_fma_f64 v[3:4], v[3:4], v[7:8], v[15:16]
	v_fma_f64 v[7:8], v[5:6], v[9:10], v[3:4]
	ds_read2_b64 v[3:6], v17 offset0:192 offset1:224
	v_add_u32_e32 v17, 0x1800, v2
	s_waitcnt lgkmcnt(0)
	v_fma_f64 v[3:4], v[3:4], v[11:12], v[7:8]
	v_fma_f64 v[15:16], v[5:6], v[13:14], v[3:4]
	ds_read2_b64 v[3:6], v17 offset1:32
	ds_read_b128 v[7:10], v0 offset:8384
	ds_read_b128 v[11:14], v0 offset:8400
	s_waitcnt lgkmcnt(1)
	v_fma_f64 v[3:4], v[3:4], v[7:8], v[15:16]
	v_fma_f64 v[7:8], v[5:6], v[9:10], v[3:4]
	ds_read2_b64 v[3:6], v17 offset0:64 offset1:96
	s_waitcnt lgkmcnt(0)
	v_fma_f64 v[3:4], v[3:4], v[11:12], v[7:8]
	v_fma_f64 v[15:16], v[5:6], v[13:14], v[3:4]
	ds_read2_b64 v[3:6], v17 offset0:128 offset1:160
	ds_read_b128 v[7:10], v0 offset:8416
	ds_read_b128 v[11:14], v0 offset:8432
	s_waitcnt lgkmcnt(1)
	v_fma_f64 v[3:4], v[3:4], v[7:8], v[15:16]
	v_mad_u64_u32 v[7:8], s[4:5], s22, v1, 0
	s_mul_i32 s5, s23, s6
	s_mul_i32 s4, s22, s6
	v_mov_b32_e32 v0, v8
	v_mad_u64_u32 v[0:1], s[6:7], s23, v1, v[0:1]
	v_fma_f64 v[9:10], v[5:6], v[9:10], v[3:4]
	ds_read2_b64 v[3:6], v17 offset0:192 offset1:224
	s_add_u32 s6, s20, s0
	s_addc_u32 s7, s21, s1
	s_add_i32 s0, s9, s8
	s_add_i32 s5, s0, s5
	v_mov_b32_e32 v8, v0
	s_lshl_b64 s[0:1], s[4:5], 3
	s_waitcnt lgkmcnt(0)
	v_fma_f64 v[3:4], v[3:4], v[11:12], v[9:10]
	v_lshlrev_b64 v[0:1], 3, v[7:8]
	s_add_u32 s0, s6, s0
	s_addc_u32 s1, s7, s1
	v_add_co_u32_e32 v0, vcc, s0, v0
	v_fma_f64 v[3:4], v[5:6], v[13:14], v[3:4]
	v_mov_b32_e32 v5, s1
	v_addc_co_u32_e32 v1, vcc, v5, v1, vcc
	v_add_co_u32_e32 v0, vcc, v0, v2
	v_addc_co_u32_e32 v1, vcc, 0, v1, vcc
	v_mul_f64 v[3:4], s[2:3], v[3:4]
	global_store_dwordx2 v[0:1], v[3:4], off
.LBB65_15:
	s_endpgm
	.section	.rodata,"a",@progbits
	.p2align	6, 0x0
	.amdhsa_kernel _ZL23rocblas_trmm_lTx_kernelILi32ELb1EddKddEv13rocblas_fill_17rocblas_diagonal_iiT2_lPT3_llS5_llPT4_lli
		.amdhsa_group_segment_fixed_size 16384
		.amdhsa_private_segment_fixed_size 0
		.amdhsa_kernarg_size 108
		.amdhsa_user_sgpr_count 6
		.amdhsa_user_sgpr_private_segment_buffer 1
		.amdhsa_user_sgpr_dispatch_ptr 0
		.amdhsa_user_sgpr_queue_ptr 0
		.amdhsa_user_sgpr_kernarg_segment_ptr 1
		.amdhsa_user_sgpr_dispatch_id 0
		.amdhsa_user_sgpr_flat_scratch_init 0
		.amdhsa_user_sgpr_private_segment_size 0
		.amdhsa_uses_dynamic_stack 0
		.amdhsa_system_sgpr_private_segment_wavefront_offset 0
		.amdhsa_system_sgpr_workgroup_id_x 1
		.amdhsa_system_sgpr_workgroup_id_y 0
		.amdhsa_system_sgpr_workgroup_id_z 1
		.amdhsa_system_sgpr_workgroup_info 0
		.amdhsa_system_vgpr_workitem_id 1
		.amdhsa_next_free_vgpr 29
		.amdhsa_next_free_sgpr 61
		.amdhsa_reserve_vcc 1
		.amdhsa_reserve_flat_scratch 0
		.amdhsa_float_round_mode_32 0
		.amdhsa_float_round_mode_16_64 0
		.amdhsa_float_denorm_mode_32 3
		.amdhsa_float_denorm_mode_16_64 3
		.amdhsa_dx10_clamp 1
		.amdhsa_ieee_mode 1
		.amdhsa_fp16_overflow 0
		.amdhsa_exception_fp_ieee_invalid_op 0
		.amdhsa_exception_fp_denorm_src 0
		.amdhsa_exception_fp_ieee_div_zero 0
		.amdhsa_exception_fp_ieee_overflow 0
		.amdhsa_exception_fp_ieee_underflow 0
		.amdhsa_exception_fp_ieee_inexact 0
		.amdhsa_exception_int_div_zero 0
	.end_amdhsa_kernel
	.section	.text._ZL23rocblas_trmm_lTx_kernelILi32ELb1EddKddEv13rocblas_fill_17rocblas_diagonal_iiT2_lPT3_llS5_llPT4_lli,"axG",@progbits,_ZL23rocblas_trmm_lTx_kernelILi32ELb1EddKddEv13rocblas_fill_17rocblas_diagonal_iiT2_lPT3_llS5_llPT4_lli,comdat
.Lfunc_end65:
	.size	_ZL23rocblas_trmm_lTx_kernelILi32ELb1EddKddEv13rocblas_fill_17rocblas_diagonal_iiT2_lPT3_llS5_llPT4_lli, .Lfunc_end65-_ZL23rocblas_trmm_lTx_kernelILi32ELb1EddKddEv13rocblas_fill_17rocblas_diagonal_iiT2_lPT3_llS5_llPT4_lli
                                        ; -- End function
	.set _ZL23rocblas_trmm_lTx_kernelILi32ELb1EddKddEv13rocblas_fill_17rocblas_diagonal_iiT2_lPT3_llS5_llPT4_lli.num_vgpr, 18
	.set _ZL23rocblas_trmm_lTx_kernelILi32ELb1EddKddEv13rocblas_fill_17rocblas_diagonal_iiT2_lPT3_llS5_llPT4_lli.num_agpr, 0
	.set _ZL23rocblas_trmm_lTx_kernelILi32ELb1EddKddEv13rocblas_fill_17rocblas_diagonal_iiT2_lPT3_llS5_llPT4_lli.numbered_sgpr, 30
	.set _ZL23rocblas_trmm_lTx_kernelILi32ELb1EddKddEv13rocblas_fill_17rocblas_diagonal_iiT2_lPT3_llS5_llPT4_lli.num_named_barrier, 0
	.set _ZL23rocblas_trmm_lTx_kernelILi32ELb1EddKddEv13rocblas_fill_17rocblas_diagonal_iiT2_lPT3_llS5_llPT4_lli.private_seg_size, 0
	.set _ZL23rocblas_trmm_lTx_kernelILi32ELb1EddKddEv13rocblas_fill_17rocblas_diagonal_iiT2_lPT3_llS5_llPT4_lli.uses_vcc, 1
	.set _ZL23rocblas_trmm_lTx_kernelILi32ELb1EddKddEv13rocblas_fill_17rocblas_diagonal_iiT2_lPT3_llS5_llPT4_lli.uses_flat_scratch, 0
	.set _ZL23rocblas_trmm_lTx_kernelILi32ELb1EddKddEv13rocblas_fill_17rocblas_diagonal_iiT2_lPT3_llS5_llPT4_lli.has_dyn_sized_stack, 0
	.set _ZL23rocblas_trmm_lTx_kernelILi32ELb1EddKddEv13rocblas_fill_17rocblas_diagonal_iiT2_lPT3_llS5_llPT4_lli.has_recursion, 0
	.set _ZL23rocblas_trmm_lTx_kernelILi32ELb1EddKddEv13rocblas_fill_17rocblas_diagonal_iiT2_lPT3_llS5_llPT4_lli.has_indirect_call, 0
	.section	.AMDGPU.csdata,"",@progbits
; Kernel info:
; codeLenInByte = 1332
; TotalNumSgprs: 34
; NumVgprs: 18
; ScratchSize: 0
; MemoryBound: 0
; FloatMode: 240
; IeeeMode: 1
; LDSByteSize: 16384 bytes/workgroup (compile time only)
; SGPRBlocks: 8
; VGPRBlocks: 7
; NumSGPRsForWavesPerEU: 65
; NumVGPRsForWavesPerEU: 29
; Occupancy: 8
; WaveLimiterHint : 0
; COMPUTE_PGM_RSRC2:SCRATCH_EN: 0
; COMPUTE_PGM_RSRC2:USER_SGPR: 6
; COMPUTE_PGM_RSRC2:TRAP_HANDLER: 0
; COMPUTE_PGM_RSRC2:TGID_X_EN: 1
; COMPUTE_PGM_RSRC2:TGID_Y_EN: 0
; COMPUTE_PGM_RSRC2:TGID_Z_EN: 1
; COMPUTE_PGM_RSRC2:TIDIG_COMP_CNT: 1
	.section	.text._ZL23rocblas_trmm_rNx_kernelILi32EdPKdS0_dEv13rocblas_fill_17rocblas_diagonal_iiT1_lPT2_llS6_llPT3_lli,"axG",@progbits,_ZL23rocblas_trmm_rNx_kernelILi32EdPKdS0_dEv13rocblas_fill_17rocblas_diagonal_iiT1_lPT2_llS6_llPT3_lli,comdat
	.globl	_ZL23rocblas_trmm_rNx_kernelILi32EdPKdS0_dEv13rocblas_fill_17rocblas_diagonal_iiT1_lPT2_llS6_llPT3_lli ; -- Begin function _ZL23rocblas_trmm_rNx_kernelILi32EdPKdS0_dEv13rocblas_fill_17rocblas_diagonal_iiT1_lPT2_llS6_llPT3_lli
	.p2align	8
	.type	_ZL23rocblas_trmm_rNx_kernelILi32EdPKdS0_dEv13rocblas_fill_17rocblas_diagonal_iiT1_lPT2_llS6_llPT3_lli,@function
_ZL23rocblas_trmm_rNx_kernelILi32EdPKdS0_dEv13rocblas_fill_17rocblas_diagonal_iiT1_lPT2_llS6_llPT3_lli: ; @_ZL23rocblas_trmm_rNx_kernelILi32EdPKdS0_dEv13rocblas_fill_17rocblas_diagonal_iiT1_lPT2_llS6_llPT3_lli
; %bb.0:
	s_load_dwordx16 s[8:23], s[4:5], 0x10
	s_waitcnt lgkmcnt(0)
	s_mul_i32 s0, s11, s7
	s_mul_hi_u32 s1, s10, s7
	s_add_i32 s1, s1, s0
	s_mul_i32 s0, s10, s7
	s_lshl_b64 s[0:1], s[0:1], 3
	s_add_u32 s0, s8, s0
	s_addc_u32 s1, s9, s1
	s_load_dwordx2 s[2:3], s[0:1], 0x0
	s_waitcnt lgkmcnt(0)
	v_cmp_eq_f64_e64 s[0:1], s[2:3], 0
	s_and_b64 vcc, exec, s[0:1]
	s_cbranch_vccnz .LBB66_15
; %bb.1:
	s_load_dwordx4 s[8:11], s[4:5], 0x0
	s_mov_b32 s0, 0
	s_mov_b32 s1, s0
	v_mov_b32_e32 v6, s1
	v_lshlrev_b32_e32 v3, 5, v1
	v_mov_b32_e32 v5, s0
	s_waitcnt lgkmcnt(0)
	v_cmp_gt_i32_e32 vcc, s11, v1
	v_cmp_gt_i32_e64 s[0:1], s11, v0
	v_add_lshl_u32 v4, v3, v0, 3
	s_and_b64 s[0:1], vcc, s[0:1]
	v_lshlrev_b32_e32 v2, 3, v0
	ds_write2st64_b64 v4, v[5:6], v[5:6] offset1:16
	s_and_saveexec_b64 s[24:25], s[0:1]
	s_cbranch_execz .LBB66_3
; %bb.2:
	v_mad_u64_u32 v[5:6], s[0:1], s14, v1, 0
	s_mul_i32 s11, s17, s7
	s_mul_hi_u32 s0, s16, s7
	v_mad_u64_u32 v[6:7], s[14:15], s15, v1, v[6:7]
	s_add_i32 s1, s0, s11
	s_mul_i32 s0, s16, s7
	s_lshl_b64 s[0:1], s[0:1], 3
	s_add_u32 s0, s12, s0
	v_lshlrev_b64 v[5:6], 3, v[5:6]
	s_addc_u32 s1, s13, s1
	v_mov_b32_e32 v7, s1
	v_add_co_u32_e64 v5, s[0:1], s0, v5
	v_addc_co_u32_e64 v6, s[0:1], v7, v6, s[0:1]
	v_add_co_u32_e64 v5, s[0:1], v5, v2
	v_addc_co_u32_e64 v6, s[0:1], 0, v6, s[0:1]
	global_load_dwordx2 v[5:6], v[5:6], off
	s_waitcnt vmcnt(0)
	ds_write_b64 v4, v[5:6]
.LBB66_3:
	s_or_b64 exec, exec, s[24:25]
	s_add_i32 s0, s10, -1
	s_ashr_i32 s1, s0, 31
	s_lshr_b32 s1, s1, 27
	s_add_i32 s0, s0, s1
	s_ashr_i32 s1, s0, 5
	s_andn2_b32 s0, s0, 31
	s_sub_i32 s0, s10, s0
	s_cmp_ge_i32 s6, s1
	s_cselect_b32 s0, s0, 32
	s_lshl_b32 s10, s6, 5
	v_cmp_gt_i32_e64 s[0:1], s0, v0
	s_ashr_i32 s11, s10, 31
	s_and_b64 s[0:1], vcc, s[0:1]
	s_and_saveexec_b64 s[12:13], s[0:1]
	s_cbranch_execz .LBB66_5
; %bb.4:
	s_mul_i32 s6, s23, s7
	s_mul_hi_u32 s14, s22, s7
	v_mad_u64_u32 v[5:6], s[16:17], s20, v1, 0
	s_add_i32 s15, s14, s6
	s_mul_i32 s14, s22, s7
	s_lshl_b64 s[14:15], s[14:15], 3
	s_add_u32 s6, s18, s14
	s_addc_u32 s16, s19, s15
	v_mad_u64_u32 v[6:7], s[14:15], s21, v1, v[6:7]
	s_lshl_b64 s[14:15], s[10:11], 3
	s_add_u32 s6, s6, s14
	v_lshlrev_b64 v[5:6], 3, v[5:6]
	s_addc_u32 s14, s16, s15
	v_mov_b32_e32 v7, s14
	v_add_co_u32_e32 v5, vcc, s6, v5
	v_addc_co_u32_e32 v6, vcc, v7, v6, vcc
	v_add_co_u32_e32 v5, vcc, v5, v2
	v_addc_co_u32_e32 v6, vcc, 0, v6, vcc
	global_load_dwordx2 v[5:6], v[5:6], off
	v_add_u32_e32 v7, 0x2000, v4
	s_waitcnt vmcnt(0)
	ds_write_b64 v7, v[5:6]
.LBB66_5:
	s_or_b64 exec, exec, s[12:13]
	s_cmpk_eq_i32 s9, 0x84
	s_cselect_b64 s[12:13], -1, 0
	v_cmp_eq_u32_e32 vcc, v1, v0
	s_and_b64 s[14:15], vcc, s[12:13]
	s_and_saveexec_b64 s[12:13], s[14:15]
; %bb.6:
	v_mov_b32_e32 v5, 0
	v_mov_b32_e32 v6, 0x3ff00000
	ds_write_b64 v4, v[5:6]
; %bb.7:
	s_or_b64 exec, exec, s[12:13]
	s_cmpk_lg_i32 s8, 0x79
	s_cbranch_scc0 .LBB66_9
; %bb.8:
	v_cmp_lt_u32_e32 vcc, v0, v1
	s_and_b64 s[8:9], vcc, exec
	s_cbranch_execz .LBB66_10
	s_branch .LBB66_11
.LBB66_9:
	s_mov_b64 s[8:9], 0
.LBB66_10:
	v_cmp_gt_u32_e32 vcc, v0, v1
	s_andn2_b64 s[8:9], s[8:9], exec
	s_and_b64 s[12:13], vcc, exec
	s_or_b64 s[8:9], s[8:9], s[12:13]
.LBB66_11:
	s_and_saveexec_b64 s[12:13], s[8:9]
; %bb.12:
	v_mov_b32_e32 v5, 0
	v_mov_b32_e32 v6, v5
	ds_write_b64 v4, v[5:6]
; %bb.13:
	s_or_b64 exec, exec, s[12:13]
	s_waitcnt lgkmcnt(0)
	s_barrier
	s_and_saveexec_b64 s[8:9], s[0:1]
	s_cbranch_execz .LBB66_15
; %bb.14:
	v_add_u32_e32 v17, 0x2000, v2
	ds_read2_b64 v[4:7], v17 offset1:32
	v_lshlrev_b32_e32 v0, 3, v3
	ds_read_b128 v[8:11], v0
	ds_read_b128 v[12:15], v0 offset:16
	s_load_dwordx2 s[0:1], s[4:5], 0x60
	s_load_dwordx4 s[12:15], s[4:5], 0x50
	s_waitcnt lgkmcnt(0)
	v_fma_f64 v[3:4], v[4:5], v[8:9], 0
	s_mul_i32 s1, s1, s7
	s_mul_hi_u32 s6, s0, s7
	s_mul_i32 s0, s0, s7
	s_add_i32 s1, s6, s1
	s_lshl_b64 s[0:1], s[0:1], 3
	s_add_u32 s6, s12, s0
	v_fma_f64 v[7:8], v[6:7], v[10:11], v[3:4]
	ds_read2_b64 v[3:6], v17 offset0:64 offset1:96
	s_addc_u32 s7, s13, s1
	s_lshl_b64 s[0:1], s[10:11], 3
	s_add_u32 s0, s6, s0
	s_addc_u32 s1, s7, s1
	s_waitcnt lgkmcnt(0)
	v_fma_f64 v[3:4], v[3:4], v[12:13], v[7:8]
	v_fma_f64 v[15:16], v[5:6], v[14:15], v[3:4]
	ds_read2_b64 v[3:6], v17 offset0:128 offset1:160
	ds_read_b128 v[7:10], v0 offset:32
	ds_read_b128 v[11:14], v0 offset:48
	s_waitcnt lgkmcnt(1)
	v_fma_f64 v[3:4], v[3:4], v[7:8], v[15:16]
	v_fma_f64 v[7:8], v[5:6], v[9:10], v[3:4]
	ds_read2_b64 v[3:6], v17 offset0:192 offset1:224
	v_add_u32_e32 v17, 0x2800, v2
	s_waitcnt lgkmcnt(0)
	v_fma_f64 v[3:4], v[3:4], v[11:12], v[7:8]
	v_fma_f64 v[15:16], v[5:6], v[13:14], v[3:4]
	ds_read2_b64 v[3:6], v17 offset1:32
	ds_read_b128 v[7:10], v0 offset:64
	ds_read_b128 v[11:14], v0 offset:80
	s_waitcnt lgkmcnt(1)
	v_fma_f64 v[3:4], v[3:4], v[7:8], v[15:16]
	v_fma_f64 v[7:8], v[5:6], v[9:10], v[3:4]
	ds_read2_b64 v[3:6], v17 offset0:64 offset1:96
	s_waitcnt lgkmcnt(0)
	v_fma_f64 v[3:4], v[3:4], v[11:12], v[7:8]
	v_fma_f64 v[15:16], v[5:6], v[13:14], v[3:4]
	ds_read2_b64 v[3:6], v17 offset0:128 offset1:160
	ds_read_b128 v[7:10], v0 offset:96
	ds_read_b128 v[11:14], v0 offset:112
	s_waitcnt lgkmcnt(1)
	v_fma_f64 v[3:4], v[3:4], v[7:8], v[15:16]
	v_fma_f64 v[7:8], v[5:6], v[9:10], v[3:4]
	ds_read2_b64 v[3:6], v17 offset0:192 offset1:224
	v_add_u32_e32 v17, 0x3000, v2
	s_waitcnt lgkmcnt(0)
	v_fma_f64 v[3:4], v[3:4], v[11:12], v[7:8]
	v_fma_f64 v[15:16], v[5:6], v[13:14], v[3:4]
	ds_read2_b64 v[3:6], v17 offset1:32
	ds_read_b128 v[7:10], v0 offset:128
	ds_read_b128 v[11:14], v0 offset:144
	s_waitcnt lgkmcnt(1)
	v_fma_f64 v[3:4], v[3:4], v[7:8], v[15:16]
	v_fma_f64 v[7:8], v[5:6], v[9:10], v[3:4]
	ds_read2_b64 v[3:6], v17 offset0:64 offset1:96
	s_waitcnt lgkmcnt(0)
	v_fma_f64 v[3:4], v[3:4], v[11:12], v[7:8]
	v_fma_f64 v[15:16], v[5:6], v[13:14], v[3:4]
	ds_read2_b64 v[3:6], v17 offset0:128 offset1:160
	ds_read_b128 v[7:10], v0 offset:160
	ds_read_b128 v[11:14], v0 offset:176
	s_waitcnt lgkmcnt(1)
	v_fma_f64 v[3:4], v[3:4], v[7:8], v[15:16]
	v_fma_f64 v[7:8], v[5:6], v[9:10], v[3:4]
	ds_read2_b64 v[3:6], v17 offset0:192 offset1:224
	v_add_u32_e32 v17, 0x3800, v2
	s_waitcnt lgkmcnt(0)
	v_fma_f64 v[3:4], v[3:4], v[11:12], v[7:8]
	v_fma_f64 v[15:16], v[5:6], v[13:14], v[3:4]
	ds_read2_b64 v[3:6], v17 offset1:32
	ds_read_b128 v[7:10], v0 offset:192
	ds_read_b128 v[11:14], v0 offset:208
	s_waitcnt lgkmcnt(1)
	v_fma_f64 v[3:4], v[3:4], v[7:8], v[15:16]
	v_fma_f64 v[7:8], v[5:6], v[9:10], v[3:4]
	ds_read2_b64 v[3:6], v17 offset0:64 offset1:96
	s_waitcnt lgkmcnt(0)
	v_fma_f64 v[3:4], v[3:4], v[11:12], v[7:8]
	v_fma_f64 v[15:16], v[5:6], v[13:14], v[3:4]
	ds_read2_b64 v[3:6], v17 offset0:128 offset1:160
	ds_read_b128 v[7:10], v0 offset:224
	ds_read_b128 v[11:14], v0 offset:240
	s_waitcnt lgkmcnt(1)
	v_fma_f64 v[3:4], v[3:4], v[7:8], v[15:16]
	v_fma_f64 v[7:8], v[5:6], v[9:10], v[3:4]
	ds_read2_b64 v[3:6], v17 offset0:192 offset1:224
	s_waitcnt lgkmcnt(0)
	v_fma_f64 v[3:4], v[3:4], v[11:12], v[7:8]
	v_mad_u64_u32 v[7:8], s[4:5], s14, v1, 0
	v_mov_b32_e32 v0, v8
	v_mad_u64_u32 v[0:1], s[4:5], s15, v1, v[0:1]
	v_fma_f64 v[3:4], v[5:6], v[13:14], v[3:4]
	v_mov_b32_e32 v5, s1
	v_mov_b32_e32 v8, v0
	v_lshlrev_b64 v[0:1], 3, v[7:8]
	v_add_co_u32_e32 v0, vcc, s0, v0
	v_addc_co_u32_e32 v1, vcc, v5, v1, vcc
	v_mul_f64 v[3:4], s[2:3], v[3:4]
	v_add_co_u32_e32 v0, vcc, v0, v2
	v_addc_co_u32_e32 v1, vcc, 0, v1, vcc
	global_store_dwordx2 v[0:1], v[3:4], off
.LBB66_15:
	s_endpgm
	.section	.rodata,"a",@progbits
	.p2align	6, 0x0
	.amdhsa_kernel _ZL23rocblas_trmm_rNx_kernelILi32EdPKdS0_dEv13rocblas_fill_17rocblas_diagonal_iiT1_lPT2_llS6_llPT3_lli
		.amdhsa_group_segment_fixed_size 16384
		.amdhsa_private_segment_fixed_size 0
		.amdhsa_kernarg_size 108
		.amdhsa_user_sgpr_count 6
		.amdhsa_user_sgpr_private_segment_buffer 1
		.amdhsa_user_sgpr_dispatch_ptr 0
		.amdhsa_user_sgpr_queue_ptr 0
		.amdhsa_user_sgpr_kernarg_segment_ptr 1
		.amdhsa_user_sgpr_dispatch_id 0
		.amdhsa_user_sgpr_flat_scratch_init 0
		.amdhsa_user_sgpr_private_segment_size 0
		.amdhsa_uses_dynamic_stack 0
		.amdhsa_system_sgpr_private_segment_wavefront_offset 0
		.amdhsa_system_sgpr_workgroup_id_x 1
		.amdhsa_system_sgpr_workgroup_id_y 0
		.amdhsa_system_sgpr_workgroup_id_z 1
		.amdhsa_system_sgpr_workgroup_info 0
		.amdhsa_system_vgpr_workitem_id 1
		.amdhsa_next_free_vgpr 29
		.amdhsa_next_free_sgpr 61
		.amdhsa_reserve_vcc 1
		.amdhsa_reserve_flat_scratch 0
		.amdhsa_float_round_mode_32 0
		.amdhsa_float_round_mode_16_64 0
		.amdhsa_float_denorm_mode_32 3
		.amdhsa_float_denorm_mode_16_64 3
		.amdhsa_dx10_clamp 1
		.amdhsa_ieee_mode 1
		.amdhsa_fp16_overflow 0
		.amdhsa_exception_fp_ieee_invalid_op 0
		.amdhsa_exception_fp_denorm_src 0
		.amdhsa_exception_fp_ieee_div_zero 0
		.amdhsa_exception_fp_ieee_overflow 0
		.amdhsa_exception_fp_ieee_underflow 0
		.amdhsa_exception_fp_ieee_inexact 0
		.amdhsa_exception_int_div_zero 0
	.end_amdhsa_kernel
	.section	.text._ZL23rocblas_trmm_rNx_kernelILi32EdPKdS0_dEv13rocblas_fill_17rocblas_diagonal_iiT1_lPT2_llS6_llPT3_lli,"axG",@progbits,_ZL23rocblas_trmm_rNx_kernelILi32EdPKdS0_dEv13rocblas_fill_17rocblas_diagonal_iiT1_lPT2_llS6_llPT3_lli,comdat
.Lfunc_end66:
	.size	_ZL23rocblas_trmm_rNx_kernelILi32EdPKdS0_dEv13rocblas_fill_17rocblas_diagonal_iiT1_lPT2_llS6_llPT3_lli, .Lfunc_end66-_ZL23rocblas_trmm_rNx_kernelILi32EdPKdS0_dEv13rocblas_fill_17rocblas_diagonal_iiT1_lPT2_llS6_llPT3_lli
                                        ; -- End function
	.set _ZL23rocblas_trmm_rNx_kernelILi32EdPKdS0_dEv13rocblas_fill_17rocblas_diagonal_iiT1_lPT2_llS6_llPT3_lli.num_vgpr, 18
	.set _ZL23rocblas_trmm_rNx_kernelILi32EdPKdS0_dEv13rocblas_fill_17rocblas_diagonal_iiT1_lPT2_llS6_llPT3_lli.num_agpr, 0
	.set _ZL23rocblas_trmm_rNx_kernelILi32EdPKdS0_dEv13rocblas_fill_17rocblas_diagonal_iiT1_lPT2_llS6_llPT3_lli.numbered_sgpr, 26
	.set _ZL23rocblas_trmm_rNx_kernelILi32EdPKdS0_dEv13rocblas_fill_17rocblas_diagonal_iiT1_lPT2_llS6_llPT3_lli.num_named_barrier, 0
	.set _ZL23rocblas_trmm_rNx_kernelILi32EdPKdS0_dEv13rocblas_fill_17rocblas_diagonal_iiT1_lPT2_llS6_llPT3_lli.private_seg_size, 0
	.set _ZL23rocblas_trmm_rNx_kernelILi32EdPKdS0_dEv13rocblas_fill_17rocblas_diagonal_iiT1_lPT2_llS6_llPT3_lli.uses_vcc, 1
	.set _ZL23rocblas_trmm_rNx_kernelILi32EdPKdS0_dEv13rocblas_fill_17rocblas_diagonal_iiT1_lPT2_llS6_llPT3_lli.uses_flat_scratch, 0
	.set _ZL23rocblas_trmm_rNx_kernelILi32EdPKdS0_dEv13rocblas_fill_17rocblas_diagonal_iiT1_lPT2_llS6_llPT3_lli.has_dyn_sized_stack, 0
	.set _ZL23rocblas_trmm_rNx_kernelILi32EdPKdS0_dEv13rocblas_fill_17rocblas_diagonal_iiT1_lPT2_llS6_llPT3_lli.has_recursion, 0
	.set _ZL23rocblas_trmm_rNx_kernelILi32EdPKdS0_dEv13rocblas_fill_17rocblas_diagonal_iiT1_lPT2_llS6_llPT3_lli.has_indirect_call, 0
	.section	.AMDGPU.csdata,"",@progbits
; Kernel info:
; codeLenInByte = 1304
; TotalNumSgprs: 30
; NumVgprs: 18
; ScratchSize: 0
; MemoryBound: 0
; FloatMode: 240
; IeeeMode: 1
; LDSByteSize: 16384 bytes/workgroup (compile time only)
; SGPRBlocks: 8
; VGPRBlocks: 7
; NumSGPRsForWavesPerEU: 65
; NumVGPRsForWavesPerEU: 29
; Occupancy: 8
; WaveLimiterHint : 0
; COMPUTE_PGM_RSRC2:SCRATCH_EN: 0
; COMPUTE_PGM_RSRC2:USER_SGPR: 6
; COMPUTE_PGM_RSRC2:TRAP_HANDLER: 0
; COMPUTE_PGM_RSRC2:TGID_X_EN: 1
; COMPUTE_PGM_RSRC2:TGID_Y_EN: 0
; COMPUTE_PGM_RSRC2:TGID_Z_EN: 1
; COMPUTE_PGM_RSRC2:TIDIG_COMP_CNT: 1
	.section	.text._ZL23rocblas_trmm_rNx_kernelILi32EddKddEv13rocblas_fill_17rocblas_diagonal_iiT1_lPT2_llS5_llPT3_lli,"axG",@progbits,_ZL23rocblas_trmm_rNx_kernelILi32EddKddEv13rocblas_fill_17rocblas_diagonal_iiT1_lPT2_llS5_llPT3_lli,comdat
	.globl	_ZL23rocblas_trmm_rNx_kernelILi32EddKddEv13rocblas_fill_17rocblas_diagonal_iiT1_lPT2_llS5_llPT3_lli ; -- Begin function _ZL23rocblas_trmm_rNx_kernelILi32EddKddEv13rocblas_fill_17rocblas_diagonal_iiT1_lPT2_llS5_llPT3_lli
	.p2align	8
	.type	_ZL23rocblas_trmm_rNx_kernelILi32EddKddEv13rocblas_fill_17rocblas_diagonal_iiT1_lPT2_llS5_llPT3_lli,@function
_ZL23rocblas_trmm_rNx_kernelILi32EddKddEv13rocblas_fill_17rocblas_diagonal_iiT1_lPT2_llS5_llPT3_lli: ; @_ZL23rocblas_trmm_rNx_kernelILi32EddKddEv13rocblas_fill_17rocblas_diagonal_iiT1_lPT2_llS5_llPT3_lli
; %bb.0:
	s_load_dwordx2 s[2:3], s[4:5], 0x10
	s_waitcnt lgkmcnt(0)
	v_cmp_eq_f64_e64 s[0:1], s[2:3], 0
	s_and_b64 vcc, exec, s[0:1]
	s_cbranch_vccnz .LBB67_15
; %bb.1:
	s_load_dwordx4 s[24:27], s[4:5], 0x0
	s_load_dwordx16 s[8:23], s[4:5], 0x20
	s_mov_b32 s0, 0
	s_mov_b32 s1, s0
	v_mov_b32_e32 v6, s1
	v_lshlrev_b32_e32 v3, 5, v1
	v_mov_b32_e32 v5, s0
	s_waitcnt lgkmcnt(0)
	v_cmp_gt_i32_e32 vcc, s27, v1
	v_cmp_gt_i32_e64 s[0:1], s27, v0
	v_add_lshl_u32 v4, v3, v0, 3
	s_and_b64 s[0:1], vcc, s[0:1]
	v_lshlrev_b32_e32 v2, 3, v0
	ds_write2st64_b64 v4, v[5:6], v[5:6] offset1:16
	s_and_saveexec_b64 s[28:29], s[0:1]
	s_cbranch_execz .LBB67_3
; %bb.2:
	v_mad_u64_u32 v[5:6], s[0:1], s10, v1, 0
	s_mul_i32 s13, s13, s7
	s_mul_hi_u32 s0, s12, s7
	v_mad_u64_u32 v[6:7], s[10:11], s11, v1, v[6:7]
	s_add_i32 s1, s0, s13
	s_mul_i32 s0, s12, s7
	s_lshl_b64 s[0:1], s[0:1], 3
	s_add_u32 s0, s8, s0
	v_lshlrev_b64 v[5:6], 3, v[5:6]
	s_addc_u32 s1, s9, s1
	v_mov_b32_e32 v7, s1
	v_add_co_u32_e64 v5, s[0:1], s0, v5
	v_addc_co_u32_e64 v6, s[0:1], v7, v6, s[0:1]
	v_add_co_u32_e64 v5, s[0:1], v5, v2
	v_addc_co_u32_e64 v6, s[0:1], 0, v6, s[0:1]
	global_load_dwordx2 v[5:6], v[5:6], off
	s_waitcnt vmcnt(0)
	ds_write_b64 v4, v[5:6]
.LBB67_3:
	s_or_b64 exec, exec, s[28:29]
	s_add_i32 s0, s26, -1
	s_ashr_i32 s1, s0, 31
	s_lshr_b32 s1, s1, 27
	s_add_i32 s0, s0, s1
	s_ashr_i32 s1, s0, 5
	s_andn2_b32 s0, s0, 31
	s_sub_i32 s0, s26, s0
	s_cmp_ge_i32 s6, s1
	s_cselect_b32 s0, s0, 32
	s_lshl_b32 s8, s6, 5
	v_cmp_gt_i32_e64 s[0:1], s0, v0
	s_ashr_i32 s9, s8, 31
	s_and_b64 s[0:1], vcc, s[0:1]
	s_and_saveexec_b64 s[10:11], s[0:1]
	s_cbranch_execz .LBB67_5
; %bb.4:
	s_mul_i32 s6, s19, s7
	s_mul_hi_u32 s12, s18, s7
	s_add_i32 s13, s12, s6
	s_mul_i32 s12, s18, s7
	v_mad_u64_u32 v[5:6], s[18:19], s16, v1, 0
	s_lshl_b64 s[12:13], s[12:13], 3
	s_add_u32 s6, s14, s12
	s_addc_u32 s14, s15, s13
	v_mad_u64_u32 v[6:7], s[12:13], s17, v1, v[6:7]
	s_lshl_b64 s[12:13], s[8:9], 3
	s_add_u32 s6, s6, s12
	v_lshlrev_b64 v[5:6], 3, v[5:6]
	s_addc_u32 s12, s14, s13
	v_mov_b32_e32 v7, s12
	v_add_co_u32_e32 v5, vcc, s6, v5
	v_addc_co_u32_e32 v6, vcc, v7, v6, vcc
	v_add_co_u32_e32 v5, vcc, v5, v2
	v_addc_co_u32_e32 v6, vcc, 0, v6, vcc
	global_load_dwordx2 v[5:6], v[5:6], off
	v_add_u32_e32 v7, 0x2000, v4
	s_waitcnt vmcnt(0)
	ds_write_b64 v7, v[5:6]
.LBB67_5:
	s_or_b64 exec, exec, s[10:11]
	s_cmpk_eq_i32 s25, 0x84
	s_cselect_b64 s[10:11], -1, 0
	v_cmp_eq_u32_e32 vcc, v1, v0
	s_and_b64 s[12:13], vcc, s[10:11]
	s_and_saveexec_b64 s[10:11], s[12:13]
; %bb.6:
	v_mov_b32_e32 v5, 0
	v_mov_b32_e32 v6, 0x3ff00000
	ds_write_b64 v4, v[5:6]
; %bb.7:
	s_or_b64 exec, exec, s[10:11]
	s_cmpk_lg_i32 s24, 0x79
	s_cbranch_scc0 .LBB67_9
; %bb.8:
	v_cmp_lt_u32_e32 vcc, v0, v1
	s_and_b64 s[10:11], vcc, exec
	s_cbranch_execz .LBB67_10
	s_branch .LBB67_11
.LBB67_9:
	s_mov_b64 s[10:11], 0
.LBB67_10:
	v_cmp_gt_u32_e32 vcc, v0, v1
	s_andn2_b64 s[10:11], s[10:11], exec
	s_and_b64 s[12:13], vcc, exec
	s_or_b64 s[10:11], s[10:11], s[12:13]
.LBB67_11:
	s_and_saveexec_b64 s[12:13], s[10:11]
; %bb.12:
	v_mov_b32_e32 v5, 0
	v_mov_b32_e32 v6, v5
	ds_write_b64 v4, v[5:6]
; %bb.13:
	s_or_b64 exec, exec, s[12:13]
	s_waitcnt lgkmcnt(0)
	s_barrier
	s_and_saveexec_b64 s[10:11], s[0:1]
	s_cbranch_execz .LBB67_15
; %bb.14:
	v_add_u32_e32 v17, 0x2000, v2
	ds_read2_b64 v[4:7], v17 offset1:32
	v_lshlrev_b32_e32 v0, 3, v3
	ds_read_b128 v[8:11], v0
	ds_read_b128 v[12:15], v0 offset:16
	s_load_dwordx2 s[0:1], s[4:5], 0x60
	s_waitcnt lgkmcnt(0)
	v_fma_f64 v[3:4], v[4:5], v[8:9], 0
	s_mul_i32 s1, s1, s7
	s_mul_hi_u32 s6, s0, s7
	s_mul_i32 s0, s0, s7
	s_add_i32 s1, s6, s1
	s_lshl_b64 s[0:1], s[0:1], 3
	v_fma_f64 v[7:8], v[6:7], v[10:11], v[3:4]
	ds_read2_b64 v[3:6], v17 offset0:64 offset1:96
	s_waitcnt lgkmcnt(0)
	v_fma_f64 v[3:4], v[3:4], v[12:13], v[7:8]
	v_fma_f64 v[15:16], v[5:6], v[14:15], v[3:4]
	ds_read2_b64 v[3:6], v17 offset0:128 offset1:160
	ds_read_b128 v[7:10], v0 offset:32
	ds_read_b128 v[11:14], v0 offset:48
	s_waitcnt lgkmcnt(1)
	v_fma_f64 v[3:4], v[3:4], v[7:8], v[15:16]
	v_fma_f64 v[7:8], v[5:6], v[9:10], v[3:4]
	ds_read2_b64 v[3:6], v17 offset0:192 offset1:224
	v_add_u32_e32 v17, 0x2800, v2
	s_waitcnt lgkmcnt(0)
	v_fma_f64 v[3:4], v[3:4], v[11:12], v[7:8]
	v_fma_f64 v[15:16], v[5:6], v[13:14], v[3:4]
	ds_read2_b64 v[3:6], v17 offset1:32
	ds_read_b128 v[7:10], v0 offset:64
	ds_read_b128 v[11:14], v0 offset:80
	s_waitcnt lgkmcnt(1)
	v_fma_f64 v[3:4], v[3:4], v[7:8], v[15:16]
	v_fma_f64 v[7:8], v[5:6], v[9:10], v[3:4]
	ds_read2_b64 v[3:6], v17 offset0:64 offset1:96
	s_waitcnt lgkmcnt(0)
	v_fma_f64 v[3:4], v[3:4], v[11:12], v[7:8]
	v_fma_f64 v[15:16], v[5:6], v[13:14], v[3:4]
	ds_read2_b64 v[3:6], v17 offset0:128 offset1:160
	ds_read_b128 v[7:10], v0 offset:96
	ds_read_b128 v[11:14], v0 offset:112
	s_waitcnt lgkmcnt(1)
	v_fma_f64 v[3:4], v[3:4], v[7:8], v[15:16]
	v_fma_f64 v[7:8], v[5:6], v[9:10], v[3:4]
	ds_read2_b64 v[3:6], v17 offset0:192 offset1:224
	v_add_u32_e32 v17, 0x3000, v2
	s_waitcnt lgkmcnt(0)
	v_fma_f64 v[3:4], v[3:4], v[11:12], v[7:8]
	v_fma_f64 v[15:16], v[5:6], v[13:14], v[3:4]
	ds_read2_b64 v[3:6], v17 offset1:32
	ds_read_b128 v[7:10], v0 offset:128
	ds_read_b128 v[11:14], v0 offset:144
	s_waitcnt lgkmcnt(1)
	v_fma_f64 v[3:4], v[3:4], v[7:8], v[15:16]
	;; [unrolled: 21-line block ×3, first 2 shown]
	v_fma_f64 v[7:8], v[5:6], v[9:10], v[3:4]
	ds_read2_b64 v[3:6], v17 offset0:64 offset1:96
	s_waitcnt lgkmcnt(0)
	v_fma_f64 v[3:4], v[3:4], v[11:12], v[7:8]
	v_fma_f64 v[15:16], v[5:6], v[13:14], v[3:4]
	ds_read2_b64 v[3:6], v17 offset0:128 offset1:160
	ds_read_b128 v[7:10], v0 offset:224
	ds_read_b128 v[11:14], v0 offset:240
	s_waitcnt lgkmcnt(1)
	v_fma_f64 v[3:4], v[3:4], v[7:8], v[15:16]
	v_fma_f64 v[7:8], v[5:6], v[9:10], v[3:4]
	ds_read2_b64 v[3:6], v17 offset0:192 offset1:224
	v_mad_u64_u32 v[9:10], s[4:5], s22, v1, 0
	v_mov_b32_e32 v0, v10
	v_mad_u64_u32 v[0:1], s[4:5], s23, v1, v[0:1]
	s_waitcnt lgkmcnt(0)
	v_fma_f64 v[3:4], v[3:4], v[11:12], v[7:8]
	s_add_u32 s4, s20, s0
	s_addc_u32 s5, s21, s1
	s_lshl_b64 s[0:1], s[8:9], 3
	v_mov_b32_e32 v10, v0
	s_add_u32 s0, s4, s0
	v_lshlrev_b64 v[0:1], 3, v[9:10]
	s_addc_u32 s1, s5, s1
	v_fma_f64 v[3:4], v[5:6], v[13:14], v[3:4]
	v_mov_b32_e32 v5, s1
	v_add_co_u32_e32 v0, vcc, s0, v0
	v_addc_co_u32_e32 v1, vcc, v5, v1, vcc
	v_add_co_u32_e32 v0, vcc, v0, v2
	v_mul_f64 v[3:4], s[2:3], v[3:4]
	v_addc_co_u32_e32 v1, vcc, 0, v1, vcc
	global_store_dwordx2 v[0:1], v[3:4], off
.LBB67_15:
	s_endpgm
	.section	.rodata,"a",@progbits
	.p2align	6, 0x0
	.amdhsa_kernel _ZL23rocblas_trmm_rNx_kernelILi32EddKddEv13rocblas_fill_17rocblas_diagonal_iiT1_lPT2_llS5_llPT3_lli
		.amdhsa_group_segment_fixed_size 16384
		.amdhsa_private_segment_fixed_size 0
		.amdhsa_kernarg_size 108
		.amdhsa_user_sgpr_count 6
		.amdhsa_user_sgpr_private_segment_buffer 1
		.amdhsa_user_sgpr_dispatch_ptr 0
		.amdhsa_user_sgpr_queue_ptr 0
		.amdhsa_user_sgpr_kernarg_segment_ptr 1
		.amdhsa_user_sgpr_dispatch_id 0
		.amdhsa_user_sgpr_flat_scratch_init 0
		.amdhsa_user_sgpr_private_segment_size 0
		.amdhsa_uses_dynamic_stack 0
		.amdhsa_system_sgpr_private_segment_wavefront_offset 0
		.amdhsa_system_sgpr_workgroup_id_x 1
		.amdhsa_system_sgpr_workgroup_id_y 0
		.amdhsa_system_sgpr_workgroup_id_z 1
		.amdhsa_system_sgpr_workgroup_info 0
		.amdhsa_system_vgpr_workitem_id 1
		.amdhsa_next_free_vgpr 29
		.amdhsa_next_free_sgpr 61
		.amdhsa_reserve_vcc 1
		.amdhsa_reserve_flat_scratch 0
		.amdhsa_float_round_mode_32 0
		.amdhsa_float_round_mode_16_64 0
		.amdhsa_float_denorm_mode_32 3
		.amdhsa_float_denorm_mode_16_64 3
		.amdhsa_dx10_clamp 1
		.amdhsa_ieee_mode 1
		.amdhsa_fp16_overflow 0
		.amdhsa_exception_fp_ieee_invalid_op 0
		.amdhsa_exception_fp_denorm_src 0
		.amdhsa_exception_fp_ieee_div_zero 0
		.amdhsa_exception_fp_ieee_overflow 0
		.amdhsa_exception_fp_ieee_underflow 0
		.amdhsa_exception_fp_ieee_inexact 0
		.amdhsa_exception_int_div_zero 0
	.end_amdhsa_kernel
	.section	.text._ZL23rocblas_trmm_rNx_kernelILi32EddKddEv13rocblas_fill_17rocblas_diagonal_iiT1_lPT2_llS5_llPT3_lli,"axG",@progbits,_ZL23rocblas_trmm_rNx_kernelILi32EddKddEv13rocblas_fill_17rocblas_diagonal_iiT1_lPT2_llS5_llPT3_lli,comdat
.Lfunc_end67:
	.size	_ZL23rocblas_trmm_rNx_kernelILi32EddKddEv13rocblas_fill_17rocblas_diagonal_iiT1_lPT2_llS5_llPT3_lli, .Lfunc_end67-_ZL23rocblas_trmm_rNx_kernelILi32EddKddEv13rocblas_fill_17rocblas_diagonal_iiT1_lPT2_llS5_llPT3_lli
                                        ; -- End function
	.set _ZL23rocblas_trmm_rNx_kernelILi32EddKddEv13rocblas_fill_17rocblas_diagonal_iiT1_lPT2_llS5_llPT3_lli.num_vgpr, 18
	.set _ZL23rocblas_trmm_rNx_kernelILi32EddKddEv13rocblas_fill_17rocblas_diagonal_iiT1_lPT2_llS5_llPT3_lli.num_agpr, 0
	.set _ZL23rocblas_trmm_rNx_kernelILi32EddKddEv13rocblas_fill_17rocblas_diagonal_iiT1_lPT2_llS5_llPT3_lli.numbered_sgpr, 30
	.set _ZL23rocblas_trmm_rNx_kernelILi32EddKddEv13rocblas_fill_17rocblas_diagonal_iiT1_lPT2_llS5_llPT3_lli.num_named_barrier, 0
	.set _ZL23rocblas_trmm_rNx_kernelILi32EddKddEv13rocblas_fill_17rocblas_diagonal_iiT1_lPT2_llS5_llPT3_lli.private_seg_size, 0
	.set _ZL23rocblas_trmm_rNx_kernelILi32EddKddEv13rocblas_fill_17rocblas_diagonal_iiT1_lPT2_llS5_llPT3_lli.uses_vcc, 1
	.set _ZL23rocblas_trmm_rNx_kernelILi32EddKddEv13rocblas_fill_17rocblas_diagonal_iiT1_lPT2_llS5_llPT3_lli.uses_flat_scratch, 0
	.set _ZL23rocblas_trmm_rNx_kernelILi32EddKddEv13rocblas_fill_17rocblas_diagonal_iiT1_lPT2_llS5_llPT3_lli.has_dyn_sized_stack, 0
	.set _ZL23rocblas_trmm_rNx_kernelILi32EddKddEv13rocblas_fill_17rocblas_diagonal_iiT1_lPT2_llS5_llPT3_lli.has_recursion, 0
	.set _ZL23rocblas_trmm_rNx_kernelILi32EddKddEv13rocblas_fill_17rocblas_diagonal_iiT1_lPT2_llS5_llPT3_lli.has_indirect_call, 0
	.section	.AMDGPU.csdata,"",@progbits
; Kernel info:
; codeLenInByte = 1264
; TotalNumSgprs: 34
; NumVgprs: 18
; ScratchSize: 0
; MemoryBound: 0
; FloatMode: 240
; IeeeMode: 1
; LDSByteSize: 16384 bytes/workgroup (compile time only)
; SGPRBlocks: 8
; VGPRBlocks: 7
; NumSGPRsForWavesPerEU: 65
; NumVGPRsForWavesPerEU: 29
; Occupancy: 8
; WaveLimiterHint : 0
; COMPUTE_PGM_RSRC2:SCRATCH_EN: 0
; COMPUTE_PGM_RSRC2:USER_SGPR: 6
; COMPUTE_PGM_RSRC2:TRAP_HANDLER: 0
; COMPUTE_PGM_RSRC2:TGID_X_EN: 1
; COMPUTE_PGM_RSRC2:TGID_Y_EN: 0
; COMPUTE_PGM_RSRC2:TGID_Z_EN: 1
; COMPUTE_PGM_RSRC2:TIDIG_COMP_CNT: 1
	.section	.text._ZL23rocblas_trmm_rTx_kernelILi32ELb0EdPKdS0_dEv13rocblas_fill_17rocblas_diagonal_iiT2_lPT3_llS6_llPT4_lli,"axG",@progbits,_ZL23rocblas_trmm_rTx_kernelILi32ELb0EdPKdS0_dEv13rocblas_fill_17rocblas_diagonal_iiT2_lPT3_llS6_llPT4_lli,comdat
	.globl	_ZL23rocblas_trmm_rTx_kernelILi32ELb0EdPKdS0_dEv13rocblas_fill_17rocblas_diagonal_iiT2_lPT3_llS6_llPT4_lli ; -- Begin function _ZL23rocblas_trmm_rTx_kernelILi32ELb0EdPKdS0_dEv13rocblas_fill_17rocblas_diagonal_iiT2_lPT3_llS6_llPT4_lli
	.p2align	8
	.type	_ZL23rocblas_trmm_rTx_kernelILi32ELb0EdPKdS0_dEv13rocblas_fill_17rocblas_diagonal_iiT2_lPT3_llS6_llPT4_lli,@function
_ZL23rocblas_trmm_rTx_kernelILi32ELb0EdPKdS0_dEv13rocblas_fill_17rocblas_diagonal_iiT2_lPT3_llS6_llPT4_lli: ; @_ZL23rocblas_trmm_rTx_kernelILi32ELb0EdPKdS0_dEv13rocblas_fill_17rocblas_diagonal_iiT2_lPT3_llS6_llPT4_lli
; %bb.0:
	s_load_dwordx16 s[8:23], s[4:5], 0x10
	s_waitcnt lgkmcnt(0)
	s_mul_i32 s0, s11, s7
	s_mul_hi_u32 s1, s10, s7
	s_add_i32 s1, s1, s0
	s_mul_i32 s0, s10, s7
	s_lshl_b64 s[0:1], s[0:1], 3
	s_add_u32 s0, s8, s0
	s_addc_u32 s1, s9, s1
	s_load_dwordx2 s[2:3], s[0:1], 0x0
	s_waitcnt lgkmcnt(0)
	v_cmp_eq_f64_e64 s[0:1], s[2:3], 0
	s_and_b64 vcc, exec, s[0:1]
	s_cbranch_vccnz .LBB68_15
; %bb.1:
	s_load_dwordx4 s[8:11], s[4:5], 0x0
	s_mov_b32 s0, 0
	s_mov_b32 s1, s0
	v_mov_b32_e32 v5, s1
	v_lshlrev_b32_e32 v2, 5, v1
	v_mov_b32_e32 v4, s0
	s_waitcnt lgkmcnt(0)
	v_cmp_gt_i32_e32 vcc, s11, v1
	v_cmp_gt_i32_e64 s[0:1], s11, v0
	v_add_lshl_u32 v3, v2, v0, 3
	s_and_b64 s[0:1], vcc, s[0:1]
	v_lshlrev_b32_e32 v2, 3, v0
	ds_write2st64_b64 v3, v[4:5], v[4:5] offset1:16
	s_and_saveexec_b64 s[24:25], s[0:1]
	s_cbranch_execz .LBB68_3
; %bb.2:
	v_mad_u64_u32 v[4:5], s[0:1], s14, v1, 0
	s_mul_i32 s11, s17, s7
	s_mul_hi_u32 s0, s16, s7
	v_mad_u64_u32 v[5:6], s[14:15], s15, v1, v[5:6]
	s_add_i32 s1, s0, s11
	s_mul_i32 s0, s16, s7
	s_lshl_b64 s[0:1], s[0:1], 3
	s_add_u32 s0, s12, s0
	v_lshlrev_b64 v[4:5], 3, v[4:5]
	s_addc_u32 s1, s13, s1
	v_mov_b32_e32 v6, s1
	v_add_co_u32_e64 v4, s[0:1], s0, v4
	v_addc_co_u32_e64 v5, s[0:1], v6, v5, s[0:1]
	v_add_co_u32_e64 v4, s[0:1], v4, v2
	v_addc_co_u32_e64 v5, s[0:1], 0, v5, s[0:1]
	global_load_dwordx2 v[4:5], v[4:5], off
	s_waitcnt vmcnt(0)
	ds_write_b64 v3, v[4:5]
.LBB68_3:
	s_or_b64 exec, exec, s[24:25]
	s_add_i32 s0, s10, -1
	s_ashr_i32 s1, s0, 31
	s_lshr_b32 s1, s1, 27
	s_add_i32 s0, s0, s1
	s_ashr_i32 s1, s0, 5
	s_andn2_b32 s0, s0, 31
	s_sub_i32 s0, s10, s0
	s_cmp_ge_i32 s6, s1
	s_cselect_b32 s0, s0, 32
	s_lshl_b32 s10, s6, 5
	v_cmp_gt_i32_e64 s[0:1], s0, v0
	s_ashr_i32 s11, s10, 31
	s_and_b64 s[0:1], vcc, s[0:1]
	s_and_saveexec_b64 s[12:13], s[0:1]
	s_cbranch_execz .LBB68_5
; %bb.4:
	s_mul_i32 s6, s23, s7
	s_mul_hi_u32 s14, s22, s7
	v_mad_u64_u32 v[4:5], s[16:17], s20, v1, 0
	s_add_i32 s15, s14, s6
	s_mul_i32 s14, s22, s7
	s_lshl_b64 s[14:15], s[14:15], 3
	s_add_u32 s6, s18, s14
	s_addc_u32 s16, s19, s15
	v_mad_u64_u32 v[5:6], s[14:15], s21, v1, v[5:6]
	s_lshl_b64 s[14:15], s[10:11], 3
	s_add_u32 s6, s6, s14
	v_lshlrev_b64 v[4:5], 3, v[4:5]
	s_addc_u32 s14, s16, s15
	v_mov_b32_e32 v6, s14
	v_add_co_u32_e32 v4, vcc, s6, v4
	v_addc_co_u32_e32 v5, vcc, v6, v5, vcc
	v_add_co_u32_e32 v4, vcc, v4, v2
	v_addc_co_u32_e32 v5, vcc, 0, v5, vcc
	global_load_dwordx2 v[4:5], v[4:5], off
	v_add_u32_e32 v6, 0x2000, v3
	s_waitcnt vmcnt(0)
	ds_write_b64 v6, v[4:5]
.LBB68_5:
	s_or_b64 exec, exec, s[12:13]
	s_cmpk_eq_i32 s9, 0x84
	s_cselect_b64 s[12:13], -1, 0
	v_cmp_eq_u32_e32 vcc, v1, v0
	s_and_b64 s[14:15], vcc, s[12:13]
	s_and_saveexec_b64 s[12:13], s[14:15]
; %bb.6:
	v_mov_b32_e32 v4, 0
	v_mov_b32_e32 v5, 0x3ff00000
	ds_write_b64 v3, v[4:5]
; %bb.7:
	s_or_b64 exec, exec, s[12:13]
	s_cmpk_lg_i32 s8, 0x79
	s_cbranch_scc0 .LBB68_9
; %bb.8:
	v_cmp_lt_u32_e32 vcc, v0, v1
	s_and_b64 s[8:9], vcc, exec
	s_cbranch_execz .LBB68_10
	s_branch .LBB68_11
.LBB68_9:
	s_mov_b64 s[8:9], 0
.LBB68_10:
	v_cmp_gt_u32_e32 vcc, v0, v1
	s_andn2_b64 s[8:9], s[8:9], exec
	s_and_b64 s[12:13], vcc, exec
	s_or_b64 s[8:9], s[8:9], s[12:13]
.LBB68_11:
	s_and_saveexec_b64 s[12:13], s[8:9]
; %bb.12:
	v_mov_b32_e32 v4, 0
	v_mov_b32_e32 v5, v4
	ds_write_b64 v3, v[4:5]
; %bb.13:
	s_or_b64 exec, exec, s[12:13]
	s_waitcnt lgkmcnt(0)
	s_barrier
	s_and_saveexec_b64 s[8:9], s[0:1]
	s_cbranch_execz .LBB68_15
; %bb.14:
	v_add_u32_e32 v0, 0x2000, v2
	v_lshlrev_b32_e32 v13, 3, v1
	ds_read2_b64 v[3:6], v0 offset1:32
	ds_read2_b64 v[7:10], v13 offset1:32
	v_add_u32_e32 v14, 0x800, v13
	s_load_dwordx2 s[0:1], s[4:5], 0x60
	s_load_dwordx4 s[12:15], s[4:5], 0x50
	s_waitcnt lgkmcnt(0)
	v_fma_f64 v[3:4], v[3:4], v[7:8], 0
	s_mul_i32 s1, s1, s7
	s_mul_hi_u32 s6, s0, s7
	s_mul_i32 s0, s0, s7
	s_add_i32 s1, s6, s1
	s_lshl_b64 s[0:1], s[0:1], 3
	s_add_u32 s6, s12, s0
	v_fma_f64 v[11:12], v[5:6], v[9:10], v[3:4]
	ds_read2_b64 v[3:6], v0 offset0:64 offset1:96
	ds_read2_b64 v[7:10], v13 offset0:64 offset1:96
	s_addc_u32 s7, s13, s1
	s_lshl_b64 s[0:1], s[10:11], 3
	s_add_u32 s0, s6, s0
	s_addc_u32 s1, s7, s1
	s_waitcnt lgkmcnt(0)
	v_fma_f64 v[3:4], v[3:4], v[7:8], v[11:12]
	v_fma_f64 v[11:12], v[5:6], v[9:10], v[3:4]
	ds_read2_b64 v[3:6], v0 offset0:128 offset1:160
	ds_read2_b64 v[7:10], v13 offset0:128 offset1:160
	s_waitcnt lgkmcnt(0)
	v_fma_f64 v[3:4], v[3:4], v[7:8], v[11:12]
	v_fma_f64 v[11:12], v[5:6], v[9:10], v[3:4]
	ds_read2_b64 v[3:6], v0 offset0:192 offset1:224
	ds_read2_b64 v[7:10], v13 offset0:192 offset1:224
	v_add_u32_e32 v0, 0x2800, v2
	s_waitcnt lgkmcnt(0)
	v_fma_f64 v[3:4], v[3:4], v[7:8], v[11:12]
	v_fma_f64 v[11:12], v[5:6], v[9:10], v[3:4]
	ds_read2_b64 v[3:6], v0 offset1:32
	ds_read2_b64 v[7:10], v14 offset1:32
	s_waitcnt lgkmcnt(0)
	v_fma_f64 v[3:4], v[3:4], v[7:8], v[11:12]
	v_fma_f64 v[11:12], v[5:6], v[9:10], v[3:4]
	ds_read2_b64 v[3:6], v0 offset0:64 offset1:96
	ds_read2_b64 v[7:10], v14 offset0:64 offset1:96
	s_waitcnt lgkmcnt(0)
	v_fma_f64 v[3:4], v[3:4], v[7:8], v[11:12]
	v_fma_f64 v[11:12], v[5:6], v[9:10], v[3:4]
	ds_read2_b64 v[3:6], v0 offset0:128 offset1:160
	ds_read2_b64 v[7:10], v14 offset0:128 offset1:160
	;; [unrolled: 5-line block ×3, first 2 shown]
	v_add_u32_e32 v0, 0x3000, v2
	v_add_u32_e32 v14, 0x1000, v13
	v_add_u32_e32 v13, 0x1800, v13
	s_waitcnt lgkmcnt(0)
	v_fma_f64 v[3:4], v[3:4], v[7:8], v[11:12]
	v_fma_f64 v[11:12], v[5:6], v[9:10], v[3:4]
	ds_read2_b64 v[3:6], v0 offset1:32
	ds_read2_b64 v[7:10], v14 offset1:32
	s_waitcnt lgkmcnt(0)
	v_fma_f64 v[3:4], v[3:4], v[7:8], v[11:12]
	v_fma_f64 v[11:12], v[5:6], v[9:10], v[3:4]
	ds_read2_b64 v[3:6], v0 offset0:64 offset1:96
	ds_read2_b64 v[7:10], v14 offset0:64 offset1:96
	s_waitcnt lgkmcnt(0)
	v_fma_f64 v[3:4], v[3:4], v[7:8], v[11:12]
	v_fma_f64 v[11:12], v[5:6], v[9:10], v[3:4]
	ds_read2_b64 v[3:6], v0 offset0:128 offset1:160
	ds_read2_b64 v[7:10], v14 offset0:128 offset1:160
	;; [unrolled: 5-line block ×3, first 2 shown]
	v_add_u32_e32 v0, 0x3800, v2
	s_waitcnt lgkmcnt(0)
	v_fma_f64 v[3:4], v[3:4], v[7:8], v[11:12]
	v_fma_f64 v[11:12], v[5:6], v[9:10], v[3:4]
	ds_read2_b64 v[3:6], v0 offset1:32
	ds_read2_b64 v[7:10], v13 offset1:32
	s_waitcnt lgkmcnt(0)
	v_fma_f64 v[3:4], v[3:4], v[7:8], v[11:12]
	v_fma_f64 v[11:12], v[5:6], v[9:10], v[3:4]
	ds_read2_b64 v[3:6], v0 offset0:64 offset1:96
	ds_read2_b64 v[7:10], v13 offset0:64 offset1:96
	s_waitcnt lgkmcnt(0)
	v_fma_f64 v[3:4], v[3:4], v[7:8], v[11:12]
	v_fma_f64 v[11:12], v[5:6], v[9:10], v[3:4]
	ds_read2_b64 v[3:6], v0 offset0:128 offset1:160
	ds_read2_b64 v[7:10], v13 offset0:128 offset1:160
	;; [unrolled: 5-line block ×3, first 2 shown]
	s_waitcnt lgkmcnt(0)
	v_fma_f64 v[3:4], v[3:4], v[7:8], v[11:12]
	v_mad_u64_u32 v[7:8], s[4:5], s14, v1, 0
	v_mov_b32_e32 v0, v8
	v_mad_u64_u32 v[0:1], s[4:5], s15, v1, v[0:1]
	v_fma_f64 v[3:4], v[5:6], v[9:10], v[3:4]
	v_mov_b32_e32 v5, s1
	v_mov_b32_e32 v8, v0
	v_lshlrev_b64 v[0:1], 3, v[7:8]
	v_add_co_u32_e32 v0, vcc, s0, v0
	v_addc_co_u32_e32 v1, vcc, v5, v1, vcc
	v_mul_f64 v[3:4], s[2:3], v[3:4]
	v_add_co_u32_e32 v0, vcc, v0, v2
	v_addc_co_u32_e32 v1, vcc, 0, v1, vcc
	global_store_dwordx2 v[0:1], v[3:4], off
.LBB68_15:
	s_endpgm
	.section	.rodata,"a",@progbits
	.p2align	6, 0x0
	.amdhsa_kernel _ZL23rocblas_trmm_rTx_kernelILi32ELb0EdPKdS0_dEv13rocblas_fill_17rocblas_diagonal_iiT2_lPT3_llS6_llPT4_lli
		.amdhsa_group_segment_fixed_size 16384
		.amdhsa_private_segment_fixed_size 0
		.amdhsa_kernarg_size 108
		.amdhsa_user_sgpr_count 6
		.amdhsa_user_sgpr_private_segment_buffer 1
		.amdhsa_user_sgpr_dispatch_ptr 0
		.amdhsa_user_sgpr_queue_ptr 0
		.amdhsa_user_sgpr_kernarg_segment_ptr 1
		.amdhsa_user_sgpr_dispatch_id 0
		.amdhsa_user_sgpr_flat_scratch_init 0
		.amdhsa_user_sgpr_private_segment_size 0
		.amdhsa_uses_dynamic_stack 0
		.amdhsa_system_sgpr_private_segment_wavefront_offset 0
		.amdhsa_system_sgpr_workgroup_id_x 1
		.amdhsa_system_sgpr_workgroup_id_y 0
		.amdhsa_system_sgpr_workgroup_id_z 1
		.amdhsa_system_sgpr_workgroup_info 0
		.amdhsa_system_vgpr_workitem_id 1
		.amdhsa_next_free_vgpr 29
		.amdhsa_next_free_sgpr 61
		.amdhsa_reserve_vcc 1
		.amdhsa_reserve_flat_scratch 0
		.amdhsa_float_round_mode_32 0
		.amdhsa_float_round_mode_16_64 0
		.amdhsa_float_denorm_mode_32 3
		.amdhsa_float_denorm_mode_16_64 3
		.amdhsa_dx10_clamp 1
		.amdhsa_ieee_mode 1
		.amdhsa_fp16_overflow 0
		.amdhsa_exception_fp_ieee_invalid_op 0
		.amdhsa_exception_fp_denorm_src 0
		.amdhsa_exception_fp_ieee_div_zero 0
		.amdhsa_exception_fp_ieee_overflow 0
		.amdhsa_exception_fp_ieee_underflow 0
		.amdhsa_exception_fp_ieee_inexact 0
		.amdhsa_exception_int_div_zero 0
	.end_amdhsa_kernel
	.section	.text._ZL23rocblas_trmm_rTx_kernelILi32ELb0EdPKdS0_dEv13rocblas_fill_17rocblas_diagonal_iiT2_lPT3_llS6_llPT4_lli,"axG",@progbits,_ZL23rocblas_trmm_rTx_kernelILi32ELb0EdPKdS0_dEv13rocblas_fill_17rocblas_diagonal_iiT2_lPT3_llS6_llPT4_lli,comdat
.Lfunc_end68:
	.size	_ZL23rocblas_trmm_rTx_kernelILi32ELb0EdPKdS0_dEv13rocblas_fill_17rocblas_diagonal_iiT2_lPT3_llS6_llPT4_lli, .Lfunc_end68-_ZL23rocblas_trmm_rTx_kernelILi32ELb0EdPKdS0_dEv13rocblas_fill_17rocblas_diagonal_iiT2_lPT3_llS6_llPT4_lli
                                        ; -- End function
	.set _ZL23rocblas_trmm_rTx_kernelILi32ELb0EdPKdS0_dEv13rocblas_fill_17rocblas_diagonal_iiT2_lPT3_llS6_llPT4_lli.num_vgpr, 15
	.set _ZL23rocblas_trmm_rTx_kernelILi32ELb0EdPKdS0_dEv13rocblas_fill_17rocblas_diagonal_iiT2_lPT3_llS6_llPT4_lli.num_agpr, 0
	.set _ZL23rocblas_trmm_rTx_kernelILi32ELb0EdPKdS0_dEv13rocblas_fill_17rocblas_diagonal_iiT2_lPT3_llS6_llPT4_lli.numbered_sgpr, 26
	.set _ZL23rocblas_trmm_rTx_kernelILi32ELb0EdPKdS0_dEv13rocblas_fill_17rocblas_diagonal_iiT2_lPT3_llS6_llPT4_lli.num_named_barrier, 0
	.set _ZL23rocblas_trmm_rTx_kernelILi32ELb0EdPKdS0_dEv13rocblas_fill_17rocblas_diagonal_iiT2_lPT3_llS6_llPT4_lli.private_seg_size, 0
	.set _ZL23rocblas_trmm_rTx_kernelILi32ELb0EdPKdS0_dEv13rocblas_fill_17rocblas_diagonal_iiT2_lPT3_llS6_llPT4_lli.uses_vcc, 1
	.set _ZL23rocblas_trmm_rTx_kernelILi32ELb0EdPKdS0_dEv13rocblas_fill_17rocblas_diagonal_iiT2_lPT3_llS6_llPT4_lli.uses_flat_scratch, 0
	.set _ZL23rocblas_trmm_rTx_kernelILi32ELb0EdPKdS0_dEv13rocblas_fill_17rocblas_diagonal_iiT2_lPT3_llS6_llPT4_lli.has_dyn_sized_stack, 0
	.set _ZL23rocblas_trmm_rTx_kernelILi32ELb0EdPKdS0_dEv13rocblas_fill_17rocblas_diagonal_iiT2_lPT3_llS6_llPT4_lli.has_recursion, 0
	.set _ZL23rocblas_trmm_rTx_kernelILi32ELb0EdPKdS0_dEv13rocblas_fill_17rocblas_diagonal_iiT2_lPT3_llS6_llPT4_lli.has_indirect_call, 0
	.section	.AMDGPU.csdata,"",@progbits
; Kernel info:
; codeLenInByte = 1328
; TotalNumSgprs: 30
; NumVgprs: 15
; ScratchSize: 0
; MemoryBound: 0
; FloatMode: 240
; IeeeMode: 1
; LDSByteSize: 16384 bytes/workgroup (compile time only)
; SGPRBlocks: 8
; VGPRBlocks: 7
; NumSGPRsForWavesPerEU: 65
; NumVGPRsForWavesPerEU: 29
; Occupancy: 8
; WaveLimiterHint : 0
; COMPUTE_PGM_RSRC2:SCRATCH_EN: 0
; COMPUTE_PGM_RSRC2:USER_SGPR: 6
; COMPUTE_PGM_RSRC2:TRAP_HANDLER: 0
; COMPUTE_PGM_RSRC2:TGID_X_EN: 1
; COMPUTE_PGM_RSRC2:TGID_Y_EN: 0
; COMPUTE_PGM_RSRC2:TGID_Z_EN: 1
; COMPUTE_PGM_RSRC2:TIDIG_COMP_CNT: 1
	.section	.text._ZL23rocblas_trmm_rTx_kernelILi32ELb0EddKddEv13rocblas_fill_17rocblas_diagonal_iiT2_lPT3_llS5_llPT4_lli,"axG",@progbits,_ZL23rocblas_trmm_rTx_kernelILi32ELb0EddKddEv13rocblas_fill_17rocblas_diagonal_iiT2_lPT3_llS5_llPT4_lli,comdat
	.globl	_ZL23rocblas_trmm_rTx_kernelILi32ELb0EddKddEv13rocblas_fill_17rocblas_diagonal_iiT2_lPT3_llS5_llPT4_lli ; -- Begin function _ZL23rocblas_trmm_rTx_kernelILi32ELb0EddKddEv13rocblas_fill_17rocblas_diagonal_iiT2_lPT3_llS5_llPT4_lli
	.p2align	8
	.type	_ZL23rocblas_trmm_rTx_kernelILi32ELb0EddKddEv13rocblas_fill_17rocblas_diagonal_iiT2_lPT3_llS5_llPT4_lli,@function
_ZL23rocblas_trmm_rTx_kernelILi32ELb0EddKddEv13rocblas_fill_17rocblas_diagonal_iiT2_lPT3_llS5_llPT4_lli: ; @_ZL23rocblas_trmm_rTx_kernelILi32ELb0EddKddEv13rocblas_fill_17rocblas_diagonal_iiT2_lPT3_llS5_llPT4_lli
; %bb.0:
	s_load_dwordx2 s[2:3], s[4:5], 0x10
	s_waitcnt lgkmcnt(0)
	v_cmp_eq_f64_e64 s[0:1], s[2:3], 0
	s_and_b64 vcc, exec, s[0:1]
	s_cbranch_vccnz .LBB69_15
; %bb.1:
	s_load_dwordx4 s[24:27], s[4:5], 0x0
	s_load_dwordx16 s[8:23], s[4:5], 0x20
	s_mov_b32 s0, 0
	s_mov_b32 s1, s0
	v_mov_b32_e32 v5, s1
	v_lshlrev_b32_e32 v2, 5, v1
	v_mov_b32_e32 v4, s0
	s_waitcnt lgkmcnt(0)
	v_cmp_gt_i32_e32 vcc, s27, v1
	v_cmp_gt_i32_e64 s[0:1], s27, v0
	v_add_lshl_u32 v3, v2, v0, 3
	s_and_b64 s[0:1], vcc, s[0:1]
	v_lshlrev_b32_e32 v2, 3, v0
	ds_write2st64_b64 v3, v[4:5], v[4:5] offset1:16
	s_and_saveexec_b64 s[28:29], s[0:1]
	s_cbranch_execz .LBB69_3
; %bb.2:
	v_mad_u64_u32 v[4:5], s[0:1], s10, v1, 0
	s_mul_i32 s13, s13, s7
	s_mul_hi_u32 s0, s12, s7
	v_mad_u64_u32 v[5:6], s[10:11], s11, v1, v[5:6]
	s_add_i32 s1, s0, s13
	s_mul_i32 s0, s12, s7
	s_lshl_b64 s[0:1], s[0:1], 3
	s_add_u32 s0, s8, s0
	v_lshlrev_b64 v[4:5], 3, v[4:5]
	s_addc_u32 s1, s9, s1
	v_mov_b32_e32 v6, s1
	v_add_co_u32_e64 v4, s[0:1], s0, v4
	v_addc_co_u32_e64 v5, s[0:1], v6, v5, s[0:1]
	v_add_co_u32_e64 v4, s[0:1], v4, v2
	v_addc_co_u32_e64 v5, s[0:1], 0, v5, s[0:1]
	global_load_dwordx2 v[4:5], v[4:5], off
	s_waitcnt vmcnt(0)
	ds_write_b64 v3, v[4:5]
.LBB69_3:
	s_or_b64 exec, exec, s[28:29]
	s_add_i32 s0, s26, -1
	s_ashr_i32 s1, s0, 31
	s_lshr_b32 s1, s1, 27
	s_add_i32 s0, s0, s1
	s_ashr_i32 s1, s0, 5
	s_andn2_b32 s0, s0, 31
	s_sub_i32 s0, s26, s0
	s_cmp_ge_i32 s6, s1
	s_cselect_b32 s0, s0, 32
	s_lshl_b32 s8, s6, 5
	v_cmp_gt_i32_e64 s[0:1], s0, v0
	s_ashr_i32 s9, s8, 31
	s_and_b64 s[0:1], vcc, s[0:1]
	s_and_saveexec_b64 s[10:11], s[0:1]
	s_cbranch_execz .LBB69_5
; %bb.4:
	s_mul_i32 s6, s19, s7
	s_mul_hi_u32 s12, s18, s7
	s_add_i32 s13, s12, s6
	s_mul_i32 s12, s18, s7
	v_mad_u64_u32 v[4:5], s[18:19], s16, v1, 0
	s_lshl_b64 s[12:13], s[12:13], 3
	s_add_u32 s6, s14, s12
	s_addc_u32 s14, s15, s13
	v_mad_u64_u32 v[5:6], s[12:13], s17, v1, v[5:6]
	s_lshl_b64 s[12:13], s[8:9], 3
	s_add_u32 s6, s6, s12
	v_lshlrev_b64 v[4:5], 3, v[4:5]
	s_addc_u32 s12, s14, s13
	v_mov_b32_e32 v6, s12
	v_add_co_u32_e32 v4, vcc, s6, v4
	v_addc_co_u32_e32 v5, vcc, v6, v5, vcc
	v_add_co_u32_e32 v4, vcc, v4, v2
	v_addc_co_u32_e32 v5, vcc, 0, v5, vcc
	global_load_dwordx2 v[4:5], v[4:5], off
	v_add_u32_e32 v6, 0x2000, v3
	s_waitcnt vmcnt(0)
	ds_write_b64 v6, v[4:5]
.LBB69_5:
	s_or_b64 exec, exec, s[10:11]
	s_cmpk_eq_i32 s25, 0x84
	s_cselect_b64 s[10:11], -1, 0
	v_cmp_eq_u32_e32 vcc, v1, v0
	s_and_b64 s[12:13], vcc, s[10:11]
	s_and_saveexec_b64 s[10:11], s[12:13]
; %bb.6:
	v_mov_b32_e32 v4, 0
	v_mov_b32_e32 v5, 0x3ff00000
	ds_write_b64 v3, v[4:5]
; %bb.7:
	s_or_b64 exec, exec, s[10:11]
	s_cmpk_lg_i32 s24, 0x79
	s_cbranch_scc0 .LBB69_9
; %bb.8:
	v_cmp_lt_u32_e32 vcc, v0, v1
	s_and_b64 s[10:11], vcc, exec
	s_cbranch_execz .LBB69_10
	s_branch .LBB69_11
.LBB69_9:
	s_mov_b64 s[10:11], 0
.LBB69_10:
	v_cmp_gt_u32_e32 vcc, v0, v1
	s_andn2_b64 s[10:11], s[10:11], exec
	s_and_b64 s[12:13], vcc, exec
	s_or_b64 s[10:11], s[10:11], s[12:13]
.LBB69_11:
	s_and_saveexec_b64 s[12:13], s[10:11]
; %bb.12:
	v_mov_b32_e32 v4, 0
	v_mov_b32_e32 v5, v4
	ds_write_b64 v3, v[4:5]
; %bb.13:
	s_or_b64 exec, exec, s[12:13]
	s_waitcnt lgkmcnt(0)
	s_barrier
	s_and_saveexec_b64 s[10:11], s[0:1]
	s_cbranch_execz .LBB69_15
; %bb.14:
	v_add_u32_e32 v0, 0x2000, v2
	v_lshlrev_b32_e32 v13, 3, v1
	ds_read2_b64 v[3:6], v0 offset1:32
	ds_read2_b64 v[7:10], v13 offset1:32
	v_add_u32_e32 v14, 0x800, v13
	v_add_u32_e32 v15, 0x1800, v13
	s_load_dwordx2 s[0:1], s[4:5], 0x60
	s_waitcnt lgkmcnt(0)
	v_fma_f64 v[3:4], v[3:4], v[7:8], 0
	s_mul_i32 s1, s1, s7
	s_mul_hi_u32 s6, s0, s7
	s_mul_i32 s0, s0, s7
	s_add_i32 s1, s6, s1
	s_lshl_b64 s[0:1], s[0:1], 3
	v_fma_f64 v[11:12], v[5:6], v[9:10], v[3:4]
	ds_read2_b64 v[3:6], v0 offset0:64 offset1:96
	ds_read2_b64 v[7:10], v13 offset0:64 offset1:96
	s_waitcnt lgkmcnt(0)
	v_fma_f64 v[3:4], v[3:4], v[7:8], v[11:12]
	v_fma_f64 v[11:12], v[5:6], v[9:10], v[3:4]
	ds_read2_b64 v[3:6], v0 offset0:128 offset1:160
	ds_read2_b64 v[7:10], v13 offset0:128 offset1:160
	s_waitcnt lgkmcnt(0)
	v_fma_f64 v[3:4], v[3:4], v[7:8], v[11:12]
	v_fma_f64 v[11:12], v[5:6], v[9:10], v[3:4]
	ds_read2_b64 v[3:6], v0 offset0:192 offset1:224
	ds_read2_b64 v[7:10], v13 offset0:192 offset1:224
	v_add_u32_e32 v0, 0x2800, v2
	s_waitcnt lgkmcnt(0)
	v_fma_f64 v[3:4], v[3:4], v[7:8], v[11:12]
	v_fma_f64 v[11:12], v[5:6], v[9:10], v[3:4]
	ds_read2_b64 v[3:6], v0 offset1:32
	ds_read2_b64 v[7:10], v14 offset1:32
	s_waitcnt lgkmcnt(0)
	v_fma_f64 v[3:4], v[3:4], v[7:8], v[11:12]
	v_fma_f64 v[11:12], v[5:6], v[9:10], v[3:4]
	ds_read2_b64 v[3:6], v0 offset0:64 offset1:96
	ds_read2_b64 v[7:10], v14 offset0:64 offset1:96
	s_waitcnt lgkmcnt(0)
	v_fma_f64 v[3:4], v[3:4], v[7:8], v[11:12]
	v_fma_f64 v[11:12], v[5:6], v[9:10], v[3:4]
	ds_read2_b64 v[3:6], v0 offset0:128 offset1:160
	ds_read2_b64 v[7:10], v14 offset0:128 offset1:160
	;; [unrolled: 5-line block ×3, first 2 shown]
	v_add_u32_e32 v0, 0x3000, v2
	v_add_u32_e32 v14, 0x1000, v13
	s_waitcnt lgkmcnt(0)
	v_fma_f64 v[3:4], v[3:4], v[7:8], v[11:12]
	v_fma_f64 v[11:12], v[5:6], v[9:10], v[3:4]
	ds_read2_b64 v[3:6], v0 offset1:32
	ds_read2_b64 v[7:10], v14 offset1:32
	s_waitcnt lgkmcnt(0)
	v_fma_f64 v[3:4], v[3:4], v[7:8], v[11:12]
	v_fma_f64 v[11:12], v[5:6], v[9:10], v[3:4]
	ds_read2_b64 v[3:6], v0 offset0:64 offset1:96
	ds_read2_b64 v[7:10], v14 offset0:64 offset1:96
	s_waitcnt lgkmcnt(0)
	v_fma_f64 v[3:4], v[3:4], v[7:8], v[11:12]
	v_fma_f64 v[11:12], v[5:6], v[9:10], v[3:4]
	ds_read2_b64 v[3:6], v0 offset0:128 offset1:160
	ds_read2_b64 v[7:10], v14 offset0:128 offset1:160
	;; [unrolled: 5-line block ×3, first 2 shown]
	v_add_u32_e32 v0, 0x3800, v2
	v_mad_u64_u32 v[13:14], s[4:5], s22, v1, 0
	s_waitcnt lgkmcnt(0)
	v_fma_f64 v[3:4], v[3:4], v[7:8], v[11:12]
	v_fma_f64 v[11:12], v[5:6], v[9:10], v[3:4]
	ds_read2_b64 v[3:6], v0 offset1:32
	ds_read2_b64 v[7:10], v15 offset1:32
	s_waitcnt lgkmcnt(0)
	v_fma_f64 v[3:4], v[3:4], v[7:8], v[11:12]
	v_fma_f64 v[11:12], v[5:6], v[9:10], v[3:4]
	ds_read2_b64 v[3:6], v0 offset0:64 offset1:96
	ds_read2_b64 v[7:10], v15 offset0:64 offset1:96
	s_waitcnt lgkmcnt(0)
	v_fma_f64 v[3:4], v[3:4], v[7:8], v[11:12]
	v_fma_f64 v[11:12], v[5:6], v[9:10], v[3:4]
	ds_read2_b64 v[3:6], v0 offset0:128 offset1:160
	ds_read2_b64 v[7:10], v15 offset0:128 offset1:160
	;; [unrolled: 5-line block ×3, first 2 shown]
	v_mov_b32_e32 v0, v14
	v_mad_u64_u32 v[0:1], s[4:5], s23, v1, v[0:1]
	s_add_u32 s4, s20, s0
	s_addc_u32 s5, s21, s1
	s_lshl_b64 s[0:1], s[8:9], 3
	s_waitcnt lgkmcnt(0)
	v_fma_f64 v[3:4], v[3:4], v[7:8], v[11:12]
	v_mov_b32_e32 v14, v0
	s_add_u32 s0, s4, s0
	v_lshlrev_b64 v[0:1], 3, v[13:14]
	s_addc_u32 s1, s5, s1
	v_add_co_u32_e32 v0, vcc, s0, v0
	v_fma_f64 v[3:4], v[5:6], v[9:10], v[3:4]
	v_mov_b32_e32 v5, s1
	v_addc_co_u32_e32 v1, vcc, v5, v1, vcc
	v_add_co_u32_e32 v0, vcc, v0, v2
	v_addc_co_u32_e32 v1, vcc, 0, v1, vcc
	v_mul_f64 v[3:4], s[2:3], v[3:4]
	global_store_dwordx2 v[0:1], v[3:4], off
.LBB69_15:
	s_endpgm
	.section	.rodata,"a",@progbits
	.p2align	6, 0x0
	.amdhsa_kernel _ZL23rocblas_trmm_rTx_kernelILi32ELb0EddKddEv13rocblas_fill_17rocblas_diagonal_iiT2_lPT3_llS5_llPT4_lli
		.amdhsa_group_segment_fixed_size 16384
		.amdhsa_private_segment_fixed_size 0
		.amdhsa_kernarg_size 108
		.amdhsa_user_sgpr_count 6
		.amdhsa_user_sgpr_private_segment_buffer 1
		.amdhsa_user_sgpr_dispatch_ptr 0
		.amdhsa_user_sgpr_queue_ptr 0
		.amdhsa_user_sgpr_kernarg_segment_ptr 1
		.amdhsa_user_sgpr_dispatch_id 0
		.amdhsa_user_sgpr_flat_scratch_init 0
		.amdhsa_user_sgpr_private_segment_size 0
		.amdhsa_uses_dynamic_stack 0
		.amdhsa_system_sgpr_private_segment_wavefront_offset 0
		.amdhsa_system_sgpr_workgroup_id_x 1
		.amdhsa_system_sgpr_workgroup_id_y 0
		.amdhsa_system_sgpr_workgroup_id_z 1
		.amdhsa_system_sgpr_workgroup_info 0
		.amdhsa_system_vgpr_workitem_id 1
		.amdhsa_next_free_vgpr 29
		.amdhsa_next_free_sgpr 61
		.amdhsa_reserve_vcc 1
		.amdhsa_reserve_flat_scratch 0
		.amdhsa_float_round_mode_32 0
		.amdhsa_float_round_mode_16_64 0
		.amdhsa_float_denorm_mode_32 3
		.amdhsa_float_denorm_mode_16_64 3
		.amdhsa_dx10_clamp 1
		.amdhsa_ieee_mode 1
		.amdhsa_fp16_overflow 0
		.amdhsa_exception_fp_ieee_invalid_op 0
		.amdhsa_exception_fp_denorm_src 0
		.amdhsa_exception_fp_ieee_div_zero 0
		.amdhsa_exception_fp_ieee_overflow 0
		.amdhsa_exception_fp_ieee_underflow 0
		.amdhsa_exception_fp_ieee_inexact 0
		.amdhsa_exception_int_div_zero 0
	.end_amdhsa_kernel
	.section	.text._ZL23rocblas_trmm_rTx_kernelILi32ELb0EddKddEv13rocblas_fill_17rocblas_diagonal_iiT2_lPT3_llS5_llPT4_lli,"axG",@progbits,_ZL23rocblas_trmm_rTx_kernelILi32ELb0EddKddEv13rocblas_fill_17rocblas_diagonal_iiT2_lPT3_llS5_llPT4_lli,comdat
.Lfunc_end69:
	.size	_ZL23rocblas_trmm_rTx_kernelILi32ELb0EddKddEv13rocblas_fill_17rocblas_diagonal_iiT2_lPT3_llS5_llPT4_lli, .Lfunc_end69-_ZL23rocblas_trmm_rTx_kernelILi32ELb0EddKddEv13rocblas_fill_17rocblas_diagonal_iiT2_lPT3_llS5_llPT4_lli
                                        ; -- End function
	.set _ZL23rocblas_trmm_rTx_kernelILi32ELb0EddKddEv13rocblas_fill_17rocblas_diagonal_iiT2_lPT3_llS5_llPT4_lli.num_vgpr, 16
	.set _ZL23rocblas_trmm_rTx_kernelILi32ELb0EddKddEv13rocblas_fill_17rocblas_diagonal_iiT2_lPT3_llS5_llPT4_lli.num_agpr, 0
	.set _ZL23rocblas_trmm_rTx_kernelILi32ELb0EddKddEv13rocblas_fill_17rocblas_diagonal_iiT2_lPT3_llS5_llPT4_lli.numbered_sgpr, 30
	.set _ZL23rocblas_trmm_rTx_kernelILi32ELb0EddKddEv13rocblas_fill_17rocblas_diagonal_iiT2_lPT3_llS5_llPT4_lli.num_named_barrier, 0
	.set _ZL23rocblas_trmm_rTx_kernelILi32ELb0EddKddEv13rocblas_fill_17rocblas_diagonal_iiT2_lPT3_llS5_llPT4_lli.private_seg_size, 0
	.set _ZL23rocblas_trmm_rTx_kernelILi32ELb0EddKddEv13rocblas_fill_17rocblas_diagonal_iiT2_lPT3_llS5_llPT4_lli.uses_vcc, 1
	.set _ZL23rocblas_trmm_rTx_kernelILi32ELb0EddKddEv13rocblas_fill_17rocblas_diagonal_iiT2_lPT3_llS5_llPT4_lli.uses_flat_scratch, 0
	.set _ZL23rocblas_trmm_rTx_kernelILi32ELb0EddKddEv13rocblas_fill_17rocblas_diagonal_iiT2_lPT3_llS5_llPT4_lli.has_dyn_sized_stack, 0
	.set _ZL23rocblas_trmm_rTx_kernelILi32ELb0EddKddEv13rocblas_fill_17rocblas_diagonal_iiT2_lPT3_llS5_llPT4_lli.has_recursion, 0
	.set _ZL23rocblas_trmm_rTx_kernelILi32ELb0EddKddEv13rocblas_fill_17rocblas_diagonal_iiT2_lPT3_llS5_llPT4_lli.has_indirect_call, 0
	.section	.AMDGPU.csdata,"",@progbits
; Kernel info:
; codeLenInByte = 1288
; TotalNumSgprs: 34
; NumVgprs: 16
; ScratchSize: 0
; MemoryBound: 0
; FloatMode: 240
; IeeeMode: 1
; LDSByteSize: 16384 bytes/workgroup (compile time only)
; SGPRBlocks: 8
; VGPRBlocks: 7
; NumSGPRsForWavesPerEU: 65
; NumVGPRsForWavesPerEU: 29
; Occupancy: 8
; WaveLimiterHint : 0
; COMPUTE_PGM_RSRC2:SCRATCH_EN: 0
; COMPUTE_PGM_RSRC2:USER_SGPR: 6
; COMPUTE_PGM_RSRC2:TRAP_HANDLER: 0
; COMPUTE_PGM_RSRC2:TGID_X_EN: 1
; COMPUTE_PGM_RSRC2:TGID_Y_EN: 0
; COMPUTE_PGM_RSRC2:TGID_Z_EN: 1
; COMPUTE_PGM_RSRC2:TIDIG_COMP_CNT: 1
	.section	.text._ZL23rocblas_trmm_rTx_kernelILi32ELb1EdPKdS0_dEv13rocblas_fill_17rocblas_diagonal_iiT2_lPT3_llS6_llPT4_lli,"axG",@progbits,_ZL23rocblas_trmm_rTx_kernelILi32ELb1EdPKdS0_dEv13rocblas_fill_17rocblas_diagonal_iiT2_lPT3_llS6_llPT4_lli,comdat
	.globl	_ZL23rocblas_trmm_rTx_kernelILi32ELb1EdPKdS0_dEv13rocblas_fill_17rocblas_diagonal_iiT2_lPT3_llS6_llPT4_lli ; -- Begin function _ZL23rocblas_trmm_rTx_kernelILi32ELb1EdPKdS0_dEv13rocblas_fill_17rocblas_diagonal_iiT2_lPT3_llS6_llPT4_lli
	.p2align	8
	.type	_ZL23rocblas_trmm_rTx_kernelILi32ELb1EdPKdS0_dEv13rocblas_fill_17rocblas_diagonal_iiT2_lPT3_llS6_llPT4_lli,@function
_ZL23rocblas_trmm_rTx_kernelILi32ELb1EdPKdS0_dEv13rocblas_fill_17rocblas_diagonal_iiT2_lPT3_llS6_llPT4_lli: ; @_ZL23rocblas_trmm_rTx_kernelILi32ELb1EdPKdS0_dEv13rocblas_fill_17rocblas_diagonal_iiT2_lPT3_llS6_llPT4_lli
; %bb.0:
	s_load_dwordx16 s[8:23], s[4:5], 0x10
	s_waitcnt lgkmcnt(0)
	s_mul_i32 s0, s11, s7
	s_mul_hi_u32 s1, s10, s7
	s_add_i32 s1, s1, s0
	s_mul_i32 s0, s10, s7
	s_lshl_b64 s[0:1], s[0:1], 3
	s_add_u32 s0, s8, s0
	s_addc_u32 s1, s9, s1
	s_load_dwordx2 s[2:3], s[0:1], 0x0
	s_waitcnt lgkmcnt(0)
	v_cmp_eq_f64_e64 s[0:1], s[2:3], 0
	s_and_b64 vcc, exec, s[0:1]
	s_cbranch_vccnz .LBB70_15
; %bb.1:
	s_load_dwordx4 s[8:11], s[4:5], 0x0
	s_mov_b32 s0, 0
	s_mov_b32 s1, s0
	v_mov_b32_e32 v5, s1
	v_lshlrev_b32_e32 v2, 5, v1
	v_mov_b32_e32 v4, s0
	s_waitcnt lgkmcnt(0)
	v_cmp_gt_i32_e32 vcc, s11, v1
	v_cmp_gt_i32_e64 s[0:1], s11, v0
	v_add_lshl_u32 v3, v2, v0, 3
	s_and_b64 s[0:1], vcc, s[0:1]
	v_lshlrev_b32_e32 v2, 3, v0
	ds_write2st64_b64 v3, v[4:5], v[4:5] offset1:16
	s_and_saveexec_b64 s[24:25], s[0:1]
	s_cbranch_execz .LBB70_3
; %bb.2:
	v_mad_u64_u32 v[4:5], s[0:1], s14, v1, 0
	s_mul_i32 s11, s17, s7
	s_mul_hi_u32 s0, s16, s7
	v_mad_u64_u32 v[5:6], s[14:15], s15, v1, v[5:6]
	s_add_i32 s1, s0, s11
	s_mul_i32 s0, s16, s7
	s_lshl_b64 s[0:1], s[0:1], 3
	s_add_u32 s0, s12, s0
	v_lshlrev_b64 v[4:5], 3, v[4:5]
	s_addc_u32 s1, s13, s1
	v_mov_b32_e32 v6, s1
	v_add_co_u32_e64 v4, s[0:1], s0, v4
	v_addc_co_u32_e64 v5, s[0:1], v6, v5, s[0:1]
	v_add_co_u32_e64 v4, s[0:1], v4, v2
	v_addc_co_u32_e64 v5, s[0:1], 0, v5, s[0:1]
	global_load_dwordx2 v[4:5], v[4:5], off
	s_waitcnt vmcnt(0)
	ds_write_b64 v3, v[4:5]
.LBB70_3:
	s_or_b64 exec, exec, s[24:25]
	s_add_i32 s0, s10, -1
	s_ashr_i32 s1, s0, 31
	s_lshr_b32 s1, s1, 27
	s_add_i32 s0, s0, s1
	s_ashr_i32 s1, s0, 5
	s_andn2_b32 s0, s0, 31
	s_sub_i32 s0, s10, s0
	s_cmp_ge_i32 s6, s1
	s_cselect_b32 s0, s0, 32
	s_lshl_b32 s10, s6, 5
	v_cmp_gt_i32_e64 s[0:1], s0, v0
	s_ashr_i32 s11, s10, 31
	s_and_b64 s[0:1], vcc, s[0:1]
	s_and_saveexec_b64 s[12:13], s[0:1]
	s_cbranch_execz .LBB70_5
; %bb.4:
	s_mul_i32 s6, s23, s7
	s_mul_hi_u32 s14, s22, s7
	v_mad_u64_u32 v[4:5], s[16:17], s20, v1, 0
	s_add_i32 s15, s14, s6
	s_mul_i32 s14, s22, s7
	s_lshl_b64 s[14:15], s[14:15], 3
	s_add_u32 s6, s18, s14
	s_addc_u32 s16, s19, s15
	v_mad_u64_u32 v[5:6], s[14:15], s21, v1, v[5:6]
	s_lshl_b64 s[14:15], s[10:11], 3
	s_add_u32 s6, s6, s14
	v_lshlrev_b64 v[4:5], 3, v[4:5]
	s_addc_u32 s14, s16, s15
	v_mov_b32_e32 v6, s14
	v_add_co_u32_e32 v4, vcc, s6, v4
	v_addc_co_u32_e32 v5, vcc, v6, v5, vcc
	v_add_co_u32_e32 v4, vcc, v4, v2
	v_addc_co_u32_e32 v5, vcc, 0, v5, vcc
	global_load_dwordx2 v[4:5], v[4:5], off
	v_add_u32_e32 v6, 0x2000, v3
	s_waitcnt vmcnt(0)
	ds_write_b64 v6, v[4:5]
.LBB70_5:
	s_or_b64 exec, exec, s[12:13]
	s_cmpk_eq_i32 s9, 0x84
	s_cselect_b64 s[12:13], -1, 0
	v_cmp_eq_u32_e32 vcc, v1, v0
	s_and_b64 s[14:15], vcc, s[12:13]
	s_and_saveexec_b64 s[12:13], s[14:15]
; %bb.6:
	v_mov_b32_e32 v4, 0
	v_mov_b32_e32 v5, 0x3ff00000
	ds_write_b64 v3, v[4:5]
; %bb.7:
	s_or_b64 exec, exec, s[12:13]
	s_cmpk_lg_i32 s8, 0x79
	s_cbranch_scc0 .LBB70_9
; %bb.8:
	v_cmp_lt_u32_e32 vcc, v0, v1
	s_and_b64 s[8:9], vcc, exec
	s_cbranch_execz .LBB70_10
	s_branch .LBB70_11
.LBB70_9:
	s_mov_b64 s[8:9], 0
.LBB70_10:
	v_cmp_gt_u32_e32 vcc, v0, v1
	s_andn2_b64 s[8:9], s[8:9], exec
	s_and_b64 s[12:13], vcc, exec
	s_or_b64 s[8:9], s[8:9], s[12:13]
.LBB70_11:
	s_and_saveexec_b64 s[12:13], s[8:9]
; %bb.12:
	v_mov_b32_e32 v4, 0
	v_mov_b32_e32 v5, v4
	ds_write_b64 v3, v[4:5]
; %bb.13:
	s_or_b64 exec, exec, s[12:13]
	s_waitcnt lgkmcnt(0)
	s_barrier
	s_and_saveexec_b64 s[8:9], s[0:1]
	s_cbranch_execz .LBB70_15
; %bb.14:
	v_add_u32_e32 v0, 0x2000, v2
	v_lshlrev_b32_e32 v13, 3, v1
	ds_read2_b64 v[3:6], v0 offset1:32
	ds_read2_b64 v[7:10], v13 offset1:32
	v_add_u32_e32 v14, 0x800, v13
	s_load_dwordx2 s[0:1], s[4:5], 0x60
	s_load_dwordx4 s[12:15], s[4:5], 0x50
	s_waitcnt lgkmcnt(0)
	v_fma_f64 v[3:4], v[3:4], v[7:8], 0
	s_mul_i32 s1, s1, s7
	s_mul_hi_u32 s6, s0, s7
	s_mul_i32 s0, s0, s7
	s_add_i32 s1, s6, s1
	s_lshl_b64 s[0:1], s[0:1], 3
	s_add_u32 s6, s12, s0
	v_fma_f64 v[11:12], v[5:6], v[9:10], v[3:4]
	ds_read2_b64 v[3:6], v0 offset0:64 offset1:96
	ds_read2_b64 v[7:10], v13 offset0:64 offset1:96
	s_addc_u32 s7, s13, s1
	s_lshl_b64 s[0:1], s[10:11], 3
	s_add_u32 s0, s6, s0
	s_addc_u32 s1, s7, s1
	s_waitcnt lgkmcnt(0)
	v_fma_f64 v[3:4], v[3:4], v[7:8], v[11:12]
	v_fma_f64 v[11:12], v[5:6], v[9:10], v[3:4]
	ds_read2_b64 v[3:6], v0 offset0:128 offset1:160
	ds_read2_b64 v[7:10], v13 offset0:128 offset1:160
	s_waitcnt lgkmcnt(0)
	v_fma_f64 v[3:4], v[3:4], v[7:8], v[11:12]
	v_fma_f64 v[11:12], v[5:6], v[9:10], v[3:4]
	ds_read2_b64 v[3:6], v0 offset0:192 offset1:224
	ds_read2_b64 v[7:10], v13 offset0:192 offset1:224
	v_add_u32_e32 v0, 0x2800, v2
	s_waitcnt lgkmcnt(0)
	v_fma_f64 v[3:4], v[3:4], v[7:8], v[11:12]
	v_fma_f64 v[11:12], v[5:6], v[9:10], v[3:4]
	ds_read2_b64 v[3:6], v0 offset1:32
	ds_read2_b64 v[7:10], v14 offset1:32
	s_waitcnt lgkmcnt(0)
	v_fma_f64 v[3:4], v[3:4], v[7:8], v[11:12]
	v_fma_f64 v[11:12], v[5:6], v[9:10], v[3:4]
	ds_read2_b64 v[3:6], v0 offset0:64 offset1:96
	ds_read2_b64 v[7:10], v14 offset0:64 offset1:96
	s_waitcnt lgkmcnt(0)
	v_fma_f64 v[3:4], v[3:4], v[7:8], v[11:12]
	v_fma_f64 v[11:12], v[5:6], v[9:10], v[3:4]
	ds_read2_b64 v[3:6], v0 offset0:128 offset1:160
	ds_read2_b64 v[7:10], v14 offset0:128 offset1:160
	;; [unrolled: 5-line block ×3, first 2 shown]
	v_add_u32_e32 v0, 0x3000, v2
	v_add_u32_e32 v14, 0x1000, v13
	;; [unrolled: 1-line block ×3, first 2 shown]
	s_waitcnt lgkmcnt(0)
	v_fma_f64 v[3:4], v[3:4], v[7:8], v[11:12]
	v_fma_f64 v[11:12], v[5:6], v[9:10], v[3:4]
	ds_read2_b64 v[3:6], v0 offset1:32
	ds_read2_b64 v[7:10], v14 offset1:32
	s_waitcnt lgkmcnt(0)
	v_fma_f64 v[3:4], v[3:4], v[7:8], v[11:12]
	v_fma_f64 v[11:12], v[5:6], v[9:10], v[3:4]
	ds_read2_b64 v[3:6], v0 offset0:64 offset1:96
	ds_read2_b64 v[7:10], v14 offset0:64 offset1:96
	s_waitcnt lgkmcnt(0)
	v_fma_f64 v[3:4], v[3:4], v[7:8], v[11:12]
	v_fma_f64 v[11:12], v[5:6], v[9:10], v[3:4]
	ds_read2_b64 v[3:6], v0 offset0:128 offset1:160
	ds_read2_b64 v[7:10], v14 offset0:128 offset1:160
	;; [unrolled: 5-line block ×3, first 2 shown]
	v_add_u32_e32 v0, 0x3800, v2
	s_waitcnt lgkmcnt(0)
	v_fma_f64 v[3:4], v[3:4], v[7:8], v[11:12]
	v_fma_f64 v[11:12], v[5:6], v[9:10], v[3:4]
	ds_read2_b64 v[3:6], v0 offset1:32
	ds_read2_b64 v[7:10], v13 offset1:32
	s_waitcnt lgkmcnt(0)
	v_fma_f64 v[3:4], v[3:4], v[7:8], v[11:12]
	v_fma_f64 v[11:12], v[5:6], v[9:10], v[3:4]
	ds_read2_b64 v[3:6], v0 offset0:64 offset1:96
	ds_read2_b64 v[7:10], v13 offset0:64 offset1:96
	s_waitcnt lgkmcnt(0)
	v_fma_f64 v[3:4], v[3:4], v[7:8], v[11:12]
	v_fma_f64 v[11:12], v[5:6], v[9:10], v[3:4]
	ds_read2_b64 v[3:6], v0 offset0:128 offset1:160
	ds_read2_b64 v[7:10], v13 offset0:128 offset1:160
	;; [unrolled: 5-line block ×3, first 2 shown]
	s_waitcnt lgkmcnt(0)
	v_fma_f64 v[3:4], v[3:4], v[7:8], v[11:12]
	v_mad_u64_u32 v[7:8], s[4:5], s14, v1, 0
	v_mov_b32_e32 v0, v8
	v_mad_u64_u32 v[0:1], s[4:5], s15, v1, v[0:1]
	v_fma_f64 v[3:4], v[5:6], v[9:10], v[3:4]
	v_mov_b32_e32 v5, s1
	v_mov_b32_e32 v8, v0
	v_lshlrev_b64 v[0:1], 3, v[7:8]
	v_add_co_u32_e32 v0, vcc, s0, v0
	v_addc_co_u32_e32 v1, vcc, v5, v1, vcc
	v_mul_f64 v[3:4], s[2:3], v[3:4]
	v_add_co_u32_e32 v0, vcc, v0, v2
	v_addc_co_u32_e32 v1, vcc, 0, v1, vcc
	global_store_dwordx2 v[0:1], v[3:4], off
.LBB70_15:
	s_endpgm
	.section	.rodata,"a",@progbits
	.p2align	6, 0x0
	.amdhsa_kernel _ZL23rocblas_trmm_rTx_kernelILi32ELb1EdPKdS0_dEv13rocblas_fill_17rocblas_diagonal_iiT2_lPT3_llS6_llPT4_lli
		.amdhsa_group_segment_fixed_size 16384
		.amdhsa_private_segment_fixed_size 0
		.amdhsa_kernarg_size 108
		.amdhsa_user_sgpr_count 6
		.amdhsa_user_sgpr_private_segment_buffer 1
		.amdhsa_user_sgpr_dispatch_ptr 0
		.amdhsa_user_sgpr_queue_ptr 0
		.amdhsa_user_sgpr_kernarg_segment_ptr 1
		.amdhsa_user_sgpr_dispatch_id 0
		.amdhsa_user_sgpr_flat_scratch_init 0
		.amdhsa_user_sgpr_private_segment_size 0
		.amdhsa_uses_dynamic_stack 0
		.amdhsa_system_sgpr_private_segment_wavefront_offset 0
		.amdhsa_system_sgpr_workgroup_id_x 1
		.amdhsa_system_sgpr_workgroup_id_y 0
		.amdhsa_system_sgpr_workgroup_id_z 1
		.amdhsa_system_sgpr_workgroup_info 0
		.amdhsa_system_vgpr_workitem_id 1
		.amdhsa_next_free_vgpr 29
		.amdhsa_next_free_sgpr 61
		.amdhsa_reserve_vcc 1
		.amdhsa_reserve_flat_scratch 0
		.amdhsa_float_round_mode_32 0
		.amdhsa_float_round_mode_16_64 0
		.amdhsa_float_denorm_mode_32 3
		.amdhsa_float_denorm_mode_16_64 3
		.amdhsa_dx10_clamp 1
		.amdhsa_ieee_mode 1
		.amdhsa_fp16_overflow 0
		.amdhsa_exception_fp_ieee_invalid_op 0
		.amdhsa_exception_fp_denorm_src 0
		.amdhsa_exception_fp_ieee_div_zero 0
		.amdhsa_exception_fp_ieee_overflow 0
		.amdhsa_exception_fp_ieee_underflow 0
		.amdhsa_exception_fp_ieee_inexact 0
		.amdhsa_exception_int_div_zero 0
	.end_amdhsa_kernel
	.section	.text._ZL23rocblas_trmm_rTx_kernelILi32ELb1EdPKdS0_dEv13rocblas_fill_17rocblas_diagonal_iiT2_lPT3_llS6_llPT4_lli,"axG",@progbits,_ZL23rocblas_trmm_rTx_kernelILi32ELb1EdPKdS0_dEv13rocblas_fill_17rocblas_diagonal_iiT2_lPT3_llS6_llPT4_lli,comdat
.Lfunc_end70:
	.size	_ZL23rocblas_trmm_rTx_kernelILi32ELb1EdPKdS0_dEv13rocblas_fill_17rocblas_diagonal_iiT2_lPT3_llS6_llPT4_lli, .Lfunc_end70-_ZL23rocblas_trmm_rTx_kernelILi32ELb1EdPKdS0_dEv13rocblas_fill_17rocblas_diagonal_iiT2_lPT3_llS6_llPT4_lli
                                        ; -- End function
	.set _ZL23rocblas_trmm_rTx_kernelILi32ELb1EdPKdS0_dEv13rocblas_fill_17rocblas_diagonal_iiT2_lPT3_llS6_llPT4_lli.num_vgpr, 15
	.set _ZL23rocblas_trmm_rTx_kernelILi32ELb1EdPKdS0_dEv13rocblas_fill_17rocblas_diagonal_iiT2_lPT3_llS6_llPT4_lli.num_agpr, 0
	.set _ZL23rocblas_trmm_rTx_kernelILi32ELb1EdPKdS0_dEv13rocblas_fill_17rocblas_diagonal_iiT2_lPT3_llS6_llPT4_lli.numbered_sgpr, 26
	.set _ZL23rocblas_trmm_rTx_kernelILi32ELb1EdPKdS0_dEv13rocblas_fill_17rocblas_diagonal_iiT2_lPT3_llS6_llPT4_lli.num_named_barrier, 0
	.set _ZL23rocblas_trmm_rTx_kernelILi32ELb1EdPKdS0_dEv13rocblas_fill_17rocblas_diagonal_iiT2_lPT3_llS6_llPT4_lli.private_seg_size, 0
	.set _ZL23rocblas_trmm_rTx_kernelILi32ELb1EdPKdS0_dEv13rocblas_fill_17rocblas_diagonal_iiT2_lPT3_llS6_llPT4_lli.uses_vcc, 1
	.set _ZL23rocblas_trmm_rTx_kernelILi32ELb1EdPKdS0_dEv13rocblas_fill_17rocblas_diagonal_iiT2_lPT3_llS6_llPT4_lli.uses_flat_scratch, 0
	.set _ZL23rocblas_trmm_rTx_kernelILi32ELb1EdPKdS0_dEv13rocblas_fill_17rocblas_diagonal_iiT2_lPT3_llS6_llPT4_lli.has_dyn_sized_stack, 0
	.set _ZL23rocblas_trmm_rTx_kernelILi32ELb1EdPKdS0_dEv13rocblas_fill_17rocblas_diagonal_iiT2_lPT3_llS6_llPT4_lli.has_recursion, 0
	.set _ZL23rocblas_trmm_rTx_kernelILi32ELb1EdPKdS0_dEv13rocblas_fill_17rocblas_diagonal_iiT2_lPT3_llS6_llPT4_lli.has_indirect_call, 0
	.section	.AMDGPU.csdata,"",@progbits
; Kernel info:
; codeLenInByte = 1328
; TotalNumSgprs: 30
; NumVgprs: 15
; ScratchSize: 0
; MemoryBound: 0
; FloatMode: 240
; IeeeMode: 1
; LDSByteSize: 16384 bytes/workgroup (compile time only)
; SGPRBlocks: 8
; VGPRBlocks: 7
; NumSGPRsForWavesPerEU: 65
; NumVGPRsForWavesPerEU: 29
; Occupancy: 8
; WaveLimiterHint : 0
; COMPUTE_PGM_RSRC2:SCRATCH_EN: 0
; COMPUTE_PGM_RSRC2:USER_SGPR: 6
; COMPUTE_PGM_RSRC2:TRAP_HANDLER: 0
; COMPUTE_PGM_RSRC2:TGID_X_EN: 1
; COMPUTE_PGM_RSRC2:TGID_Y_EN: 0
; COMPUTE_PGM_RSRC2:TGID_Z_EN: 1
; COMPUTE_PGM_RSRC2:TIDIG_COMP_CNT: 1
	.section	.text._ZL23rocblas_trmm_rTx_kernelILi32ELb1EddKddEv13rocblas_fill_17rocblas_diagonal_iiT2_lPT3_llS5_llPT4_lli,"axG",@progbits,_ZL23rocblas_trmm_rTx_kernelILi32ELb1EddKddEv13rocblas_fill_17rocblas_diagonal_iiT2_lPT3_llS5_llPT4_lli,comdat
	.globl	_ZL23rocblas_trmm_rTx_kernelILi32ELb1EddKddEv13rocblas_fill_17rocblas_diagonal_iiT2_lPT3_llS5_llPT4_lli ; -- Begin function _ZL23rocblas_trmm_rTx_kernelILi32ELb1EddKddEv13rocblas_fill_17rocblas_diagonal_iiT2_lPT3_llS5_llPT4_lli
	.p2align	8
	.type	_ZL23rocblas_trmm_rTx_kernelILi32ELb1EddKddEv13rocblas_fill_17rocblas_diagonal_iiT2_lPT3_llS5_llPT4_lli,@function
_ZL23rocblas_trmm_rTx_kernelILi32ELb1EddKddEv13rocblas_fill_17rocblas_diagonal_iiT2_lPT3_llS5_llPT4_lli: ; @_ZL23rocblas_trmm_rTx_kernelILi32ELb1EddKddEv13rocblas_fill_17rocblas_diagonal_iiT2_lPT3_llS5_llPT4_lli
; %bb.0:
	s_load_dwordx2 s[2:3], s[4:5], 0x10
	s_waitcnt lgkmcnt(0)
	v_cmp_eq_f64_e64 s[0:1], s[2:3], 0
	s_and_b64 vcc, exec, s[0:1]
	s_cbranch_vccnz .LBB71_15
; %bb.1:
	s_load_dwordx4 s[24:27], s[4:5], 0x0
	s_load_dwordx16 s[8:23], s[4:5], 0x20
	s_mov_b32 s0, 0
	s_mov_b32 s1, s0
	v_mov_b32_e32 v5, s1
	v_lshlrev_b32_e32 v2, 5, v1
	v_mov_b32_e32 v4, s0
	s_waitcnt lgkmcnt(0)
	v_cmp_gt_i32_e32 vcc, s27, v1
	v_cmp_gt_i32_e64 s[0:1], s27, v0
	v_add_lshl_u32 v3, v2, v0, 3
	s_and_b64 s[0:1], vcc, s[0:1]
	v_lshlrev_b32_e32 v2, 3, v0
	ds_write2st64_b64 v3, v[4:5], v[4:5] offset1:16
	s_and_saveexec_b64 s[28:29], s[0:1]
	s_cbranch_execz .LBB71_3
; %bb.2:
	v_mad_u64_u32 v[4:5], s[0:1], s10, v1, 0
	s_mul_i32 s13, s13, s7
	s_mul_hi_u32 s0, s12, s7
	v_mad_u64_u32 v[5:6], s[10:11], s11, v1, v[5:6]
	s_add_i32 s1, s0, s13
	s_mul_i32 s0, s12, s7
	s_lshl_b64 s[0:1], s[0:1], 3
	s_add_u32 s0, s8, s0
	v_lshlrev_b64 v[4:5], 3, v[4:5]
	s_addc_u32 s1, s9, s1
	v_mov_b32_e32 v6, s1
	v_add_co_u32_e64 v4, s[0:1], s0, v4
	v_addc_co_u32_e64 v5, s[0:1], v6, v5, s[0:1]
	v_add_co_u32_e64 v4, s[0:1], v4, v2
	v_addc_co_u32_e64 v5, s[0:1], 0, v5, s[0:1]
	global_load_dwordx2 v[4:5], v[4:5], off
	s_waitcnt vmcnt(0)
	ds_write_b64 v3, v[4:5]
.LBB71_3:
	s_or_b64 exec, exec, s[28:29]
	s_add_i32 s0, s26, -1
	s_ashr_i32 s1, s0, 31
	s_lshr_b32 s1, s1, 27
	s_add_i32 s0, s0, s1
	s_ashr_i32 s1, s0, 5
	s_andn2_b32 s0, s0, 31
	s_sub_i32 s0, s26, s0
	s_cmp_ge_i32 s6, s1
	s_cselect_b32 s0, s0, 32
	s_lshl_b32 s8, s6, 5
	v_cmp_gt_i32_e64 s[0:1], s0, v0
	s_ashr_i32 s9, s8, 31
	s_and_b64 s[0:1], vcc, s[0:1]
	s_and_saveexec_b64 s[10:11], s[0:1]
	s_cbranch_execz .LBB71_5
; %bb.4:
	s_mul_i32 s6, s19, s7
	s_mul_hi_u32 s12, s18, s7
	s_add_i32 s13, s12, s6
	s_mul_i32 s12, s18, s7
	v_mad_u64_u32 v[4:5], s[18:19], s16, v1, 0
	s_lshl_b64 s[12:13], s[12:13], 3
	s_add_u32 s6, s14, s12
	s_addc_u32 s14, s15, s13
	v_mad_u64_u32 v[5:6], s[12:13], s17, v1, v[5:6]
	s_lshl_b64 s[12:13], s[8:9], 3
	s_add_u32 s6, s6, s12
	v_lshlrev_b64 v[4:5], 3, v[4:5]
	s_addc_u32 s12, s14, s13
	v_mov_b32_e32 v6, s12
	v_add_co_u32_e32 v4, vcc, s6, v4
	v_addc_co_u32_e32 v5, vcc, v6, v5, vcc
	v_add_co_u32_e32 v4, vcc, v4, v2
	v_addc_co_u32_e32 v5, vcc, 0, v5, vcc
	global_load_dwordx2 v[4:5], v[4:5], off
	v_add_u32_e32 v6, 0x2000, v3
	s_waitcnt vmcnt(0)
	ds_write_b64 v6, v[4:5]
.LBB71_5:
	s_or_b64 exec, exec, s[10:11]
	s_cmpk_eq_i32 s25, 0x84
	s_cselect_b64 s[10:11], -1, 0
	v_cmp_eq_u32_e32 vcc, v1, v0
	s_and_b64 s[12:13], vcc, s[10:11]
	s_and_saveexec_b64 s[10:11], s[12:13]
; %bb.6:
	v_mov_b32_e32 v4, 0
	v_mov_b32_e32 v5, 0x3ff00000
	ds_write_b64 v3, v[4:5]
; %bb.7:
	s_or_b64 exec, exec, s[10:11]
	s_cmpk_lg_i32 s24, 0x79
	s_cbranch_scc0 .LBB71_9
; %bb.8:
	v_cmp_lt_u32_e32 vcc, v0, v1
	s_and_b64 s[10:11], vcc, exec
	s_cbranch_execz .LBB71_10
	s_branch .LBB71_11
.LBB71_9:
	s_mov_b64 s[10:11], 0
.LBB71_10:
	v_cmp_gt_u32_e32 vcc, v0, v1
	s_andn2_b64 s[10:11], s[10:11], exec
	s_and_b64 s[12:13], vcc, exec
	s_or_b64 s[10:11], s[10:11], s[12:13]
.LBB71_11:
	s_and_saveexec_b64 s[12:13], s[10:11]
; %bb.12:
	v_mov_b32_e32 v4, 0
	v_mov_b32_e32 v5, v4
	ds_write_b64 v3, v[4:5]
; %bb.13:
	s_or_b64 exec, exec, s[12:13]
	s_waitcnt lgkmcnt(0)
	s_barrier
	s_and_saveexec_b64 s[10:11], s[0:1]
	s_cbranch_execz .LBB71_15
; %bb.14:
	v_add_u32_e32 v0, 0x2000, v2
	v_lshlrev_b32_e32 v13, 3, v1
	ds_read2_b64 v[3:6], v0 offset1:32
	ds_read2_b64 v[7:10], v13 offset1:32
	v_add_u32_e32 v14, 0x800, v13
	v_add_u32_e32 v15, 0x1800, v13
	s_load_dwordx2 s[0:1], s[4:5], 0x60
	s_waitcnt lgkmcnt(0)
	v_fma_f64 v[3:4], v[3:4], v[7:8], 0
	s_mul_i32 s1, s1, s7
	s_mul_hi_u32 s6, s0, s7
	s_mul_i32 s0, s0, s7
	s_add_i32 s1, s6, s1
	s_lshl_b64 s[0:1], s[0:1], 3
	v_fma_f64 v[11:12], v[5:6], v[9:10], v[3:4]
	ds_read2_b64 v[3:6], v0 offset0:64 offset1:96
	ds_read2_b64 v[7:10], v13 offset0:64 offset1:96
	s_waitcnt lgkmcnt(0)
	v_fma_f64 v[3:4], v[3:4], v[7:8], v[11:12]
	v_fma_f64 v[11:12], v[5:6], v[9:10], v[3:4]
	ds_read2_b64 v[3:6], v0 offset0:128 offset1:160
	ds_read2_b64 v[7:10], v13 offset0:128 offset1:160
	s_waitcnt lgkmcnt(0)
	v_fma_f64 v[3:4], v[3:4], v[7:8], v[11:12]
	v_fma_f64 v[11:12], v[5:6], v[9:10], v[3:4]
	ds_read2_b64 v[3:6], v0 offset0:192 offset1:224
	ds_read2_b64 v[7:10], v13 offset0:192 offset1:224
	v_add_u32_e32 v0, 0x2800, v2
	s_waitcnt lgkmcnt(0)
	v_fma_f64 v[3:4], v[3:4], v[7:8], v[11:12]
	v_fma_f64 v[11:12], v[5:6], v[9:10], v[3:4]
	ds_read2_b64 v[3:6], v0 offset1:32
	ds_read2_b64 v[7:10], v14 offset1:32
	s_waitcnt lgkmcnt(0)
	v_fma_f64 v[3:4], v[3:4], v[7:8], v[11:12]
	v_fma_f64 v[11:12], v[5:6], v[9:10], v[3:4]
	ds_read2_b64 v[3:6], v0 offset0:64 offset1:96
	ds_read2_b64 v[7:10], v14 offset0:64 offset1:96
	s_waitcnt lgkmcnt(0)
	v_fma_f64 v[3:4], v[3:4], v[7:8], v[11:12]
	v_fma_f64 v[11:12], v[5:6], v[9:10], v[3:4]
	ds_read2_b64 v[3:6], v0 offset0:128 offset1:160
	ds_read2_b64 v[7:10], v14 offset0:128 offset1:160
	;; [unrolled: 5-line block ×3, first 2 shown]
	v_add_u32_e32 v0, 0x3000, v2
	v_add_u32_e32 v14, 0x1000, v13
	s_waitcnt lgkmcnt(0)
	v_fma_f64 v[3:4], v[3:4], v[7:8], v[11:12]
	v_fma_f64 v[11:12], v[5:6], v[9:10], v[3:4]
	ds_read2_b64 v[3:6], v0 offset1:32
	ds_read2_b64 v[7:10], v14 offset1:32
	s_waitcnt lgkmcnt(0)
	v_fma_f64 v[3:4], v[3:4], v[7:8], v[11:12]
	v_fma_f64 v[11:12], v[5:6], v[9:10], v[3:4]
	ds_read2_b64 v[3:6], v0 offset0:64 offset1:96
	ds_read2_b64 v[7:10], v14 offset0:64 offset1:96
	s_waitcnt lgkmcnt(0)
	v_fma_f64 v[3:4], v[3:4], v[7:8], v[11:12]
	v_fma_f64 v[11:12], v[5:6], v[9:10], v[3:4]
	ds_read2_b64 v[3:6], v0 offset0:128 offset1:160
	ds_read2_b64 v[7:10], v14 offset0:128 offset1:160
	;; [unrolled: 5-line block ×3, first 2 shown]
	v_add_u32_e32 v0, 0x3800, v2
	v_mad_u64_u32 v[13:14], s[4:5], s22, v1, 0
	s_waitcnt lgkmcnt(0)
	v_fma_f64 v[3:4], v[3:4], v[7:8], v[11:12]
	v_fma_f64 v[11:12], v[5:6], v[9:10], v[3:4]
	ds_read2_b64 v[3:6], v0 offset1:32
	ds_read2_b64 v[7:10], v15 offset1:32
	s_waitcnt lgkmcnt(0)
	v_fma_f64 v[3:4], v[3:4], v[7:8], v[11:12]
	v_fma_f64 v[11:12], v[5:6], v[9:10], v[3:4]
	ds_read2_b64 v[3:6], v0 offset0:64 offset1:96
	ds_read2_b64 v[7:10], v15 offset0:64 offset1:96
	s_waitcnt lgkmcnt(0)
	v_fma_f64 v[3:4], v[3:4], v[7:8], v[11:12]
	v_fma_f64 v[11:12], v[5:6], v[9:10], v[3:4]
	ds_read2_b64 v[3:6], v0 offset0:128 offset1:160
	ds_read2_b64 v[7:10], v15 offset0:128 offset1:160
	;; [unrolled: 5-line block ×3, first 2 shown]
	v_mov_b32_e32 v0, v14
	v_mad_u64_u32 v[0:1], s[4:5], s23, v1, v[0:1]
	s_add_u32 s4, s20, s0
	s_addc_u32 s5, s21, s1
	s_lshl_b64 s[0:1], s[8:9], 3
	s_waitcnt lgkmcnt(0)
	v_fma_f64 v[3:4], v[3:4], v[7:8], v[11:12]
	v_mov_b32_e32 v14, v0
	s_add_u32 s0, s4, s0
	v_lshlrev_b64 v[0:1], 3, v[13:14]
	s_addc_u32 s1, s5, s1
	v_add_co_u32_e32 v0, vcc, s0, v0
	v_fma_f64 v[3:4], v[5:6], v[9:10], v[3:4]
	v_mov_b32_e32 v5, s1
	v_addc_co_u32_e32 v1, vcc, v5, v1, vcc
	v_add_co_u32_e32 v0, vcc, v0, v2
	v_addc_co_u32_e32 v1, vcc, 0, v1, vcc
	v_mul_f64 v[3:4], s[2:3], v[3:4]
	global_store_dwordx2 v[0:1], v[3:4], off
.LBB71_15:
	s_endpgm
	.section	.rodata,"a",@progbits
	.p2align	6, 0x0
	.amdhsa_kernel _ZL23rocblas_trmm_rTx_kernelILi32ELb1EddKddEv13rocblas_fill_17rocblas_diagonal_iiT2_lPT3_llS5_llPT4_lli
		.amdhsa_group_segment_fixed_size 16384
		.amdhsa_private_segment_fixed_size 0
		.amdhsa_kernarg_size 108
		.amdhsa_user_sgpr_count 6
		.amdhsa_user_sgpr_private_segment_buffer 1
		.amdhsa_user_sgpr_dispatch_ptr 0
		.amdhsa_user_sgpr_queue_ptr 0
		.amdhsa_user_sgpr_kernarg_segment_ptr 1
		.amdhsa_user_sgpr_dispatch_id 0
		.amdhsa_user_sgpr_flat_scratch_init 0
		.amdhsa_user_sgpr_private_segment_size 0
		.amdhsa_uses_dynamic_stack 0
		.amdhsa_system_sgpr_private_segment_wavefront_offset 0
		.amdhsa_system_sgpr_workgroup_id_x 1
		.amdhsa_system_sgpr_workgroup_id_y 0
		.amdhsa_system_sgpr_workgroup_id_z 1
		.amdhsa_system_sgpr_workgroup_info 0
		.amdhsa_system_vgpr_workitem_id 1
		.amdhsa_next_free_vgpr 29
		.amdhsa_next_free_sgpr 61
		.amdhsa_reserve_vcc 1
		.amdhsa_reserve_flat_scratch 0
		.amdhsa_float_round_mode_32 0
		.amdhsa_float_round_mode_16_64 0
		.amdhsa_float_denorm_mode_32 3
		.amdhsa_float_denorm_mode_16_64 3
		.amdhsa_dx10_clamp 1
		.amdhsa_ieee_mode 1
		.amdhsa_fp16_overflow 0
		.amdhsa_exception_fp_ieee_invalid_op 0
		.amdhsa_exception_fp_denorm_src 0
		.amdhsa_exception_fp_ieee_div_zero 0
		.amdhsa_exception_fp_ieee_overflow 0
		.amdhsa_exception_fp_ieee_underflow 0
		.amdhsa_exception_fp_ieee_inexact 0
		.amdhsa_exception_int_div_zero 0
	.end_amdhsa_kernel
	.section	.text._ZL23rocblas_trmm_rTx_kernelILi32ELb1EddKddEv13rocblas_fill_17rocblas_diagonal_iiT2_lPT3_llS5_llPT4_lli,"axG",@progbits,_ZL23rocblas_trmm_rTx_kernelILi32ELb1EddKddEv13rocblas_fill_17rocblas_diagonal_iiT2_lPT3_llS5_llPT4_lli,comdat
.Lfunc_end71:
	.size	_ZL23rocblas_trmm_rTx_kernelILi32ELb1EddKddEv13rocblas_fill_17rocblas_diagonal_iiT2_lPT3_llS5_llPT4_lli, .Lfunc_end71-_ZL23rocblas_trmm_rTx_kernelILi32ELb1EddKddEv13rocblas_fill_17rocblas_diagonal_iiT2_lPT3_llS5_llPT4_lli
                                        ; -- End function
	.set _ZL23rocblas_trmm_rTx_kernelILi32ELb1EddKddEv13rocblas_fill_17rocblas_diagonal_iiT2_lPT3_llS5_llPT4_lli.num_vgpr, 16
	.set _ZL23rocblas_trmm_rTx_kernelILi32ELb1EddKddEv13rocblas_fill_17rocblas_diagonal_iiT2_lPT3_llS5_llPT4_lli.num_agpr, 0
	.set _ZL23rocblas_trmm_rTx_kernelILi32ELb1EddKddEv13rocblas_fill_17rocblas_diagonal_iiT2_lPT3_llS5_llPT4_lli.numbered_sgpr, 30
	.set _ZL23rocblas_trmm_rTx_kernelILi32ELb1EddKddEv13rocblas_fill_17rocblas_diagonal_iiT2_lPT3_llS5_llPT4_lli.num_named_barrier, 0
	.set _ZL23rocblas_trmm_rTx_kernelILi32ELb1EddKddEv13rocblas_fill_17rocblas_diagonal_iiT2_lPT3_llS5_llPT4_lli.private_seg_size, 0
	.set _ZL23rocblas_trmm_rTx_kernelILi32ELb1EddKddEv13rocblas_fill_17rocblas_diagonal_iiT2_lPT3_llS5_llPT4_lli.uses_vcc, 1
	.set _ZL23rocblas_trmm_rTx_kernelILi32ELb1EddKddEv13rocblas_fill_17rocblas_diagonal_iiT2_lPT3_llS5_llPT4_lli.uses_flat_scratch, 0
	.set _ZL23rocblas_trmm_rTx_kernelILi32ELb1EddKddEv13rocblas_fill_17rocblas_diagonal_iiT2_lPT3_llS5_llPT4_lli.has_dyn_sized_stack, 0
	.set _ZL23rocblas_trmm_rTx_kernelILi32ELb1EddKddEv13rocblas_fill_17rocblas_diagonal_iiT2_lPT3_llS5_llPT4_lli.has_recursion, 0
	.set _ZL23rocblas_trmm_rTx_kernelILi32ELb1EddKddEv13rocblas_fill_17rocblas_diagonal_iiT2_lPT3_llS5_llPT4_lli.has_indirect_call, 0
	.section	.AMDGPU.csdata,"",@progbits
; Kernel info:
; codeLenInByte = 1288
; TotalNumSgprs: 34
; NumVgprs: 16
; ScratchSize: 0
; MemoryBound: 0
; FloatMode: 240
; IeeeMode: 1
; LDSByteSize: 16384 bytes/workgroup (compile time only)
; SGPRBlocks: 8
; VGPRBlocks: 7
; NumSGPRsForWavesPerEU: 65
; NumVGPRsForWavesPerEU: 29
; Occupancy: 8
; WaveLimiterHint : 0
; COMPUTE_PGM_RSRC2:SCRATCH_EN: 0
; COMPUTE_PGM_RSRC2:USER_SGPR: 6
; COMPUTE_PGM_RSRC2:TRAP_HANDLER: 0
; COMPUTE_PGM_RSRC2:TGID_X_EN: 1
; COMPUTE_PGM_RSRC2:TGID_Y_EN: 0
; COMPUTE_PGM_RSRC2:TGID_Z_EN: 1
; COMPUTE_PGM_RSRC2:TIDIG_COMP_CNT: 1
	.section	.text._ZL30rocblas_trmm_outofplace_kernelI19rocblas_complex_numIfELi32ELi2ELb1ELb0ELb0ELb0EPKS1_S2_S1_Ev17rocblas_diagonal_iiT6_lPT7_lllS7_lllPT8_llli,"axG",@progbits,_ZL30rocblas_trmm_outofplace_kernelI19rocblas_complex_numIfELi32ELi2ELb1ELb0ELb0ELb0EPKS1_S2_S1_Ev17rocblas_diagonal_iiT6_lPT7_lllS7_lllPT8_llli,comdat
	.globl	_ZL30rocblas_trmm_outofplace_kernelI19rocblas_complex_numIfELi32ELi2ELb1ELb0ELb0ELb0EPKS1_S2_S1_Ev17rocblas_diagonal_iiT6_lPT7_lllS7_lllPT8_llli ; -- Begin function _ZL30rocblas_trmm_outofplace_kernelI19rocblas_complex_numIfELi32ELi2ELb1ELb0ELb0ELb0EPKS1_S2_S1_Ev17rocblas_diagonal_iiT6_lPT7_lllS7_lllPT8_llli
	.p2align	8
	.type	_ZL30rocblas_trmm_outofplace_kernelI19rocblas_complex_numIfELi32ELi2ELb1ELb0ELb0ELb0EPKS1_S2_S1_Ev17rocblas_diagonal_iiT6_lPT7_lllS7_lllPT8_llli,@function
_ZL30rocblas_trmm_outofplace_kernelI19rocblas_complex_numIfELi32ELi2ELb1ELb0ELb0ELb0EPKS1_S2_S1_Ev17rocblas_diagonal_iiT6_lPT7_lllS7_lllPT8_llli: ; @_ZL30rocblas_trmm_outofplace_kernelI19rocblas_complex_numIfELi32ELi2ELb1ELb0ELb0ELb0EPKS1_S2_S1_Ev17rocblas_diagonal_iiT6_lPT7_lllS7_lllPT8_llli
; %bb.0:
	s_load_dwordx16 s[12:27], s[4:5], 0x10
	s_mov_b64 s[58:59], s[2:3]
	s_mov_b64 s[56:57], s[0:1]
	s_add_u32 s56, s56, s9
	s_addc_u32 s57, s57, 0
	s_waitcnt lgkmcnt(0)
	s_mul_i32 s0, s15, s8
	s_mul_hi_u32 s1, s14, s8
	s_add_i32 s1, s1, s0
	s_mul_i32 s0, s14, s8
	s_lshl_b64 s[0:1], s[0:1], 3
	s_add_u32 s0, s12, s0
	s_addc_u32 s1, s13, s1
	s_load_dwordx2 s[34:35], s[0:1], 0x0
	s_waitcnt lgkmcnt(0)
	s_or_b32 s0, s34, s35
	s_bitset0_b32 s0, 31
	s_cmp_eq_u32 s0, 0
	s_cbranch_scc1 .LBB72_63
; %bb.1:
	s_load_dwordx4 s[28:31], s[4:5], 0x0
	s_waitcnt lgkmcnt(0)
	s_add_i32 s0, s30, -1
	s_ashr_i32 s1, s0, 31
	s_lshr_b32 s1, s1, 27
	s_add_i32 s0, s0, s1
	s_ashr_i32 s31, s0, 5
	s_cmp_gt_i32 s7, s31
	s_cbranch_scc1 .LBB72_63
; %bb.2:
	s_mul_i32 s0, s23, s8
	s_mul_hi_u32 s1, s22, s8
	s_load_dwordx8 s[36:43], s[4:5], 0x50
	s_load_dwordx4 s[44:47], s[4:5], 0x70
	s_add_i32 s1, s1, s0
	s_mul_i32 s0, s22, s8
	s_lshl_b64 s[10:11], s[0:1], 3
	s_add_u32 s0, s16, s10
	s_addc_u32 s1, s17, s11
	s_lshl_b64 s[12:13], s[18:19], 3
	s_add_u32 s9, s0, s12
	s_addc_u32 s14, s1, s13
	s_waitcnt lgkmcnt(0)
	s_mul_i32 s0, s47, s8
	s_mul_hi_u32 s1, s46, s8
	s_add_i32 s1, s1, s0
	s_mul_i32 s0, s46, s8
	s_lshl_b64 s[0:1], s[0:1], 3
	v_mad_u64_u32 v[2:3], s[2:3], s20, v1, 0
	s_load_dword s33, s[4:5], 0x8c
	s_add_u32 s4, s40, s0
	s_addc_u32 s5, s41, s1
	s_lshl_b64 s[0:1], s[42:43], 3
	s_add_u32 s50, s4, s0
	s_addc_u32 s51, s5, s1
	v_mad_u64_u32 v[3:4], s[0:1], s21, v1, v[3:4]
	s_lshl_b32 s52, s6, 5
	s_cmp_gt_i32 s6, -1
	s_cselect_b64 s[22:23], -1, 0
	s_cmpk_eq_i32 s28, 0x84
	s_cselect_b64 s[40:41], -1, 0
	s_ashr_i32 s43, s29, 31
	s_ashr_i32 s6, s30, 31
	s_lshl_b64 s[46:47], s[20:21], 8
	v_lshlrev_b64 v[2:3], 3, v[2:3]
	s_add_u32 s48, s29, -16
	s_addc_u32 s49, s43, -1
	v_add_co_u32_e32 v2, vcc, s9, v2
	s_add_u32 s9, s16, s12
	v_mov_b32_e32 v4, s14
	s_addc_u32 s12, s17, s13
	v_addc_co_u32_e32 v3, vcc, v4, v3, vcc
	v_mov_b32_e32 v4, 0x80
	s_add_u32 s10, s9, s10
	v_lshl_add_u32 v6, v1, 3, v4
	s_addc_u32 s11, s12, s11
	v_mov_b32_e32 v4, s10
	v_mov_b32_e32 v5, s11
	v_mad_u64_u32 v[7:8], s[10:11], s20, v6, v[4:5]
	v_add_u32_e32 v24, s52, v0
	v_ashrrev_i32_e32 v25, 31, v24
	v_mov_b32_e32 v4, v8
	v_add_co_u32_e32 v28, vcc, 16, v24
	v_mad_u64_u32 v[4:5], s[10:11], s21, v6, v[4:5]
	v_addc_co_u32_e32 v29, vcc, 0, v25, vcc
	s_mul_i32 s9, s39, s8
	s_mul_hi_u32 s10, s38, s8
	v_sub_co_u32_e32 v30, vcc, v24, v1
	s_add_i32 s9, s10, s9
	s_mul_i32 s8, s38, s8
	v_subbrev_co_u32_e32 v31, vcc, 0, v25, vcc
	s_lshl_b64 s[8:9], s[8:9], 3
	s_lshl_b64 s[10:11], s[26:27], 3
	v_add_co_u32_e32 v34, vcc, 16, v30
	s_add_u32 s8, s8, s10
	v_addc_co_u32_e32 v35, vcc, 0, v31, vcc
	s_addc_u32 s9, s9, s11
	buffer_store_dword v2, off, s[56:59], 0 ; 4-byte Folded Spill
	s_nop 0
	buffer_store_dword v3, off, s[56:59], 0 offset:4 ; 4-byte Folded Spill
	v_add_co_u32_e32 v36, vcc, -16, v30
	s_add_u32 s8, s24, s8
	v_lshlrev_b32_e32 v2, 8, v1
	v_lshlrev_b32_e32 v54, 3, v0
	v_addc_co_u32_e32 v37, vcc, -1, v31, vcc
	s_addc_u32 s9, s25, s9
	v_add_u32_e32 v55, v54, v2
	v_add_u32_e32 v56, 0x2000, v2
	;; [unrolled: 1-line block ×3, first 2 shown]
	v_mov_b32_e32 v8, v4
	v_mov_b32_e32 v4, s9
	v_add_co_u32_e32 v5, vcc, s8, v54
	s_mov_b32 s42, s29
	v_ashrrev_i32_e32 v3, 31, v2
	v_addc_co_u32_e32 v4, vcc, 0, v4, vcc
	v_cmp_le_i64_e64 s[2:3], s[42:43], v[28:29]
	v_add_co_u32_e32 v5, vcc, 0x80, v5
	v_lshlrev_b64 v[40:41], 3, v[24:25]
	v_lshlrev_b64 v[32:33], 3, v[2:3]
	v_mov_b32_e32 v23, 0
	v_add_u32_e32 v57, v56, v54
	v_cmp_le_i32_e64 s[0:1], s29, v24
	v_cmp_gt_i32_e64 s[4:5], s29, v24
	v_cmp_gt_i32_e64 s[14:15], s29, v2
	v_addc_co_u32_e32 v6, vcc, 0, v4, vcc
	s_lshl_b64 s[20:21], s[36:37], 3
	s_waitcnt lgkmcnt(0)
	s_lshl_b32 s53, s33, 5
	v_mov_b32_e32 v22, 1.0
	s_movk_i32 s54, 0x100
	v_lshl_add_u32 v38, s7, 5, v1
	buffer_store_dword v7, off, s[56:59], 0 offset:8 ; 4-byte Folded Spill
	s_nop 0
	buffer_store_dword v8, off, s[56:59], 0 offset:12 ; 4-byte Folded Spill
	buffer_store_dword v5, off, s[56:59], 0 offset:16 ; 4-byte Folded Spill
	s_nop 0
	buffer_store_dword v6, off, s[56:59], 0 offset:20 ; 4-byte Folded Spill
	s_branch .LBB72_4
.LBB72_3:                               ;   in Loop: Header=BB72_4 Depth=1
	s_or_b64 exec, exec, s[8:9]
	s_add_i32 s7, s33, s7
	s_cmp_le_i32 s7, s31
	v_add_u32_e32 v38, s53, v38
	s_cbranch_scc0 .LBB72_63
.LBB72_4:                               ; =>This Loop Header: Depth=1
                                        ;     Child Loop BB72_7 Depth 2
	v_lshl_add_u32 v58, s7, 5, v1
	s_andn2_b64 vcc, exec, s[22:23]
	v_mov_b32_e32 v20, v23
	v_mov_b32_e32 v21, v23
	;; [unrolled: 1-line block ×8, first 2 shown]
	s_cbranch_vccnz .LBB72_55
; %bb.5:                                ;   in Loop: Header=BB72_4 Depth=1
	buffer_load_dword v7, off, s[56:59], 0 offset:16 ; 4-byte Folded Reload
	buffer_load_dword v8, off, s[56:59], 0 offset:20 ; 4-byte Folded Reload
	buffer_load_dword v50, off, s[56:59], 0 ; 4-byte Folded Reload
	buffer_load_dword v51, off, s[56:59], 0 offset:4 ; 4-byte Folded Reload
	buffer_load_dword v52, off, s[56:59], 0 offset:8 ; 4-byte Folded Reload
	;; [unrolled: 1-line block ×3, first 2 shown]
	v_ashrrev_i32_e32 v39, 31, v38
	v_lshlrev_b64 v[2:3], 3, v[38:39]
	v_mul_lo_u32 v4, s21, v38
	v_add_co_u32_e32 v2, vcc, 0x80, v2
	v_addc_co_u32_e32 v3, vcc, 0, v3, vcc
	v_mul_lo_u32 v5, s20, v39
	v_mul_lo_u32 v3, s36, v3
	;; [unrolled: 1-line block ×3, first 2 shown]
	s_mov_b64 s[24:25], 0
	v_mov_b32_e32 v14, 0
	v_mov_b32_e32 v15, 0
	v_mov_b32_e32 v17, 0
	v_mov_b32_e32 v16, 0
	v_mov_b32_e32 v19, 0
	v_mov_b32_e32 v18, 0
	v_mov_b32_e32 v21, 0
	v_mov_b32_e32 v20, 0
	s_waitcnt vmcnt(4)
	v_mad_u64_u32 v[46:47], s[8:9], s20, v38, v[7:8]
	v_mad_u64_u32 v[48:49], s[8:9], s36, v2, v[7:8]
	v_add3_u32 v47, v4, v47, v5
	v_sub_co_u32_e32 v2, vcc, s30, v58
	v_add3_u32 v49, v6, v49, v3
	v_mov_b32_e32 v3, s6
	v_ashrrev_i32_e32 v4, 31, v58
	v_subb_co_u32_e32 v3, vcc, v3, v4, vcc
	v_cmp_lt_i64_e64 s[8:9], 0, v[2:3]
	v_cmp_lt_i64_e64 s[10:11], 16, v[2:3]
	s_branch .LBB72_7
.LBB72_6:                               ;   in Loop: Header=BB72_7 Depth=2
	s_or_b64 exec, exec, s[12:13]
	s_waitcnt lgkmcnt(0)
	s_barrier
	ds_read_b128 v[60:63], v56
	ds_read_b128 v[10:13], v56 offset:16
	ds_read_b128 v[6:9], v56 offset:32
	ds_read_b128 v[2:5], v56 offset:48
	ds_read2_b64 v[42:45], v54 offset1:16
	v_add_co_u32_e32 v52, vcc, s46, v52
	s_add_u32 s24, s24, 32
	s_addc_u32 s25, s25, 0
	s_waitcnt lgkmcnt(0)
	v_mul_f32_e32 v26, v61, v43
	v_mul_f32_e32 v27, v60, v43
	v_fma_f32 v26, v60, v42, -v26
	v_fmac_f32_e32 v27, v61, v42
	v_add_f32_e32 v26, v20, v26
	v_add_f32_e32 v27, v21, v27
	v_mul_f32_e32 v20, v61, v45
	v_mul_f32_e32 v21, v60, v45
	v_fma_f32 v20, v60, v44, -v20
	v_fmac_f32_e32 v21, v61, v44
	v_add_f32_e32 v39, v18, v20
	v_add_f32_e32 v60, v19, v21
	ds_read_b128 v[18:21], v56 offset:4096
	s_sub_i32 s12, s24, 32
	s_cmp_ge_i32 s12, s52
	s_waitcnt lgkmcnt(0)
	v_mul_f32_e32 v61, v19, v43
	v_mul_f32_e32 v43, v18, v43
	v_fma_f32 v61, v18, v42, -v61
	v_fmac_f32_e32 v43, v19, v42
	v_add_f32_e32 v42, v16, v61
	v_add_f32_e32 v43, v17, v43
	v_mul_f32_e32 v16, v19, v45
	v_mul_f32_e32 v17, v18, v45
	v_fma_f32 v16, v18, v44, -v16
	v_fmac_f32_e32 v17, v19, v44
	v_add_f32_e32 v18, v15, v16
	v_add_f32_e32 v19, v14, v17
	ds_read2_b64 v[14:17], v54 offset0:32 offset1:48
	s_waitcnt lgkmcnt(0)
	v_mul_f32_e32 v44, v63, v15
	v_fma_f32 v44, v62, v14, -v44
	v_add_f32_e32 v44, v26, v44
	v_mul_f32_e32 v26, v63, v17
	v_fma_f32 v26, v62, v16, -v26
	v_mul_f32_e32 v45, v62, v15
	v_add_f32_e32 v39, v39, v26
	v_mul_f32_e32 v26, v21, v15
	v_mul_f32_e32 v15, v20, v15
	v_fmac_f32_e32 v45, v63, v14
	v_fmac_f32_e32 v15, v21, v14
	v_add_f32_e32 v27, v27, v45
	v_mul_f32_e32 v45, v62, v17
	v_fma_f32 v26, v20, v14, -v26
	v_add_f32_e32 v62, v43, v15
	v_mul_f32_e32 v14, v21, v17
	v_mul_f32_e32 v15, v20, v17
	v_fma_f32 v14, v20, v16, -v14
	v_fmac_f32_e32 v15, v21, v16
	v_fmac_f32_e32 v45, v63, v16
	v_add_f32_e32 v61, v42, v26
	v_add_f32_e32 v63, v18, v14
	;; [unrolled: 1-line block ×3, first 2 shown]
	ds_read2_b64 v[14:17], v54 offset0:64 offset1:80
	v_add_f32_e32 v59, v60, v45
	s_waitcnt lgkmcnt(0)
	v_mul_f32_e32 v18, v11, v15
	v_mul_f32_e32 v19, v10, v15
	v_fma_f32 v18, v10, v14, -v18
	v_fmac_f32_e32 v19, v11, v14
	v_add_f32_e32 v45, v44, v18
	v_add_f32_e32 v60, v27, v19
	v_mul_f32_e32 v18, v11, v17
	v_mul_f32_e32 v19, v10, v17
	v_fma_f32 v18, v10, v16, -v18
	v_fmac_f32_e32 v19, v11, v16
	v_add_f32_e32 v10, v39, v18
	v_add_f32_e32 v11, v59, v19
	ds_read_b128 v[18:21], v56 offset:4112
	s_waitcnt lgkmcnt(0)
	v_mul_f32_e32 v27, v19, v15
	v_mul_f32_e32 v15, v18, v15
	v_fmac_f32_e32 v15, v19, v14
	v_fma_f32 v27, v18, v14, -v27
	v_add_f32_e32 v39, v62, v15
	v_mul_f32_e32 v14, v19, v17
	v_mul_f32_e32 v15, v18, v17
	v_fma_f32 v14, v18, v16, -v14
	v_fmac_f32_e32 v15, v19, v16
	v_add_f32_e32 v18, v63, v14
	v_add_f32_e32 v19, v26, v15
	ds_read2_b64 v[14:17], v54 offset0:96 offset1:112
	v_add_f32_e32 v27, v61, v27
	s_waitcnt lgkmcnt(0)
	v_mul_f32_e32 v26, v13, v15
	v_mul_f32_e32 v43, v13, v17
	v_fma_f32 v26, v12, v14, -v26
	v_mul_f32_e32 v42, v12, v15
	v_fma_f32 v43, v12, v16, -v43
	v_mul_f32_e32 v12, v12, v17
	v_fmac_f32_e32 v12, v13, v16
	v_add_f32_e32 v43, v10, v43
	v_add_f32_e32 v44, v11, v12
	v_mul_f32_e32 v10, v21, v15
	v_mul_f32_e32 v11, v20, v15
	v_fma_f32 v10, v20, v14, -v10
	v_fmac_f32_e32 v11, v21, v14
	v_fmac_f32_e32 v42, v13, v14
	v_add_f32_e32 v14, v27, v10
	v_add_f32_e32 v15, v39, v11
	v_mul_f32_e32 v10, v21, v17
	v_mul_f32_e32 v11, v20, v17
	v_fma_f32 v10, v20, v16, -v10
	v_fmac_f32_e32 v11, v21, v16
	v_add_f32_e32 v20, v18, v10
	v_add_f32_e32 v21, v19, v11
	ds_read2_b64 v[10:13], v54 offset0:128 offset1:144
	v_add_f32_e32 v26, v45, v26
	v_add_f32_e32 v42, v60, v42
	s_waitcnt lgkmcnt(0)
	v_mul_f32_e32 v16, v7, v11
	v_fma_f32 v16, v6, v10, -v16
	v_mul_f32_e32 v17, v6, v11
	v_add_f32_e32 v26, v26, v16
	v_mul_f32_e32 v16, v7, v13
	v_fmac_f32_e32 v17, v7, v10
	v_fma_f32 v16, v6, v12, -v16
	v_mul_f32_e32 v6, v6, v13
	v_add_f32_e32 v27, v42, v17
	v_fmac_f32_e32 v6, v7, v12
	v_add_f32_e32 v7, v43, v16
	ds_read_b128 v[16:19], v56 offset:4128
	v_add_f32_e32 v6, v44, v6
	s_waitcnt lgkmcnt(0)
	v_mul_f32_e32 v39, v17, v11
	v_mul_f32_e32 v11, v16, v11
	v_fmac_f32_e32 v11, v17, v10
	v_fma_f32 v39, v16, v10, -v39
	v_add_f32_e32 v15, v15, v11
	v_mul_f32_e32 v10, v17, v13
	v_mul_f32_e32 v11, v16, v13
	v_fma_f32 v10, v16, v12, -v10
	v_fmac_f32_e32 v11, v17, v12
	v_add_f32_e32 v20, v20, v10
	v_add_f32_e32 v21, v21, v11
	ds_read2_b64 v[10:13], v54 offset0:160 offset1:176
	v_add_f32_e32 v14, v14, v39
	s_waitcnt lgkmcnt(0)
	v_mul_f32_e32 v16, v9, v11
	v_fma_f32 v16, v8, v10, -v16
	v_add_f32_e32 v26, v26, v16
	v_mul_f32_e32 v16, v9, v13
	v_mul_f32_e32 v17, v8, v11
	v_fma_f32 v16, v8, v12, -v16
	v_mul_f32_e32 v8, v8, v13
	v_fmac_f32_e32 v8, v9, v12
	v_add_f32_e32 v39, v7, v16
	v_add_f32_e32 v42, v6, v8
	v_mul_f32_e32 v6, v19, v11
	v_mul_f32_e32 v7, v18, v11
	v_fmac_f32_e32 v17, v9, v10
	v_fma_f32 v6, v18, v10, -v6
	v_fmac_f32_e32 v7, v19, v10
	v_add_f32_e32 v27, v27, v17
	v_add_f32_e32 v16, v14, v6
	v_add_f32_e32 v17, v15, v7
	v_mul_f32_e32 v6, v19, v13
	v_mul_f32_e32 v7, v18, v13
	v_fma_f32 v6, v18, v12, -v6
	v_fmac_f32_e32 v7, v19, v12
	v_add_f32_e32 v18, v20, v6
	v_add_f32_e32 v19, v21, v7
	ds_read2_b64 v[6:9], v54 offset0:192 offset1:208
	s_waitcnt lgkmcnt(0)
	v_mul_f32_e32 v10, v3, v7
	v_mul_f32_e32 v11, v2, v7
	v_fma_f32 v10, v2, v6, -v10
	v_fmac_f32_e32 v11, v3, v6
	v_add_f32_e32 v14, v26, v10
	v_add_f32_e32 v15, v27, v11
	v_mul_f32_e32 v10, v3, v9
	v_mul_f32_e32 v11, v2, v9
	v_fma_f32 v10, v2, v8, -v10
	v_fmac_f32_e32 v11, v3, v8
	v_add_f32_e32 v2, v39, v10
	v_add_f32_e32 v3, v42, v11
	ds_read_b128 v[10:13], v56 offset:4144
	s_waitcnt lgkmcnt(0)
	v_mul_f32_e32 v20, v11, v7
	v_mul_f32_e32 v7, v10, v7
	v_fmac_f32_e32 v7, v11, v6
	v_fma_f32 v20, v10, v6, -v20
	v_add_f32_e32 v17, v17, v7
	v_mul_f32_e32 v6, v11, v9
	v_mul_f32_e32 v7, v10, v9
	v_fma_f32 v6, v10, v8, -v6
	v_fmac_f32_e32 v7, v11, v8
	v_add_f32_e32 v10, v18, v6
	v_add_f32_e32 v11, v19, v7
	ds_read2_b64 v[6:9], v54 offset0:224 offset1:240
	v_add_f32_e32 v16, v16, v20
	s_waitcnt lgkmcnt(0)
	v_mul_f32_e32 v18, v5, v7
	v_fma_f32 v18, v4, v6, -v18
	v_add_f32_e32 v18, v14, v18
	v_mul_f32_e32 v14, v5, v9
	v_mul_f32_e32 v19, v4, v7
	v_fma_f32 v14, v4, v8, -v14
	v_mul_f32_e32 v4, v4, v9
	v_fmac_f32_e32 v19, v5, v6
	v_fmac_f32_e32 v4, v5, v8
	v_add_f32_e32 v15, v15, v19
	v_add_f32_e32 v19, v2, v14
	;; [unrolled: 1-line block ×3, first 2 shown]
	v_mul_f32_e32 v2, v13, v7
	v_mul_f32_e32 v3, v12, v7
	v_fma_f32 v2, v12, v6, -v2
	v_fmac_f32_e32 v3, v13, v6
	v_add_f32_e32 v21, v16, v2
	v_add_f32_e32 v26, v17, v3
	v_mul_f32_e32 v2, v13, v9
	v_mul_f32_e32 v3, v12, v9
	v_fma_f32 v2, v12, v8, -v2
	v_fmac_f32_e32 v3, v13, v8
	v_add_u32_e32 v14, 0x800, v54
	v_add_f32_e32 v10, v10, v2
	v_add_f32_e32 v11, v11, v3
	ds_read_b128 v[2:5], v56 offset:64
	ds_read2_b64 v[6:9], v14 offset1:16
	s_waitcnt lgkmcnt(0)
	v_mul_f32_e32 v13, v2, v7
	v_fmac_f32_e32 v13, v3, v6
	v_mul_f32_e32 v12, v3, v7
	v_add_f32_e32 v13, v15, v13
	v_mul_f32_e32 v15, v3, v9
	v_fma_f32 v12, v2, v6, -v12
	v_fma_f32 v15, v2, v8, -v15
	v_mul_f32_e32 v2, v2, v9
	v_add_f32_e32 v12, v18, v12
	v_fmac_f32_e32 v2, v3, v8
	v_add_f32_e32 v3, v19, v15
	ds_read_b128 v[15:18], v56 offset:4160
	v_add_f32_e32 v2, v20, v2
	s_waitcnt lgkmcnt(0)
	v_mul_f32_e32 v19, v16, v7
	v_mul_f32_e32 v7, v15, v7
	v_fmac_f32_e32 v7, v16, v6
	v_fma_f32 v19, v15, v6, -v19
	v_add_f32_e32 v20, v26, v7
	v_mul_f32_e32 v6, v16, v9
	v_mul_f32_e32 v7, v15, v9
	v_fma_f32 v6, v15, v8, -v6
	v_fmac_f32_e32 v7, v16, v8
	v_add_f32_e32 v19, v21, v19
	v_add_f32_e32 v21, v10, v6
	;; [unrolled: 1-line block ×3, first 2 shown]
	ds_read2_b64 v[6:9], v14 offset0:32 offset1:48
	s_waitcnt lgkmcnt(0)
	v_mul_f32_e32 v10, v5, v7
	v_fma_f32 v10, v4, v6, -v10
	v_add_f32_e32 v10, v12, v10
	v_mul_f32_e32 v12, v5, v9
	v_mul_f32_e32 v11, v4, v7
	v_fma_f32 v12, v4, v8, -v12
	v_mul_f32_e32 v4, v4, v9
	v_fmac_f32_e32 v11, v5, v6
	v_fmac_f32_e32 v4, v5, v8
	v_add_f32_e32 v11, v13, v11
	v_add_f32_e32 v12, v3, v12
	;; [unrolled: 1-line block ×3, first 2 shown]
	v_mul_f32_e32 v2, v18, v7
	v_mul_f32_e32 v3, v17, v7
	v_fma_f32 v2, v17, v6, -v2
	v_fmac_f32_e32 v3, v18, v6
	v_add_f32_e32 v15, v19, v2
	v_add_f32_e32 v16, v20, v3
	v_mul_f32_e32 v2, v18, v9
	v_mul_f32_e32 v3, v17, v9
	v_fma_f32 v2, v17, v8, -v2
	v_fmac_f32_e32 v3, v18, v8
	v_add_f32_e32 v17, v21, v2
	v_add_f32_e32 v18, v26, v3
	ds_read_b128 v[2:5], v56 offset:80
	ds_read2_b64 v[6:9], v14 offset0:64 offset1:80
	s_waitcnt lgkmcnt(0)
	v_mul_f32_e32 v19, v3, v7
	v_mul_f32_e32 v20, v2, v7
	v_fma_f32 v19, v2, v6, -v19
	v_fmac_f32_e32 v20, v3, v6
	v_add_f32_e32 v19, v10, v19
	v_add_f32_e32 v20, v11, v20
	v_mul_f32_e32 v10, v3, v9
	v_mul_f32_e32 v11, v2, v9
	v_fma_f32 v10, v2, v8, -v10
	v_fmac_f32_e32 v11, v3, v8
	v_add_f32_e32 v2, v12, v10
	v_add_f32_e32 v3, v13, v11
	ds_read_b128 v[10:13], v56 offset:4176
	s_waitcnt lgkmcnt(0)
	v_mul_f32_e32 v21, v11, v7
	v_mul_f32_e32 v7, v10, v7
	v_fmac_f32_e32 v7, v11, v6
	v_fma_f32 v21, v10, v6, -v21
	v_add_f32_e32 v16, v16, v7
	v_mul_f32_e32 v6, v11, v9
	v_mul_f32_e32 v7, v10, v9
	v_fma_f32 v6, v10, v8, -v6
	v_fmac_f32_e32 v7, v11, v8
	v_add_f32_e32 v10, v17, v6
	v_add_f32_e32 v11, v18, v7
	ds_read2_b64 v[6:9], v14 offset0:96 offset1:112
	v_add_f32_e32 v15, v15, v21
	s_waitcnt lgkmcnt(0)
	v_mul_f32_e32 v17, v5, v7
	v_fma_f32 v17, v4, v6, -v17
	v_add_f32_e32 v17, v19, v17
	v_mul_f32_e32 v19, v5, v9
	v_mul_f32_e32 v18, v4, v7
	v_fma_f32 v19, v4, v8, -v19
	v_mul_f32_e32 v4, v4, v9
	v_fmac_f32_e32 v18, v5, v6
	v_fmac_f32_e32 v4, v5, v8
	v_add_f32_e32 v18, v20, v18
	v_add_f32_e32 v19, v2, v19
	;; [unrolled: 1-line block ×3, first 2 shown]
	v_mul_f32_e32 v2, v13, v7
	v_mul_f32_e32 v3, v12, v7
	v_fma_f32 v2, v12, v6, -v2
	v_fmac_f32_e32 v3, v13, v6
	v_add_f32_e32 v21, v15, v2
	v_add_f32_e32 v26, v16, v3
	v_mul_f32_e32 v2, v13, v9
	v_mul_f32_e32 v3, v12, v9
	v_fma_f32 v2, v12, v8, -v2
	v_fmac_f32_e32 v3, v13, v8
	v_add_f32_e32 v10, v10, v2
	v_add_f32_e32 v11, v11, v3
	ds_read_b128 v[2:5], v56 offset:96
	ds_read2_b64 v[6:9], v14 offset0:128 offset1:144
	s_waitcnt lgkmcnt(0)
	v_mul_f32_e32 v12, v3, v7
	v_mul_f32_e32 v13, v2, v7
	;; [unrolled: 1-line block ×3, first 2 shown]
	v_fma_f32 v12, v2, v6, -v12
	v_fmac_f32_e32 v13, v3, v6
	v_fma_f32 v15, v2, v8, -v15
	v_mul_f32_e32 v2, v2, v9
	v_add_f32_e32 v12, v17, v12
	v_add_f32_e32 v13, v18, v13
	v_fmac_f32_e32 v2, v3, v8
	v_add_f32_e32 v3, v19, v15
	ds_read_b128 v[15:18], v56 offset:4192
	v_add_f32_e32 v2, v20, v2
	s_waitcnt lgkmcnt(0)
	v_mul_f32_e32 v19, v16, v7
	v_mul_f32_e32 v7, v15, v7
	v_fmac_f32_e32 v7, v16, v6
	v_fma_f32 v19, v15, v6, -v19
	v_add_f32_e32 v20, v26, v7
	v_mul_f32_e32 v6, v16, v9
	v_mul_f32_e32 v7, v15, v9
	v_fma_f32 v6, v15, v8, -v6
	v_fmac_f32_e32 v7, v16, v8
	v_add_f32_e32 v19, v21, v19
	v_add_f32_e32 v21, v10, v6
	;; [unrolled: 1-line block ×3, first 2 shown]
	ds_read2_b64 v[6:9], v14 offset0:160 offset1:176
	s_waitcnt lgkmcnt(0)
	v_mul_f32_e32 v10, v5, v7
	v_fma_f32 v10, v4, v6, -v10
	v_add_f32_e32 v10, v12, v10
	v_mul_f32_e32 v12, v5, v9
	v_mul_f32_e32 v11, v4, v7
	v_fma_f32 v12, v4, v8, -v12
	v_mul_f32_e32 v4, v4, v9
	v_fmac_f32_e32 v11, v5, v6
	v_fmac_f32_e32 v4, v5, v8
	v_add_f32_e32 v11, v13, v11
	v_add_f32_e32 v12, v3, v12
	;; [unrolled: 1-line block ×3, first 2 shown]
	v_mul_f32_e32 v2, v18, v7
	v_mul_f32_e32 v3, v17, v7
	v_fma_f32 v2, v17, v6, -v2
	v_fmac_f32_e32 v3, v18, v6
	v_add_f32_e32 v15, v19, v2
	v_add_f32_e32 v16, v20, v3
	v_mul_f32_e32 v2, v18, v9
	v_mul_f32_e32 v3, v17, v9
	v_fma_f32 v2, v17, v8, -v2
	v_fmac_f32_e32 v3, v18, v8
	v_add_f32_e32 v17, v21, v2
	v_add_f32_e32 v18, v26, v3
	ds_read_b128 v[2:5], v56 offset:112
	ds_read2_b64 v[6:9], v14 offset0:192 offset1:208
	s_waitcnt lgkmcnt(0)
	v_mul_f32_e32 v19, v3, v7
	v_mul_f32_e32 v20, v2, v7
	v_fma_f32 v19, v2, v6, -v19
	v_fmac_f32_e32 v20, v3, v6
	v_add_f32_e32 v19, v10, v19
	v_add_f32_e32 v20, v11, v20
	v_mul_f32_e32 v10, v3, v9
	v_mul_f32_e32 v11, v2, v9
	v_fma_f32 v10, v2, v8, -v10
	v_fmac_f32_e32 v11, v3, v8
	v_add_f32_e32 v2, v12, v10
	v_add_f32_e32 v3, v13, v11
	ds_read_b128 v[10:13], v56 offset:4208
	s_waitcnt lgkmcnt(0)
	v_mul_f32_e32 v21, v11, v7
	v_mul_f32_e32 v7, v10, v7
	v_fmac_f32_e32 v7, v11, v6
	v_fma_f32 v21, v10, v6, -v21
	v_add_f32_e32 v16, v16, v7
	v_mul_f32_e32 v6, v11, v9
	v_mul_f32_e32 v7, v10, v9
	v_fma_f32 v6, v10, v8, -v6
	v_fmac_f32_e32 v7, v11, v8
	v_add_f32_e32 v10, v17, v6
	v_add_f32_e32 v11, v18, v7
	ds_read2_b64 v[6:9], v14 offset0:224 offset1:240
	v_add_f32_e32 v15, v15, v21
	s_waitcnt lgkmcnt(0)
	v_mul_f32_e32 v14, v5, v7
	v_fma_f32 v14, v4, v6, -v14
	v_add_f32_e32 v18, v19, v14
	v_mul_f32_e32 v14, v5, v9
	v_mul_f32_e32 v17, v4, v7
	v_fma_f32 v14, v4, v8, -v14
	v_mul_f32_e32 v4, v4, v9
	v_fmac_f32_e32 v17, v5, v6
	v_fmac_f32_e32 v4, v5, v8
	v_add_f32_e32 v17, v20, v17
	v_add_f32_e32 v19, v2, v14
	;; [unrolled: 1-line block ×3, first 2 shown]
	v_mul_f32_e32 v2, v13, v7
	v_mul_f32_e32 v3, v12, v7
	v_fma_f32 v2, v12, v6, -v2
	v_fmac_f32_e32 v3, v13, v6
	v_add_f32_e32 v21, v15, v2
	v_add_f32_e32 v26, v16, v3
	v_mul_f32_e32 v2, v13, v9
	v_mul_f32_e32 v3, v12, v9
	v_fma_f32 v2, v12, v8, -v2
	v_fmac_f32_e32 v3, v13, v8
	v_add_u32_e32 v14, 0x1000, v54
	v_add_f32_e32 v10, v10, v2
	v_add_f32_e32 v11, v11, v3
	ds_read_b128 v[2:5], v56 offset:128
	ds_read2_b64 v[6:9], v14 offset1:16
	s_waitcnt lgkmcnt(0)
	v_mul_f32_e32 v12, v3, v7
	v_mul_f32_e32 v13, v2, v7
	;; [unrolled: 1-line block ×3, first 2 shown]
	v_fma_f32 v12, v2, v6, -v12
	v_fmac_f32_e32 v13, v3, v6
	v_fma_f32 v15, v2, v8, -v15
	v_mul_f32_e32 v2, v2, v9
	v_add_f32_e32 v12, v18, v12
	v_add_f32_e32 v13, v17, v13
	v_fmac_f32_e32 v2, v3, v8
	v_add_f32_e32 v3, v19, v15
	ds_read_b128 v[15:18], v56 offset:4224
	v_add_f32_e32 v2, v20, v2
	s_waitcnt lgkmcnt(0)
	v_mul_f32_e32 v19, v16, v7
	v_mul_f32_e32 v7, v15, v7
	v_fmac_f32_e32 v7, v16, v6
	v_fma_f32 v19, v15, v6, -v19
	v_add_f32_e32 v20, v26, v7
	v_mul_f32_e32 v6, v16, v9
	v_mul_f32_e32 v7, v15, v9
	v_fma_f32 v6, v15, v8, -v6
	v_fmac_f32_e32 v7, v16, v8
	v_add_f32_e32 v19, v21, v19
	v_add_f32_e32 v21, v10, v6
	;; [unrolled: 1-line block ×3, first 2 shown]
	ds_read2_b64 v[6:9], v14 offset0:32 offset1:48
	s_waitcnt lgkmcnt(0)
	v_mul_f32_e32 v10, v5, v7
	v_fma_f32 v10, v4, v6, -v10
	v_add_f32_e32 v10, v12, v10
	v_mul_f32_e32 v12, v5, v9
	v_mul_f32_e32 v11, v4, v7
	v_fma_f32 v12, v4, v8, -v12
	v_mul_f32_e32 v4, v4, v9
	v_fmac_f32_e32 v11, v5, v6
	v_fmac_f32_e32 v4, v5, v8
	v_add_f32_e32 v11, v13, v11
	v_add_f32_e32 v12, v3, v12
	;; [unrolled: 1-line block ×3, first 2 shown]
	v_mul_f32_e32 v2, v18, v7
	v_mul_f32_e32 v3, v17, v7
	v_fma_f32 v2, v17, v6, -v2
	v_fmac_f32_e32 v3, v18, v6
	v_add_f32_e32 v15, v19, v2
	v_add_f32_e32 v16, v20, v3
	v_mul_f32_e32 v2, v18, v9
	v_mul_f32_e32 v3, v17, v9
	v_fma_f32 v2, v17, v8, -v2
	v_fmac_f32_e32 v3, v18, v8
	v_add_f32_e32 v17, v21, v2
	v_add_f32_e32 v18, v26, v3
	ds_read_b128 v[2:5], v56 offset:144
	ds_read2_b64 v[6:9], v14 offset0:64 offset1:80
	s_waitcnt lgkmcnt(0)
	v_mul_f32_e32 v19, v3, v7
	v_mul_f32_e32 v20, v2, v7
	v_fma_f32 v19, v2, v6, -v19
	v_fmac_f32_e32 v20, v3, v6
	v_add_f32_e32 v19, v10, v19
	v_add_f32_e32 v20, v11, v20
	v_mul_f32_e32 v10, v3, v9
	v_mul_f32_e32 v11, v2, v9
	v_fma_f32 v10, v2, v8, -v10
	v_fmac_f32_e32 v11, v3, v8
	v_add_f32_e32 v2, v12, v10
	v_add_f32_e32 v3, v13, v11
	ds_read_b128 v[10:13], v56 offset:4240
	s_waitcnt lgkmcnt(0)
	v_mul_f32_e32 v21, v11, v7
	v_mul_f32_e32 v7, v10, v7
	v_fmac_f32_e32 v7, v11, v6
	v_fma_f32 v21, v10, v6, -v21
	v_add_f32_e32 v16, v16, v7
	v_mul_f32_e32 v6, v11, v9
	v_mul_f32_e32 v7, v10, v9
	v_fma_f32 v6, v10, v8, -v6
	v_fmac_f32_e32 v7, v11, v8
	v_add_f32_e32 v10, v17, v6
	v_add_f32_e32 v11, v18, v7
	ds_read2_b64 v[6:9], v14 offset0:96 offset1:112
	v_add_f32_e32 v15, v15, v21
	s_waitcnt lgkmcnt(0)
	v_mul_f32_e32 v17, v5, v7
	v_fma_f32 v17, v4, v6, -v17
	v_add_f32_e32 v17, v19, v17
	v_mul_f32_e32 v19, v5, v9
	v_mul_f32_e32 v18, v4, v7
	v_fma_f32 v19, v4, v8, -v19
	v_mul_f32_e32 v4, v4, v9
	v_fmac_f32_e32 v18, v5, v6
	v_fmac_f32_e32 v4, v5, v8
	v_add_f32_e32 v18, v20, v18
	v_add_f32_e32 v19, v2, v19
	;; [unrolled: 1-line block ×3, first 2 shown]
	v_mul_f32_e32 v2, v13, v7
	v_mul_f32_e32 v3, v12, v7
	v_fma_f32 v2, v12, v6, -v2
	v_fmac_f32_e32 v3, v13, v6
	v_add_f32_e32 v21, v15, v2
	v_add_f32_e32 v26, v16, v3
	v_mul_f32_e32 v2, v13, v9
	v_mul_f32_e32 v3, v12, v9
	v_fma_f32 v2, v12, v8, -v2
	v_fmac_f32_e32 v3, v13, v8
	v_add_f32_e32 v10, v10, v2
	v_add_f32_e32 v11, v11, v3
	ds_read_b128 v[2:5], v56 offset:160
	ds_read2_b64 v[6:9], v14 offset0:128 offset1:144
	s_waitcnt lgkmcnt(0)
	v_mul_f32_e32 v12, v3, v7
	v_mul_f32_e32 v13, v2, v7
	;; [unrolled: 1-line block ×3, first 2 shown]
	v_fma_f32 v12, v2, v6, -v12
	v_fmac_f32_e32 v13, v3, v6
	v_fma_f32 v15, v2, v8, -v15
	v_mul_f32_e32 v2, v2, v9
	v_add_f32_e32 v12, v17, v12
	v_add_f32_e32 v13, v18, v13
	v_fmac_f32_e32 v2, v3, v8
	v_add_f32_e32 v3, v19, v15
	ds_read_b128 v[15:18], v56 offset:4256
	v_add_f32_e32 v2, v20, v2
	s_waitcnt lgkmcnt(0)
	v_mul_f32_e32 v19, v16, v7
	v_mul_f32_e32 v7, v15, v7
	v_fmac_f32_e32 v7, v16, v6
	v_fma_f32 v19, v15, v6, -v19
	v_add_f32_e32 v20, v26, v7
	v_mul_f32_e32 v6, v16, v9
	v_mul_f32_e32 v7, v15, v9
	v_fma_f32 v6, v15, v8, -v6
	v_fmac_f32_e32 v7, v16, v8
	v_add_f32_e32 v19, v21, v19
	v_add_f32_e32 v21, v10, v6
	;; [unrolled: 1-line block ×3, first 2 shown]
	ds_read2_b64 v[6:9], v14 offset0:160 offset1:176
	s_waitcnt lgkmcnt(0)
	v_mul_f32_e32 v10, v5, v7
	v_fma_f32 v10, v4, v6, -v10
	v_add_f32_e32 v10, v12, v10
	v_mul_f32_e32 v12, v5, v9
	v_mul_f32_e32 v11, v4, v7
	v_fma_f32 v12, v4, v8, -v12
	v_mul_f32_e32 v4, v4, v9
	v_fmac_f32_e32 v11, v5, v6
	v_fmac_f32_e32 v4, v5, v8
	v_add_f32_e32 v11, v13, v11
	v_add_f32_e32 v12, v3, v12
	;; [unrolled: 1-line block ×3, first 2 shown]
	v_mul_f32_e32 v2, v18, v7
	v_mul_f32_e32 v3, v17, v7
	v_fma_f32 v2, v17, v6, -v2
	v_fmac_f32_e32 v3, v18, v6
	v_add_f32_e32 v15, v19, v2
	v_add_f32_e32 v16, v20, v3
	v_mul_f32_e32 v2, v18, v9
	v_mul_f32_e32 v3, v17, v9
	v_fma_f32 v2, v17, v8, -v2
	v_fmac_f32_e32 v3, v18, v8
	v_add_f32_e32 v17, v21, v2
	v_add_f32_e32 v18, v26, v3
	ds_read_b128 v[2:5], v56 offset:176
	ds_read2_b64 v[6:9], v14 offset0:192 offset1:208
	s_waitcnt lgkmcnt(0)
	v_mul_f32_e32 v19, v3, v7
	v_mul_f32_e32 v20, v2, v7
	v_fma_f32 v19, v2, v6, -v19
	v_fmac_f32_e32 v20, v3, v6
	v_add_f32_e32 v19, v10, v19
	v_add_f32_e32 v20, v11, v20
	v_mul_f32_e32 v10, v3, v9
	v_mul_f32_e32 v11, v2, v9
	v_fma_f32 v10, v2, v8, -v10
	v_fmac_f32_e32 v11, v3, v8
	v_add_f32_e32 v2, v12, v10
	v_add_f32_e32 v3, v13, v11
	ds_read_b128 v[10:13], v56 offset:4272
	s_waitcnt lgkmcnt(0)
	v_mul_f32_e32 v21, v11, v7
	v_mul_f32_e32 v7, v10, v7
	v_fmac_f32_e32 v7, v11, v6
	v_fma_f32 v21, v10, v6, -v21
	v_add_f32_e32 v16, v16, v7
	v_mul_f32_e32 v6, v11, v9
	v_mul_f32_e32 v7, v10, v9
	v_fma_f32 v6, v10, v8, -v6
	v_fmac_f32_e32 v7, v11, v8
	v_add_f32_e32 v10, v17, v6
	v_add_f32_e32 v11, v18, v7
	ds_read2_b64 v[6:9], v14 offset0:224 offset1:240
	v_add_f32_e32 v15, v15, v21
	s_waitcnt lgkmcnt(0)
	v_mul_f32_e32 v14, v5, v7
	v_fma_f32 v14, v4, v6, -v14
	v_add_f32_e32 v18, v19, v14
	v_mul_f32_e32 v14, v5, v9
	v_mul_f32_e32 v17, v4, v7
	v_fma_f32 v14, v4, v8, -v14
	v_mul_f32_e32 v4, v4, v9
	v_fmac_f32_e32 v17, v5, v6
	v_fmac_f32_e32 v4, v5, v8
	v_add_f32_e32 v17, v20, v17
	v_add_f32_e32 v19, v2, v14
	;; [unrolled: 1-line block ×3, first 2 shown]
	v_mul_f32_e32 v2, v13, v7
	v_mul_f32_e32 v3, v12, v7
	v_fma_f32 v2, v12, v6, -v2
	v_fmac_f32_e32 v3, v13, v6
	v_add_f32_e32 v21, v15, v2
	v_add_f32_e32 v26, v16, v3
	v_mul_f32_e32 v2, v13, v9
	v_mul_f32_e32 v3, v12, v9
	v_fma_f32 v2, v12, v8, -v2
	v_fmac_f32_e32 v3, v13, v8
	v_add_u32_e32 v14, 0x1800, v54
	v_add_f32_e32 v10, v10, v2
	v_add_f32_e32 v11, v11, v3
	ds_read_b128 v[2:5], v56 offset:192
	ds_read2_b64 v[6:9], v14 offset1:16
	s_waitcnt lgkmcnt(0)
	v_mul_f32_e32 v12, v3, v7
	v_mul_f32_e32 v13, v2, v7
	;; [unrolled: 1-line block ×3, first 2 shown]
	v_fma_f32 v12, v2, v6, -v12
	v_fmac_f32_e32 v13, v3, v6
	v_fma_f32 v15, v2, v8, -v15
	v_mul_f32_e32 v2, v2, v9
	v_add_f32_e32 v12, v18, v12
	v_add_f32_e32 v13, v17, v13
	v_fmac_f32_e32 v2, v3, v8
	v_add_f32_e32 v3, v19, v15
	ds_read_b128 v[15:18], v56 offset:4288
	v_add_f32_e32 v2, v20, v2
	s_waitcnt lgkmcnt(0)
	v_mul_f32_e32 v19, v16, v7
	v_mul_f32_e32 v7, v15, v7
	v_fmac_f32_e32 v7, v16, v6
	v_fma_f32 v19, v15, v6, -v19
	v_add_f32_e32 v20, v26, v7
	v_mul_f32_e32 v6, v16, v9
	v_mul_f32_e32 v7, v15, v9
	v_fma_f32 v6, v15, v8, -v6
	v_fmac_f32_e32 v7, v16, v8
	v_add_f32_e32 v19, v21, v19
	v_add_f32_e32 v21, v10, v6
	;; [unrolled: 1-line block ×3, first 2 shown]
	ds_read2_b64 v[6:9], v14 offset0:32 offset1:48
	s_waitcnt lgkmcnt(0)
	v_mul_f32_e32 v10, v5, v7
	v_fma_f32 v10, v4, v6, -v10
	v_add_f32_e32 v10, v12, v10
	v_mul_f32_e32 v12, v5, v9
	v_mul_f32_e32 v11, v4, v7
	v_fma_f32 v12, v4, v8, -v12
	v_mul_f32_e32 v4, v4, v9
	v_fmac_f32_e32 v11, v5, v6
	v_fmac_f32_e32 v4, v5, v8
	v_add_f32_e32 v11, v13, v11
	v_add_f32_e32 v12, v3, v12
	;; [unrolled: 1-line block ×3, first 2 shown]
	v_mul_f32_e32 v2, v18, v7
	v_mul_f32_e32 v3, v17, v7
	v_fma_f32 v2, v17, v6, -v2
	v_fmac_f32_e32 v3, v18, v6
	v_add_f32_e32 v15, v19, v2
	v_add_f32_e32 v16, v20, v3
	v_mul_f32_e32 v2, v18, v9
	v_mul_f32_e32 v3, v17, v9
	v_fma_f32 v2, v17, v8, -v2
	v_fmac_f32_e32 v3, v18, v8
	v_add_f32_e32 v17, v21, v2
	v_add_f32_e32 v18, v26, v3
	ds_read_b128 v[2:5], v56 offset:208
	ds_read2_b64 v[6:9], v14 offset0:64 offset1:80
	s_waitcnt lgkmcnt(0)
	v_mul_f32_e32 v19, v3, v7
	v_mul_f32_e32 v20, v2, v7
	v_fma_f32 v19, v2, v6, -v19
	v_fmac_f32_e32 v20, v3, v6
	v_add_f32_e32 v19, v10, v19
	v_add_f32_e32 v20, v11, v20
	v_mul_f32_e32 v10, v3, v9
	v_mul_f32_e32 v11, v2, v9
	v_fma_f32 v10, v2, v8, -v10
	v_fmac_f32_e32 v11, v3, v8
	v_add_f32_e32 v2, v12, v10
	v_add_f32_e32 v3, v13, v11
	ds_read_b128 v[10:13], v56 offset:4304
	s_waitcnt lgkmcnt(0)
	v_mul_f32_e32 v21, v11, v7
	v_mul_f32_e32 v7, v10, v7
	v_fmac_f32_e32 v7, v11, v6
	v_fma_f32 v21, v10, v6, -v21
	v_add_f32_e32 v16, v16, v7
	v_mul_f32_e32 v6, v11, v9
	v_mul_f32_e32 v7, v10, v9
	v_fma_f32 v6, v10, v8, -v6
	v_fmac_f32_e32 v7, v11, v8
	v_add_f32_e32 v10, v17, v6
	v_add_f32_e32 v11, v18, v7
	ds_read2_b64 v[6:9], v14 offset0:96 offset1:112
	v_add_f32_e32 v15, v15, v21
	s_waitcnt lgkmcnt(0)
	v_mul_f32_e32 v17, v5, v7
	v_fma_f32 v17, v4, v6, -v17
	v_add_f32_e32 v17, v19, v17
	v_mul_f32_e32 v19, v5, v9
	v_mul_f32_e32 v18, v4, v7
	v_fma_f32 v19, v4, v8, -v19
	v_mul_f32_e32 v4, v4, v9
	v_fmac_f32_e32 v18, v5, v6
	v_fmac_f32_e32 v4, v5, v8
	v_add_f32_e32 v18, v20, v18
	v_add_f32_e32 v19, v2, v19
	;; [unrolled: 1-line block ×3, first 2 shown]
	v_mul_f32_e32 v2, v13, v7
	v_mul_f32_e32 v3, v12, v7
	v_fma_f32 v2, v12, v6, -v2
	v_fmac_f32_e32 v3, v13, v6
	v_add_f32_e32 v21, v15, v2
	v_add_f32_e32 v26, v16, v3
	v_mul_f32_e32 v2, v13, v9
	v_mul_f32_e32 v3, v12, v9
	v_fma_f32 v2, v12, v8, -v2
	v_fmac_f32_e32 v3, v13, v8
	v_add_f32_e32 v10, v10, v2
	v_add_f32_e32 v11, v11, v3
	ds_read_b128 v[2:5], v56 offset:224
	ds_read2_b64 v[6:9], v14 offset0:128 offset1:144
	s_waitcnt lgkmcnt(0)
	v_mul_f32_e32 v12, v3, v7
	v_mul_f32_e32 v13, v2, v7
	;; [unrolled: 1-line block ×3, first 2 shown]
	v_fma_f32 v12, v2, v6, -v12
	v_fmac_f32_e32 v13, v3, v6
	v_fma_f32 v15, v2, v8, -v15
	v_mul_f32_e32 v2, v2, v9
	v_add_f32_e32 v12, v17, v12
	v_add_f32_e32 v13, v18, v13
	v_fmac_f32_e32 v2, v3, v8
	v_add_f32_e32 v3, v19, v15
	ds_read_b128 v[15:18], v56 offset:4320
	v_add_f32_e32 v2, v20, v2
	s_waitcnt lgkmcnt(0)
	v_mul_f32_e32 v19, v16, v7
	v_mul_f32_e32 v7, v15, v7
	v_fmac_f32_e32 v7, v16, v6
	v_fma_f32 v19, v15, v6, -v19
	v_add_f32_e32 v20, v26, v7
	v_mul_f32_e32 v6, v16, v9
	v_mul_f32_e32 v7, v15, v9
	v_fma_f32 v6, v15, v8, -v6
	v_fmac_f32_e32 v7, v16, v8
	v_add_f32_e32 v19, v21, v19
	v_add_f32_e32 v21, v10, v6
	;; [unrolled: 1-line block ×3, first 2 shown]
	ds_read2_b64 v[6:9], v14 offset0:160 offset1:176
	s_waitcnt lgkmcnt(0)
	v_mul_f32_e32 v10, v5, v7
	v_fma_f32 v10, v4, v6, -v10
	v_add_f32_e32 v10, v12, v10
	v_mul_f32_e32 v12, v5, v9
	v_mul_f32_e32 v11, v4, v7
	v_fma_f32 v12, v4, v8, -v12
	v_mul_f32_e32 v4, v4, v9
	v_fmac_f32_e32 v11, v5, v6
	v_fmac_f32_e32 v4, v5, v8
	v_add_f32_e32 v11, v13, v11
	v_add_f32_e32 v12, v3, v12
	;; [unrolled: 1-line block ×3, first 2 shown]
	v_mul_f32_e32 v2, v18, v7
	v_mul_f32_e32 v3, v17, v7
	v_fma_f32 v2, v17, v6, -v2
	v_fmac_f32_e32 v3, v18, v6
	v_add_f32_e32 v15, v19, v2
	v_add_f32_e32 v16, v20, v3
	v_mul_f32_e32 v2, v18, v9
	v_mul_f32_e32 v3, v17, v9
	v_fma_f32 v2, v17, v8, -v2
	v_fmac_f32_e32 v3, v18, v8
	v_add_f32_e32 v17, v21, v2
	v_add_f32_e32 v18, v26, v3
	ds_read_b128 v[2:5], v56 offset:240
	ds_read2_b64 v[6:9], v14 offset0:192 offset1:208
	s_waitcnt lgkmcnt(0)
	v_mul_f32_e32 v19, v3, v7
	v_mul_f32_e32 v20, v2, v7
	v_fma_f32 v19, v2, v6, -v19
	v_fmac_f32_e32 v20, v3, v6
	v_add_f32_e32 v19, v10, v19
	v_add_f32_e32 v21, v11, v20
	v_mul_f32_e32 v10, v3, v9
	v_mul_f32_e32 v11, v2, v9
	v_fma_f32 v10, v2, v8, -v10
	v_fmac_f32_e32 v11, v3, v8
	v_add_f32_e32 v2, v12, v10
	v_add_f32_e32 v3, v13, v11
	ds_read_b128 v[10:13], v56 offset:4336
	s_waitcnt lgkmcnt(0)
	v_mul_f32_e32 v20, v11, v7
	v_mul_f32_e32 v7, v10, v7
	v_fmac_f32_e32 v7, v11, v6
	v_fma_f32 v20, v10, v6, -v20
	v_add_f32_e32 v26, v16, v7
	v_mul_f32_e32 v6, v11, v9
	v_mul_f32_e32 v7, v10, v9
	v_fma_f32 v6, v10, v8, -v6
	v_fmac_f32_e32 v7, v11, v8
	v_add_f32_e32 v10, v17, v6
	v_add_f32_e32 v11, v18, v7
	ds_read2_b64 v[6:9], v14 offset0:224 offset1:240
	v_add_f32_e32 v15, v15, v20
	s_waitcnt lgkmcnt(0)
	s_barrier
	v_mul_f32_e32 v14, v5, v7
	v_fma_f32 v14, v4, v6, -v14
	v_add_f32_e32 v20, v19, v14
	v_mul_f32_e32 v14, v5, v9
	v_fma_f32 v14, v4, v8, -v14
	v_mul_f32_e32 v16, v4, v7
	v_add_f32_e32 v18, v2, v14
	v_mul_f32_e32 v2, v13, v7
	v_fmac_f32_e32 v16, v5, v6
	v_fma_f32 v2, v12, v6, -v2
	v_add_f32_e32 v21, v21, v16
	v_add_f32_e32 v16, v15, v2
	v_mul_f32_e32 v2, v13, v9
	v_fma_f32 v2, v12, v8, -v2
	v_add_f32_e32 v15, v10, v2
	v_mov_b32_e32 v2, s47
	v_mul_f32_e32 v4, v4, v9
	v_addc_co_u32_e32 v53, vcc, v53, v2, vcc
	v_fmac_f32_e32 v4, v5, v8
	v_add_co_u32_e32 v46, vcc, s54, v46
	v_add_f32_e32 v19, v3, v4
	v_mul_f32_e32 v3, v12, v7
	v_addc_co_u32_e32 v47, vcc, 0, v47, vcc
	v_fmac_f32_e32 v3, v13, v6
	v_add_co_u32_e32 v50, vcc, s46, v50
	v_add_f32_e32 v17, v26, v3
	;; [unrolled: 5-line block ×3, first 2 shown]
	v_addc_co_u32_e32 v49, vcc, 0, v49, vcc
	s_cbranch_scc1 .LBB72_55
.LBB72_7:                               ;   Parent Loop BB72_4 Depth=1
                                        ; =>  This Inner Loop Header: Depth=2
	v_mov_b32_e32 v3, s25
	v_add_co_u32_e32 v2, vcc, s24, v1
	v_addc_co_u32_e32 v3, vcc, 0, v3, vcc
	s_waitcnt vmcnt(3)
	v_add_co_u32_e32 v4, vcc, v50, v40
	s_waitcnt vmcnt(2)
	v_addc_co_u32_e32 v5, vcc, v51, v41, vcc
	v_cmp_le_i64_e64 s[12:13], s[42:43], v[2:3]
	v_cmp_eq_u64_e64 s[16:17], s[24:25], v[30:31]
	v_cmp_gt_i64_e32 vcc, v[2:3], v[24:25]
	s_and_b64 s[28:29], s[40:41], s[16:17]
	s_or_b64 s[16:17], s[12:13], vcc
	s_or_b64 s[16:17], s[16:17], s[28:29]
	s_nor_b64 s[16:17], s[0:1], s[16:17]
	s_and_saveexec_b64 s[18:19], s[16:17]
	s_xor_b64 s[16:17], exec, s[18:19]
	s_cbranch_execz .LBB72_9
; %bb.8:                                ;   in Loop: Header=BB72_7 Depth=2
	global_load_dwordx2 v[6:7], v[4:5], off
	s_waitcnt vmcnt(0)
	ds_write_b64 v55, v[6:7]
.LBB72_9:                               ;   in Loop: Header=BB72_7 Depth=2
	s_or_saveexec_b64 s[16:17], s[16:17]
	s_xor_b64 s[26:27], s[28:29], -1
	s_xor_b64 exec, exec, s[16:17]
	s_cbranch_execz .LBB72_15
; %bb.10:                               ;   in Loop: Header=BB72_7 Depth=2
	s_and_saveexec_b64 s[18:19], s[26:27]
	s_xor_b64 s[18:19], exec, s[18:19]
; %bb.11:                               ;   in Loop: Header=BB72_7 Depth=2
	v_mov_b32_e32 v6, v23
	v_mov_b32_e32 v7, v23
	ds_write_b64 v55, v[6:7]
; %bb.12:                               ;   in Loop: Header=BB72_7 Depth=2
	s_andn2_saveexec_b64 s[18:19], s[18:19]
; %bb.13:                               ;   in Loop: Header=BB72_7 Depth=2
	ds_write_b64 v55, v[22:23]
; %bb.14:                               ;   in Loop: Header=BB72_7 Depth=2
	s_or_b64 exec, exec, s[18:19]
.LBB72_15:                              ;   in Loop: Header=BB72_7 Depth=2
	s_or_b64 exec, exec, s[16:17]
	v_cmp_eq_u64_e64 s[16:17], s[24:25], v[34:35]
	v_cmp_lt_i64_e64 s[18:19], v[28:29], v[2:3]
	s_and_b64 s[16:17], s[40:41], s[16:17]
	s_or_b64 s[12:13], s[12:13], s[18:19]
	s_or_b64 s[12:13], s[12:13], s[16:17]
	s_nor_b64 s[12:13], s[2:3], s[12:13]
	s_and_saveexec_b64 s[18:19], s[12:13]
	s_xor_b64 s[12:13], exec, s[18:19]
	s_cbranch_execz .LBB72_17
; %bb.16:                               ;   in Loop: Header=BB72_7 Depth=2
	global_load_dwordx2 v[4:5], v[4:5], off offset:128
	s_waitcnt vmcnt(0)
	ds_write_b64 v55, v[4:5] offset:128
.LBB72_17:                              ;   in Loop: Header=BB72_7 Depth=2
	s_andn2_saveexec_b64 s[12:13], s[12:13]
	s_cbranch_execz .LBB72_23
; %bb.18:                               ;   in Loop: Header=BB72_7 Depth=2
	s_xor_b64 s[16:17], s[16:17], -1
	s_and_saveexec_b64 s[18:19], s[16:17]
	s_xor_b64 s[16:17], exec, s[18:19]
; %bb.19:                               ;   in Loop: Header=BB72_7 Depth=2
	v_mov_b32_e32 v4, v23
	v_mov_b32_e32 v5, v23
	ds_write_b64 v55, v[4:5] offset:128
; %bb.20:                               ;   in Loop: Header=BB72_7 Depth=2
	s_andn2_saveexec_b64 s[16:17], s[16:17]
; %bb.21:                               ;   in Loop: Header=BB72_7 Depth=2
	ds_write_b64 v55, v[22:23] offset:128
; %bb.22:                               ;   in Loop: Header=BB72_7 Depth=2
	s_or_b64 exec, exec, s[16:17]
.LBB72_23:                              ;   in Loop: Header=BB72_7 Depth=2
	s_or_b64 exec, exec, s[12:13]
	v_add_co_u32_e64 v4, s[12:13], 16, v2
	s_waitcnt vmcnt(1)
	v_add_co_u32_e64 v2, s[16:17], v52, v40
	v_addc_co_u32_e64 v5, s[12:13], 0, v3, s[12:13]
	s_waitcnt vmcnt(0)
	v_addc_co_u32_e64 v3, s[16:17], v53, v41, s[16:17]
	v_cmp_le_i64_e64 s[12:13], s[42:43], v[4:5]
	v_cmp_eq_u64_e64 s[16:17], s[24:25], v[36:37]
	v_cmp_gt_i64_e64 s[18:19], v[4:5], v[24:25]
	s_and_b64 s[38:39], s[40:41], s[16:17]
	s_or_b64 s[16:17], s[12:13], s[18:19]
	s_or_b64 s[16:17], s[16:17], s[38:39]
	s_nor_b64 s[16:17], s[0:1], s[16:17]
	s_and_saveexec_b64 s[18:19], s[16:17]
	s_xor_b64 s[16:17], exec, s[18:19]
	s_cbranch_execz .LBB72_25
; %bb.24:                               ;   in Loop: Header=BB72_7 Depth=2
	global_load_dwordx2 v[4:5], v[2:3], off
	s_waitcnt vmcnt(0)
	ds_write_b64 v55, v[4:5] offset:4096
.LBB72_25:                              ;   in Loop: Header=BB72_7 Depth=2
	s_andn2_saveexec_b64 s[16:17], s[16:17]
	s_cbranch_execz .LBB72_31
; %bb.26:                               ;   in Loop: Header=BB72_7 Depth=2
	s_xor_b64 s[18:19], s[38:39], -1
	s_and_saveexec_b64 s[38:39], s[18:19]
	s_xor_b64 s[18:19], exec, s[38:39]
; %bb.27:                               ;   in Loop: Header=BB72_7 Depth=2
	v_mov_b32_e32 v4, v23
	v_mov_b32_e32 v5, v23
	ds_write_b64 v55, v[4:5] offset:4096
; %bb.28:                               ;   in Loop: Header=BB72_7 Depth=2
	s_andn2_saveexec_b64 s[18:19], s[18:19]
; %bb.29:                               ;   in Loop: Header=BB72_7 Depth=2
	ds_write_b64 v55, v[22:23] offset:4096
; %bb.30:                               ;   in Loop: Header=BB72_7 Depth=2
	s_or_b64 exec, exec, s[18:19]
.LBB72_31:                              ;   in Loop: Header=BB72_7 Depth=2
	s_or_b64 exec, exec, s[16:17]
	s_or_b64 s[12:13], s[12:13], vcc
	s_or_b64 s[12:13], s[12:13], s[28:29]
	s_nor_b64 s[12:13], s[2:3], s[12:13]
	s_and_saveexec_b64 s[16:17], s[12:13]
	s_xor_b64 s[12:13], exec, s[16:17]
	s_cbranch_execz .LBB72_33
; %bb.32:                               ;   in Loop: Header=BB72_7 Depth=2
	global_load_dwordx2 v[2:3], v[2:3], off offset:128
	s_waitcnt vmcnt(0)
	ds_write_b64 v55, v[2:3] offset:4224
.LBB72_33:                              ;   in Loop: Header=BB72_7 Depth=2
	s_andn2_saveexec_b64 s[12:13], s[12:13]
	s_cbranch_execz .LBB72_39
; %bb.34:                               ;   in Loop: Header=BB72_7 Depth=2
	s_and_saveexec_b64 s[16:17], s[26:27]
	s_xor_b64 s[16:17], exec, s[16:17]
; %bb.35:                               ;   in Loop: Header=BB72_7 Depth=2
	v_mov_b32_e32 v2, v23
	v_mov_b32_e32 v3, v23
	ds_write_b64 v55, v[2:3] offset:4224
; %bb.36:                               ;   in Loop: Header=BB72_7 Depth=2
	s_andn2_saveexec_b64 s[16:17], s[16:17]
; %bb.37:                               ;   in Loop: Header=BB72_7 Depth=2
	ds_write_b64 v55, v[22:23] offset:4224
; %bb.38:                               ;   in Loop: Header=BB72_7 Depth=2
	s_or_b64 exec, exec, s[16:17]
.LBB72_39:                              ;   in Loop: Header=BB72_7 Depth=2
	s_or_b64 exec, exec, s[12:13]
	v_mov_b32_e32 v3, s25
	v_add_co_u32_e32 v2, vcc, s24, v0
	v_addc_co_u32_e32 v3, vcc, 0, v3, vcc
	v_cmp_gt_i64_e32 vcc, s[42:43], v[2:3]
	s_and_b64 s[12:13], s[8:9], vcc
	s_xor_b64 s[12:13], s[12:13], -1
	s_and_saveexec_b64 s[16:17], s[12:13]
	s_xor_b64 s[12:13], exec, s[16:17]
; %bb.40:                               ;   in Loop: Header=BB72_7 Depth=2
	v_mov_b32_e32 v4, v23
	v_mov_b32_e32 v5, v23
	ds_write_b64 v57, v[4:5]
; %bb.41:                               ;   in Loop: Header=BB72_7 Depth=2
	s_andn2_saveexec_b64 s[12:13], s[12:13]
	s_cbranch_execz .LBB72_43
; %bb.42:                               ;   in Loop: Header=BB72_7 Depth=2
	global_load_dwordx2 v[4:5], v[46:47], off offset:-128
	s_waitcnt vmcnt(0)
	ds_write_b64 v57, v[4:5]
.LBB72_43:                              ;   in Loop: Header=BB72_7 Depth=2
	s_or_b64 exec, exec, s[12:13]
	v_cmp_gt_i64_e64 s[12:13], s[48:49], v[2:3]
	s_and_b64 s[16:17], s[8:9], s[12:13]
	s_xor_b64 s[16:17], s[16:17], -1
	s_and_saveexec_b64 s[18:19], s[16:17]
	s_xor_b64 s[16:17], exec, s[18:19]
; %bb.44:                               ;   in Loop: Header=BB72_7 Depth=2
	v_mov_b32_e32 v2, v23
	v_mov_b32_e32 v3, v23
	ds_write_b64 v57, v[2:3] offset:128
; %bb.45:                               ;   in Loop: Header=BB72_7 Depth=2
	s_andn2_saveexec_b64 s[16:17], s[16:17]
	s_cbranch_execz .LBB72_47
; %bb.46:                               ;   in Loop: Header=BB72_7 Depth=2
	global_load_dwordx2 v[2:3], v[46:47], off
	s_waitcnt vmcnt(0)
	ds_write_b64 v57, v[2:3] offset:128
.LBB72_47:                              ;   in Loop: Header=BB72_7 Depth=2
	s_or_b64 exec, exec, s[16:17]
	s_and_b64 s[16:17], s[10:11], vcc
	s_xor_b64 s[16:17], s[16:17], -1
	s_and_saveexec_b64 s[18:19], s[16:17]
	s_xor_b64 s[16:17], exec, s[18:19]
; %bb.48:                               ;   in Loop: Header=BB72_7 Depth=2
	v_mov_b32_e32 v2, v23
	v_mov_b32_e32 v3, v23
	ds_write_b64 v57, v[2:3] offset:4096
; %bb.49:                               ;   in Loop: Header=BB72_7 Depth=2
	s_andn2_saveexec_b64 s[16:17], s[16:17]
	s_cbranch_execz .LBB72_51
; %bb.50:                               ;   in Loop: Header=BB72_7 Depth=2
	global_load_dwordx2 v[2:3], v[48:49], off offset:-128
	s_waitcnt vmcnt(0)
	ds_write_b64 v57, v[2:3] offset:4096
.LBB72_51:                              ;   in Loop: Header=BB72_7 Depth=2
	s_or_b64 exec, exec, s[16:17]
	s_and_b64 s[12:13], s[10:11], s[12:13]
	s_xor_b64 s[12:13], s[12:13], -1
	s_and_saveexec_b64 s[16:17], s[12:13]
	s_xor_b64 s[12:13], exec, s[16:17]
; %bb.52:                               ;   in Loop: Header=BB72_7 Depth=2
	v_mov_b32_e32 v2, v23
	v_mov_b32_e32 v3, v23
	ds_write_b64 v57, v[2:3] offset:4224
; %bb.53:                               ;   in Loop: Header=BB72_7 Depth=2
	s_andn2_saveexec_b64 s[12:13], s[12:13]
	s_cbranch_execz .LBB72_6
; %bb.54:                               ;   in Loop: Header=BB72_7 Depth=2
	global_load_dwordx2 v[2:3], v[48:49], off
	s_waitcnt vmcnt(0)
	ds_write_b64 v57, v[2:3] offset:4224
	s_branch .LBB72_6
.LBB72_55:                              ;   in Loop: Header=BB72_4 Depth=1
	v_ashrrev_i32_e32 v2, 31, v58
	v_mul_lo_u32 v4, s45, v58
	v_mul_lo_u32 v5, s44, v2
	v_mad_u64_u32 v[2:3], s[8:9], s44, v58, 0
	v_cmp_gt_i32_e32 vcc, s30, v58
	v_add3_u32 v3, v3, v5, v4
	v_lshlrev_b64 v[2:3], 3, v[2:3]
	v_mov_b32_e32 v4, s51
	v_add_co_u32_e64 v2, s[8:9], s50, v2
	v_addc_co_u32_e64 v3, s[8:9], v4, v3, s[8:9]
	s_and_b64 s[8:9], s[4:5], vcc
	s_and_saveexec_b64 s[10:11], s[8:9]
	s_cbranch_execz .LBB72_57
; %bb.56:                               ;   in Loop: Header=BB72_4 Depth=1
	v_add_co_u32_e64 v4, s[8:9], v2, v40
	v_addc_co_u32_e64 v5, s[8:9], v3, v41, s[8:9]
	global_load_dwordx2 v[6:7], v[4:5], off
	v_mul_f32_e32 v8, s35, v21
	v_mul_f32_e32 v9, s34, v21
	v_fma_f32 v8, v20, s34, -v8
	v_fmac_f32_e32 v9, s35, v20
	s_waitcnt vmcnt(0)
	v_add_f32_e32 v6, v6, v8
	v_add_f32_e32 v7, v9, v7
	global_store_dwordx2 v[4:5], v[6:7], off
.LBB72_57:                              ;   in Loop: Header=BB72_4 Depth=1
	s_or_b64 exec, exec, s[10:11]
	s_and_b64 s[10:11], s[14:15], vcc
	s_and_saveexec_b64 s[8:9], s[10:11]
	s_cbranch_execz .LBB72_59
; %bb.58:                               ;   in Loop: Header=BB72_4 Depth=1
	v_add_co_u32_e32 v2, vcc, v2, v32
	v_addc_co_u32_e32 v3, vcc, v3, v33, vcc
	global_load_dwordx2 v[4:5], v[2:3], off
	v_mul_f32_e32 v6, s35, v19
	v_mul_f32_e32 v7, s34, v19
	v_fma_f32 v6, v18, s34, -v6
	v_fmac_f32_e32 v7, s35, v18
	s_waitcnt vmcnt(0)
	v_add_f32_e32 v4, v4, v6
	v_add_f32_e32 v5, v7, v5
	global_store_dwordx2 v[2:3], v[4:5], off
.LBB72_59:                              ;   in Loop: Header=BB72_4 Depth=1
	s_or_b64 exec, exec, s[8:9]
	v_add_u32_e32 v4, 16, v58
	v_ashrrev_i32_e32 v2, 31, v4
	v_mul_lo_u32 v5, s44, v2
	v_mul_lo_u32 v6, s45, v4
	v_mad_u64_u32 v[2:3], s[8:9], s44, v4, 0
	v_cmp_gt_i32_e32 vcc, s30, v4
	v_mov_b32_e32 v4, s51
	v_add3_u32 v3, v3, v5, v6
	v_lshlrev_b64 v[2:3], 3, v[2:3]
	v_add_co_u32_e64 v2, s[8:9], s50, v2
	v_addc_co_u32_e64 v3, s[8:9], v4, v3, s[8:9]
	s_and_b64 s[8:9], s[4:5], vcc
	s_and_saveexec_b64 s[10:11], s[8:9]
	s_cbranch_execz .LBB72_61
; %bb.60:                               ;   in Loop: Header=BB72_4 Depth=1
	v_add_co_u32_e64 v4, s[8:9], v2, v40
	v_addc_co_u32_e64 v5, s[8:9], v3, v41, s[8:9]
	global_load_dwordx2 v[6:7], v[4:5], off
	v_mul_f32_e32 v8, s35, v17
	v_mul_f32_e32 v9, s34, v17
	v_fma_f32 v8, v16, s34, -v8
	v_fmac_f32_e32 v9, s35, v16
	s_waitcnt vmcnt(0)
	v_add_f32_e32 v6, v6, v8
	v_add_f32_e32 v7, v9, v7
	global_store_dwordx2 v[4:5], v[6:7], off
.LBB72_61:                              ;   in Loop: Header=BB72_4 Depth=1
	s_or_b64 exec, exec, s[10:11]
	s_and_b64 s[10:11], s[14:15], vcc
	s_and_saveexec_b64 s[8:9], s[10:11]
	s_cbranch_execz .LBB72_3
; %bb.62:                               ;   in Loop: Header=BB72_4 Depth=1
	v_add_co_u32_e32 v2, vcc, v2, v32
	v_addc_co_u32_e32 v3, vcc, v3, v33, vcc
	global_load_dwordx2 v[4:5], v[2:3], off
	v_mul_f32_e32 v6, s35, v14
	v_mul_f32_e32 v7, s34, v14
	v_fma_f32 v6, v15, s34, -v6
	v_fmac_f32_e32 v7, s35, v15
	s_waitcnt vmcnt(0)
	v_add_f32_e32 v4, v4, v6
	v_add_f32_e32 v5, v7, v5
	global_store_dwordx2 v[2:3], v[4:5], off
	s_branch .LBB72_3
.LBB72_63:
	s_endpgm
	.section	.rodata,"a",@progbits
	.p2align	6, 0x0
	.amdhsa_kernel _ZL30rocblas_trmm_outofplace_kernelI19rocblas_complex_numIfELi32ELi2ELb1ELb0ELb0ELb0EPKS1_S2_S1_Ev17rocblas_diagonal_iiT6_lPT7_lllS7_lllPT8_llli
		.amdhsa_group_segment_fixed_size 16384
		.amdhsa_private_segment_fixed_size 28
		.amdhsa_kernarg_size 392
		.amdhsa_user_sgpr_count 6
		.amdhsa_user_sgpr_private_segment_buffer 1
		.amdhsa_user_sgpr_dispatch_ptr 0
		.amdhsa_user_sgpr_queue_ptr 0
		.amdhsa_user_sgpr_kernarg_segment_ptr 1
		.amdhsa_user_sgpr_dispatch_id 0
		.amdhsa_user_sgpr_flat_scratch_init 0
		.amdhsa_user_sgpr_private_segment_size 0
		.amdhsa_uses_dynamic_stack 0
		.amdhsa_system_sgpr_private_segment_wavefront_offset 1
		.amdhsa_system_sgpr_workgroup_id_x 1
		.amdhsa_system_sgpr_workgroup_id_y 1
		.amdhsa_system_sgpr_workgroup_id_z 1
		.amdhsa_system_sgpr_workgroup_info 0
		.amdhsa_system_vgpr_workitem_id 1
		.amdhsa_next_free_vgpr 64
		.amdhsa_next_free_sgpr 61
		.amdhsa_reserve_vcc 1
		.amdhsa_reserve_flat_scratch 0
		.amdhsa_float_round_mode_32 0
		.amdhsa_float_round_mode_16_64 0
		.amdhsa_float_denorm_mode_32 3
		.amdhsa_float_denorm_mode_16_64 3
		.amdhsa_dx10_clamp 1
		.amdhsa_ieee_mode 1
		.amdhsa_fp16_overflow 0
		.amdhsa_exception_fp_ieee_invalid_op 0
		.amdhsa_exception_fp_denorm_src 0
		.amdhsa_exception_fp_ieee_div_zero 0
		.amdhsa_exception_fp_ieee_overflow 0
		.amdhsa_exception_fp_ieee_underflow 0
		.amdhsa_exception_fp_ieee_inexact 0
		.amdhsa_exception_int_div_zero 0
	.end_amdhsa_kernel
	.section	.text._ZL30rocblas_trmm_outofplace_kernelI19rocblas_complex_numIfELi32ELi2ELb1ELb0ELb0ELb0EPKS1_S2_S1_Ev17rocblas_diagonal_iiT6_lPT7_lllS7_lllPT8_llli,"axG",@progbits,_ZL30rocblas_trmm_outofplace_kernelI19rocblas_complex_numIfELi32ELi2ELb1ELb0ELb0ELb0EPKS1_S2_S1_Ev17rocblas_diagonal_iiT6_lPT7_lllS7_lllPT8_llli,comdat
.Lfunc_end72:
	.size	_ZL30rocblas_trmm_outofplace_kernelI19rocblas_complex_numIfELi32ELi2ELb1ELb0ELb0ELb0EPKS1_S2_S1_Ev17rocblas_diagonal_iiT6_lPT7_lllS7_lllPT8_llli, .Lfunc_end72-_ZL30rocblas_trmm_outofplace_kernelI19rocblas_complex_numIfELi32ELi2ELb1ELb0ELb0ELb0EPKS1_S2_S1_Ev17rocblas_diagonal_iiT6_lPT7_lllS7_lllPT8_llli
                                        ; -- End function
	.set _ZL30rocblas_trmm_outofplace_kernelI19rocblas_complex_numIfELi32ELi2ELb1ELb0ELb0ELb0EPKS1_S2_S1_Ev17rocblas_diagonal_iiT6_lPT7_lllS7_lllPT8_llli.num_vgpr, 64
	.set _ZL30rocblas_trmm_outofplace_kernelI19rocblas_complex_numIfELi32ELi2ELb1ELb0ELb0ELb0EPKS1_S2_S1_Ev17rocblas_diagonal_iiT6_lPT7_lllS7_lllPT8_llli.num_agpr, 0
	.set _ZL30rocblas_trmm_outofplace_kernelI19rocblas_complex_numIfELi32ELi2ELb1ELb0ELb0ELb0EPKS1_S2_S1_Ev17rocblas_diagonal_iiT6_lPT7_lllS7_lllPT8_llli.numbered_sgpr, 60
	.set _ZL30rocblas_trmm_outofplace_kernelI19rocblas_complex_numIfELi32ELi2ELb1ELb0ELb0ELb0EPKS1_S2_S1_Ev17rocblas_diagonal_iiT6_lPT7_lllS7_lllPT8_llli.num_named_barrier, 0
	.set _ZL30rocblas_trmm_outofplace_kernelI19rocblas_complex_numIfELi32ELi2ELb1ELb0ELb0ELb0EPKS1_S2_S1_Ev17rocblas_diagonal_iiT6_lPT7_lllS7_lllPT8_llli.private_seg_size, 28
	.set _ZL30rocblas_trmm_outofplace_kernelI19rocblas_complex_numIfELi32ELi2ELb1ELb0ELb0ELb0EPKS1_S2_S1_Ev17rocblas_diagonal_iiT6_lPT7_lllS7_lllPT8_llli.uses_vcc, 1
	.set _ZL30rocblas_trmm_outofplace_kernelI19rocblas_complex_numIfELi32ELi2ELb1ELb0ELb0ELb0EPKS1_S2_S1_Ev17rocblas_diagonal_iiT6_lPT7_lllS7_lllPT8_llli.uses_flat_scratch, 0
	.set _ZL30rocblas_trmm_outofplace_kernelI19rocblas_complex_numIfELi32ELi2ELb1ELb0ELb0ELb0EPKS1_S2_S1_Ev17rocblas_diagonal_iiT6_lPT7_lllS7_lllPT8_llli.has_dyn_sized_stack, 0
	.set _ZL30rocblas_trmm_outofplace_kernelI19rocblas_complex_numIfELi32ELi2ELb1ELb0ELb0ELb0EPKS1_S2_S1_Ev17rocblas_diagonal_iiT6_lPT7_lllS7_lllPT8_llli.has_recursion, 0
	.set _ZL30rocblas_trmm_outofplace_kernelI19rocblas_complex_numIfELi32ELi2ELb1ELb0ELb0ELb0EPKS1_S2_S1_Ev17rocblas_diagonal_iiT6_lPT7_lllS7_lllPT8_llli.has_indirect_call, 0
	.section	.AMDGPU.csdata,"",@progbits
; Kernel info:
; codeLenInByte = 6592
; TotalNumSgprs: 64
; NumVgprs: 64
; ScratchSize: 28
; MemoryBound: 1
; FloatMode: 240
; IeeeMode: 1
; LDSByteSize: 16384 bytes/workgroup (compile time only)
; SGPRBlocks: 8
; VGPRBlocks: 15
; NumSGPRsForWavesPerEU: 65
; NumVGPRsForWavesPerEU: 64
; Occupancy: 4
; WaveLimiterHint : 0
; COMPUTE_PGM_RSRC2:SCRATCH_EN: 1
; COMPUTE_PGM_RSRC2:USER_SGPR: 6
; COMPUTE_PGM_RSRC2:TRAP_HANDLER: 0
; COMPUTE_PGM_RSRC2:TGID_X_EN: 1
; COMPUTE_PGM_RSRC2:TGID_Y_EN: 1
; COMPUTE_PGM_RSRC2:TGID_Z_EN: 1
; COMPUTE_PGM_RSRC2:TIDIG_COMP_CNT: 1
	.section	.text._ZL30rocblas_trmm_outofplace_kernelI19rocblas_complex_numIfELi32ELi2ELb1ELb0ELb0ELb0ES1_KS1_S1_Ev17rocblas_diagonal_iiT6_lPT7_lllS6_lllPT8_llli,"axG",@progbits,_ZL30rocblas_trmm_outofplace_kernelI19rocblas_complex_numIfELi32ELi2ELb1ELb0ELb0ELb0ES1_KS1_S1_Ev17rocblas_diagonal_iiT6_lPT7_lllS6_lllPT8_llli,comdat
	.globl	_ZL30rocblas_trmm_outofplace_kernelI19rocblas_complex_numIfELi32ELi2ELb1ELb0ELb0ELb0ES1_KS1_S1_Ev17rocblas_diagonal_iiT6_lPT7_lllS6_lllPT8_llli ; -- Begin function _ZL30rocblas_trmm_outofplace_kernelI19rocblas_complex_numIfELi32ELi2ELb1ELb0ELb0ELb0ES1_KS1_S1_Ev17rocblas_diagonal_iiT6_lPT7_lllS6_lllPT8_llli
	.p2align	8
	.type	_ZL30rocblas_trmm_outofplace_kernelI19rocblas_complex_numIfELi32ELi2ELb1ELb0ELb0ELb0ES1_KS1_S1_Ev17rocblas_diagonal_iiT6_lPT7_lllS6_lllPT8_llli,@function
_ZL30rocblas_trmm_outofplace_kernelI19rocblas_complex_numIfELi32ELi2ELb1ELb0ELb0ELb0ES1_KS1_S1_Ev17rocblas_diagonal_iiT6_lPT7_lllS6_lllPT8_llli: ; @_ZL30rocblas_trmm_outofplace_kernelI19rocblas_complex_numIfELi32ELi2ELb1ELb0ELb0ELb0ES1_KS1_S1_Ev17rocblas_diagonal_iiT6_lPT7_lllS6_lllPT8_llli
; %bb.0:
	s_load_dwordx4 s[28:31], s[4:5], 0x0
	s_load_dword s33, s[4:5], 0x10
	s_mov_b64 s[58:59], s[2:3]
	s_mov_b64 s[56:57], s[0:1]
	s_add_u32 s56, s56, s9
	s_addc_u32 s57, s57, 0
	s_waitcnt lgkmcnt(0)
	s_or_b32 s0, s31, s33
	s_bitset0_b32 s0, 31
	s_cmp_eq_u32 s0, 0
	s_cbranch_scc1 .LBB73_63
; %bb.1:
	s_add_i32 s0, s30, -1
	s_ashr_i32 s1, s0, 31
	s_lshr_b32 s1, s1, 27
	s_add_i32 s0, s0, s1
	s_ashr_i32 s48, s0, 5
	s_cmp_gt_i32 s7, s48
	s_cbranch_scc1 .LBB73_63
; %bb.2:
	s_load_dwordx16 s[12:27], s[4:5], 0x20
	s_load_dwordx8 s[36:43], s[4:5], 0x60
	v_lshlrev_b32_e32 v54, 3, v0
	v_mov_b32_e32 v23, 0
	s_mov_b32 s52, s30
	s_waitcnt lgkmcnt(0)
	s_mul_i32 s1, s19, s8
	s_mul_hi_u32 s2, s18, s8
	s_mul_i32 s0, s18, s8
	s_add_i32 s1, s2, s1
	s_lshl_b64 s[10:11], s[0:1], 3
	s_add_u32 s0, s12, s10
	s_addc_u32 s1, s13, s11
	s_lshl_b64 s[18:19], s[14:15], 3
	s_add_u32 s9, s0, s18
	s_addc_u32 s14, s1, s19
	s_mul_i32 s0, s43, s8
	s_mul_hi_u32 s1, s42, s8
	s_add_i32 s1, s1, s0
	s_mul_i32 s0, s42, s8
	s_lshl_b64 s[0:1], s[0:1], 3
	v_mad_u64_u32 v[2:3], s[2:3], s16, v1, 0
	s_add_u32 s15, s36, s0
	s_addc_u32 s34, s37, s1
	s_lshl_b64 s[0:1], s[38:39], 3
	s_add_u32 s49, s15, s0
	s_addc_u32 s50, s34, s1
	v_mad_u64_u32 v[3:4], s[0:1], s17, v1, v[3:4]
	s_lshl_b32 s51, s6, 5
	s_cmp_gt_i32 s6, -1
	s_cselect_b64 s[34:35], -1, 0
	s_cmpk_eq_i32 s28, 0x84
	s_cselect_b64 s[36:37], -1, 0
	s_ashr_i32 s39, s29, 31
	s_ashr_i32 s6, s30, 31
	s_lshl_b64 s[42:43], s[16:17], 8
	v_lshlrev_b64 v[2:3], 3, v[2:3]
	s_add_u32 s44, s29, -16
	s_addc_u32 s45, s39, -1
	v_add_co_u32_e32 v2, vcc, s9, v2
	s_add_u32 s9, s12, s18
	v_mov_b32_e32 v4, s14
	s_addc_u32 s12, s13, s19
	v_addc_co_u32_e32 v3, vcc, v4, v3, vcc
	v_mov_b32_e32 v4, 0x80
	s_add_u32 s10, s9, s10
	v_lshl_add_u32 v6, v1, 3, v4
	s_addc_u32 s11, s12, s11
	v_mov_b32_e32 v4, s10
	v_mov_b32_e32 v5, s11
	v_mad_u64_u32 v[7:8], s[10:11], s16, v6, v[4:5]
	v_add_u32_e32 v24, s51, v0
	v_ashrrev_i32_e32 v25, 31, v24
	v_mov_b32_e32 v4, v8
	v_add_co_u32_e32 v28, vcc, 16, v24
	v_mad_u64_u32 v[4:5], s[10:11], s17, v6, v[4:5]
	v_addc_co_u32_e32 v29, vcc, 0, v25, vcc
	s_mul_i32 s9, s27, s8
	s_mul_hi_u32 s10, s26, s8
	v_sub_co_u32_e32 v30, vcc, v24, v1
	s_add_i32 s9, s10, s9
	s_mul_i32 s8, s26, s8
	v_subbrev_co_u32_e32 v31, vcc, 0, v25, vcc
	s_lshl_b64 s[8:9], s[8:9], 3
	s_lshl_b64 s[10:11], s[22:23], 3
	v_add_co_u32_e32 v34, vcc, 16, v30
	s_add_u32 s8, s8, s10
	buffer_store_dword v2, off, s[56:59], 0 ; 4-byte Folded Spill
	s_nop 0
	buffer_store_dword v3, off, s[56:59], 0 offset:4 ; 4-byte Folded Spill
	v_addc_co_u32_e32 v35, vcc, 0, v31, vcc
	s_addc_u32 s9, s9, s11
	s_load_dword s53, s[4:5], 0x8c
	v_add_co_u32_e32 v36, vcc, -16, v30
	s_add_u32 s8, s20, s8
	v_lshlrev_b32_e32 v2, 8, v1
	v_addc_co_u32_e32 v37, vcc, -1, v31, vcc
	s_addc_u32 s9, s21, s9
	v_add_u32_e32 v55, v54, v2
	v_add_u32_e32 v56, 0x2000, v2
	v_add_u32_e32 v2, 16, v24
	v_mov_b32_e32 v8, v4
	v_mov_b32_e32 v4, s9
	v_add_co_u32_e32 v5, vcc, s8, v54
	s_mov_b32 s38, s29
	v_ashrrev_i32_e32 v3, 31, v2
	v_addc_co_u32_e32 v4, vcc, 0, v4, vcc
	v_cmp_le_i64_e64 s[2:3], s[38:39], v[28:29]
	v_add_co_u32_e32 v5, vcc, 0x80, v5
	v_lshlrev_b64 v[40:41], 3, v[24:25]
	v_lshlrev_b64 v[32:33], 3, v[2:3]
	v_add_u32_e32 v57, v56, v54
	v_cmp_le_i32_e64 s[0:1], s29, v24
	v_cmp_gt_i32_e64 s[4:5], s29, v24
	v_cmp_gt_i32_e64 s[14:15], s29, v2
	v_addc_co_u32_e32 v6, vcc, 0, v4, vcc
	s_lshl_b64 s[20:21], s[24:25], 3
	s_waitcnt lgkmcnt(0)
	s_lshl_b32 s54, s53, 5
	v_mov_b32_e32 v22, 1.0
	s_movk_i32 s55, 0x100
	v_lshl_add_u32 v38, s7, 5, v1
	buffer_store_dword v7, off, s[56:59], 0 offset:8 ; 4-byte Folded Spill
	s_nop 0
	buffer_store_dword v8, off, s[56:59], 0 offset:12 ; 4-byte Folded Spill
	buffer_store_dword v5, off, s[56:59], 0 offset:16 ; 4-byte Folded Spill
	s_nop 0
	buffer_store_dword v6, off, s[56:59], 0 offset:20 ; 4-byte Folded Spill
	s_branch .LBB73_4
.LBB73_3:                               ;   in Loop: Header=BB73_4 Depth=1
	s_or_b64 exec, exec, s[8:9]
	s_add_i32 s7, s53, s7
	s_cmp_le_i32 s7, s48
	v_add_u32_e32 v38, s54, v38
	s_cbranch_scc0 .LBB73_63
.LBB73_4:                               ; =>This Loop Header: Depth=1
                                        ;     Child Loop BB73_7 Depth 2
	v_lshl_add_u32 v58, s7, 5, v1
	s_andn2_b64 vcc, exec, s[34:35]
	v_mov_b32_e32 v20, v23
	v_mov_b32_e32 v21, v23
	v_mov_b32_e32 v18, v23
	v_mov_b32_e32 v19, v23
	v_mov_b32_e32 v16, v23
	v_mov_b32_e32 v17, v23
	v_mov_b32_e32 v15, v23
	v_mov_b32_e32 v14, v23
	s_cbranch_vccnz .LBB73_55
; %bb.5:                                ;   in Loop: Header=BB73_4 Depth=1
	buffer_load_dword v7, off, s[56:59], 0 offset:16 ; 4-byte Folded Reload
	buffer_load_dword v8, off, s[56:59], 0 offset:20 ; 4-byte Folded Reload
	buffer_load_dword v50, off, s[56:59], 0 ; 4-byte Folded Reload
	buffer_load_dword v51, off, s[56:59], 0 offset:4 ; 4-byte Folded Reload
	buffer_load_dword v52, off, s[56:59], 0 offset:8 ; 4-byte Folded Reload
	;; [unrolled: 1-line block ×3, first 2 shown]
	v_ashrrev_i32_e32 v39, 31, v38
	v_lshlrev_b64 v[2:3], 3, v[38:39]
	v_mul_lo_u32 v4, s21, v38
	v_add_co_u32_e32 v2, vcc, 0x80, v2
	v_addc_co_u32_e32 v3, vcc, 0, v3, vcc
	v_mul_lo_u32 v5, s20, v39
	v_mul_lo_u32 v3, s24, v3
	;; [unrolled: 1-line block ×3, first 2 shown]
	s_mov_b64 s[22:23], 0
	v_mov_b32_e32 v14, 0
	v_mov_b32_e32 v15, 0
	;; [unrolled: 1-line block ×8, first 2 shown]
	s_waitcnt vmcnt(4)
	v_mad_u64_u32 v[46:47], s[8:9], s20, v38, v[7:8]
	v_mad_u64_u32 v[48:49], s[8:9], s24, v2, v[7:8]
	v_add3_u32 v47, v4, v47, v5
	v_sub_co_u32_e32 v2, vcc, s52, v58
	v_add3_u32 v49, v6, v49, v3
	v_mov_b32_e32 v3, s6
	v_ashrrev_i32_e32 v4, 31, v58
	v_subb_co_u32_e32 v3, vcc, v3, v4, vcc
	v_cmp_lt_i64_e64 s[8:9], 0, v[2:3]
	v_cmp_lt_i64_e64 s[10:11], 16, v[2:3]
	s_branch .LBB73_7
.LBB73_6:                               ;   in Loop: Header=BB73_7 Depth=2
	s_or_b64 exec, exec, s[12:13]
	s_waitcnt lgkmcnt(0)
	s_barrier
	ds_read_b128 v[60:63], v56
	ds_read_b128 v[10:13], v56 offset:16
	ds_read_b128 v[6:9], v56 offset:32
	;; [unrolled: 1-line block ×3, first 2 shown]
	ds_read2_b64 v[42:45], v54 offset1:16
	v_add_co_u32_e32 v52, vcc, s42, v52
	s_add_u32 s22, s22, 32
	s_addc_u32 s23, s23, 0
	s_waitcnt lgkmcnt(0)
	v_mul_f32_e32 v26, v61, v43
	v_mul_f32_e32 v27, v60, v43
	v_fma_f32 v26, v60, v42, -v26
	v_fmac_f32_e32 v27, v61, v42
	v_add_f32_e32 v26, v20, v26
	v_add_f32_e32 v27, v21, v27
	v_mul_f32_e32 v20, v61, v45
	v_mul_f32_e32 v21, v60, v45
	v_fma_f32 v20, v60, v44, -v20
	v_fmac_f32_e32 v21, v61, v44
	v_add_f32_e32 v39, v18, v20
	v_add_f32_e32 v60, v19, v21
	ds_read_b128 v[18:21], v56 offset:4096
	s_sub_i32 s12, s22, 32
	s_cmp_ge_i32 s12, s51
	s_waitcnt lgkmcnt(0)
	v_mul_f32_e32 v61, v19, v43
	v_mul_f32_e32 v43, v18, v43
	v_fma_f32 v61, v18, v42, -v61
	v_fmac_f32_e32 v43, v19, v42
	v_add_f32_e32 v42, v16, v61
	v_add_f32_e32 v43, v17, v43
	v_mul_f32_e32 v16, v19, v45
	v_mul_f32_e32 v17, v18, v45
	v_fma_f32 v16, v18, v44, -v16
	v_fmac_f32_e32 v17, v19, v44
	v_add_f32_e32 v18, v15, v16
	v_add_f32_e32 v19, v14, v17
	ds_read2_b64 v[14:17], v54 offset0:32 offset1:48
	s_waitcnt lgkmcnt(0)
	v_mul_f32_e32 v44, v63, v15
	v_fma_f32 v44, v62, v14, -v44
	v_add_f32_e32 v44, v26, v44
	v_mul_f32_e32 v26, v63, v17
	v_fma_f32 v26, v62, v16, -v26
	v_mul_f32_e32 v45, v62, v15
	v_add_f32_e32 v39, v39, v26
	v_mul_f32_e32 v26, v21, v15
	v_mul_f32_e32 v15, v20, v15
	v_fmac_f32_e32 v45, v63, v14
	v_fmac_f32_e32 v15, v21, v14
	v_add_f32_e32 v27, v27, v45
	v_mul_f32_e32 v45, v62, v17
	v_fma_f32 v26, v20, v14, -v26
	v_add_f32_e32 v62, v43, v15
	v_mul_f32_e32 v14, v21, v17
	v_mul_f32_e32 v15, v20, v17
	v_fma_f32 v14, v20, v16, -v14
	v_fmac_f32_e32 v15, v21, v16
	v_fmac_f32_e32 v45, v63, v16
	v_add_f32_e32 v61, v42, v26
	v_add_f32_e32 v63, v18, v14
	;; [unrolled: 1-line block ×3, first 2 shown]
	ds_read2_b64 v[14:17], v54 offset0:64 offset1:80
	v_add_f32_e32 v59, v60, v45
	s_waitcnt lgkmcnt(0)
	v_mul_f32_e32 v18, v11, v15
	v_mul_f32_e32 v19, v10, v15
	v_fma_f32 v18, v10, v14, -v18
	v_fmac_f32_e32 v19, v11, v14
	v_add_f32_e32 v45, v44, v18
	v_add_f32_e32 v60, v27, v19
	v_mul_f32_e32 v18, v11, v17
	v_mul_f32_e32 v19, v10, v17
	v_fma_f32 v18, v10, v16, -v18
	v_fmac_f32_e32 v19, v11, v16
	v_add_f32_e32 v10, v39, v18
	v_add_f32_e32 v11, v59, v19
	ds_read_b128 v[18:21], v56 offset:4112
	s_waitcnt lgkmcnt(0)
	v_mul_f32_e32 v27, v19, v15
	v_mul_f32_e32 v15, v18, v15
	v_fmac_f32_e32 v15, v19, v14
	v_fma_f32 v27, v18, v14, -v27
	v_add_f32_e32 v39, v62, v15
	v_mul_f32_e32 v14, v19, v17
	v_mul_f32_e32 v15, v18, v17
	v_fma_f32 v14, v18, v16, -v14
	v_fmac_f32_e32 v15, v19, v16
	v_add_f32_e32 v18, v63, v14
	v_add_f32_e32 v19, v26, v15
	ds_read2_b64 v[14:17], v54 offset0:96 offset1:112
	v_add_f32_e32 v27, v61, v27
	s_waitcnt lgkmcnt(0)
	v_mul_f32_e32 v26, v13, v15
	v_mul_f32_e32 v43, v13, v17
	v_fma_f32 v26, v12, v14, -v26
	v_mul_f32_e32 v42, v12, v15
	v_fma_f32 v43, v12, v16, -v43
	v_mul_f32_e32 v12, v12, v17
	v_fmac_f32_e32 v12, v13, v16
	v_add_f32_e32 v43, v10, v43
	v_add_f32_e32 v44, v11, v12
	v_mul_f32_e32 v10, v21, v15
	v_mul_f32_e32 v11, v20, v15
	v_fma_f32 v10, v20, v14, -v10
	v_fmac_f32_e32 v11, v21, v14
	v_fmac_f32_e32 v42, v13, v14
	v_add_f32_e32 v14, v27, v10
	v_add_f32_e32 v15, v39, v11
	v_mul_f32_e32 v10, v21, v17
	v_mul_f32_e32 v11, v20, v17
	v_fma_f32 v10, v20, v16, -v10
	v_fmac_f32_e32 v11, v21, v16
	v_add_f32_e32 v20, v18, v10
	v_add_f32_e32 v21, v19, v11
	ds_read2_b64 v[10:13], v54 offset0:128 offset1:144
	v_add_f32_e32 v26, v45, v26
	v_add_f32_e32 v42, v60, v42
	s_waitcnt lgkmcnt(0)
	v_mul_f32_e32 v16, v7, v11
	v_fma_f32 v16, v6, v10, -v16
	v_mul_f32_e32 v17, v6, v11
	v_add_f32_e32 v26, v26, v16
	v_mul_f32_e32 v16, v7, v13
	v_fmac_f32_e32 v17, v7, v10
	v_fma_f32 v16, v6, v12, -v16
	v_mul_f32_e32 v6, v6, v13
	v_add_f32_e32 v27, v42, v17
	v_fmac_f32_e32 v6, v7, v12
	v_add_f32_e32 v7, v43, v16
	ds_read_b128 v[16:19], v56 offset:4128
	v_add_f32_e32 v6, v44, v6
	s_waitcnt lgkmcnt(0)
	v_mul_f32_e32 v39, v17, v11
	v_mul_f32_e32 v11, v16, v11
	v_fmac_f32_e32 v11, v17, v10
	v_fma_f32 v39, v16, v10, -v39
	v_add_f32_e32 v15, v15, v11
	v_mul_f32_e32 v10, v17, v13
	v_mul_f32_e32 v11, v16, v13
	v_fma_f32 v10, v16, v12, -v10
	v_fmac_f32_e32 v11, v17, v12
	v_add_f32_e32 v20, v20, v10
	v_add_f32_e32 v21, v21, v11
	ds_read2_b64 v[10:13], v54 offset0:160 offset1:176
	v_add_f32_e32 v14, v14, v39
	s_waitcnt lgkmcnt(0)
	v_mul_f32_e32 v16, v9, v11
	v_fma_f32 v16, v8, v10, -v16
	v_add_f32_e32 v26, v26, v16
	v_mul_f32_e32 v16, v9, v13
	v_mul_f32_e32 v17, v8, v11
	v_fma_f32 v16, v8, v12, -v16
	v_mul_f32_e32 v8, v8, v13
	v_fmac_f32_e32 v8, v9, v12
	v_add_f32_e32 v39, v7, v16
	v_add_f32_e32 v42, v6, v8
	v_mul_f32_e32 v6, v19, v11
	v_mul_f32_e32 v7, v18, v11
	v_fmac_f32_e32 v17, v9, v10
	v_fma_f32 v6, v18, v10, -v6
	v_fmac_f32_e32 v7, v19, v10
	v_add_f32_e32 v27, v27, v17
	v_add_f32_e32 v16, v14, v6
	;; [unrolled: 1-line block ×3, first 2 shown]
	v_mul_f32_e32 v6, v19, v13
	v_mul_f32_e32 v7, v18, v13
	v_fma_f32 v6, v18, v12, -v6
	v_fmac_f32_e32 v7, v19, v12
	v_add_f32_e32 v18, v20, v6
	v_add_f32_e32 v19, v21, v7
	ds_read2_b64 v[6:9], v54 offset0:192 offset1:208
	s_waitcnt lgkmcnt(0)
	v_mul_f32_e32 v10, v3, v7
	v_mul_f32_e32 v11, v2, v7
	v_fma_f32 v10, v2, v6, -v10
	v_fmac_f32_e32 v11, v3, v6
	v_add_f32_e32 v14, v26, v10
	v_add_f32_e32 v15, v27, v11
	v_mul_f32_e32 v10, v3, v9
	v_mul_f32_e32 v11, v2, v9
	v_fma_f32 v10, v2, v8, -v10
	v_fmac_f32_e32 v11, v3, v8
	v_add_f32_e32 v2, v39, v10
	v_add_f32_e32 v3, v42, v11
	ds_read_b128 v[10:13], v56 offset:4144
	s_waitcnt lgkmcnt(0)
	v_mul_f32_e32 v20, v11, v7
	v_mul_f32_e32 v7, v10, v7
	v_fmac_f32_e32 v7, v11, v6
	v_fma_f32 v20, v10, v6, -v20
	v_add_f32_e32 v17, v17, v7
	v_mul_f32_e32 v6, v11, v9
	v_mul_f32_e32 v7, v10, v9
	v_fma_f32 v6, v10, v8, -v6
	v_fmac_f32_e32 v7, v11, v8
	v_add_f32_e32 v10, v18, v6
	v_add_f32_e32 v11, v19, v7
	ds_read2_b64 v[6:9], v54 offset0:224 offset1:240
	v_add_f32_e32 v16, v16, v20
	s_waitcnt lgkmcnt(0)
	v_mul_f32_e32 v18, v5, v7
	v_fma_f32 v18, v4, v6, -v18
	v_add_f32_e32 v18, v14, v18
	v_mul_f32_e32 v14, v5, v9
	v_mul_f32_e32 v19, v4, v7
	v_fma_f32 v14, v4, v8, -v14
	v_mul_f32_e32 v4, v4, v9
	v_fmac_f32_e32 v19, v5, v6
	v_fmac_f32_e32 v4, v5, v8
	v_add_f32_e32 v15, v15, v19
	v_add_f32_e32 v19, v2, v14
	;; [unrolled: 1-line block ×3, first 2 shown]
	v_mul_f32_e32 v2, v13, v7
	v_mul_f32_e32 v3, v12, v7
	v_fma_f32 v2, v12, v6, -v2
	v_fmac_f32_e32 v3, v13, v6
	v_add_f32_e32 v21, v16, v2
	v_add_f32_e32 v26, v17, v3
	v_mul_f32_e32 v2, v13, v9
	v_mul_f32_e32 v3, v12, v9
	v_fma_f32 v2, v12, v8, -v2
	v_fmac_f32_e32 v3, v13, v8
	v_add_u32_e32 v14, 0x800, v54
	v_add_f32_e32 v10, v10, v2
	v_add_f32_e32 v11, v11, v3
	ds_read_b128 v[2:5], v56 offset:64
	ds_read2_b64 v[6:9], v14 offset1:16
	s_waitcnt lgkmcnt(0)
	v_mul_f32_e32 v13, v2, v7
	v_fmac_f32_e32 v13, v3, v6
	v_mul_f32_e32 v12, v3, v7
	v_add_f32_e32 v13, v15, v13
	v_mul_f32_e32 v15, v3, v9
	v_fma_f32 v12, v2, v6, -v12
	v_fma_f32 v15, v2, v8, -v15
	v_mul_f32_e32 v2, v2, v9
	v_add_f32_e32 v12, v18, v12
	v_fmac_f32_e32 v2, v3, v8
	v_add_f32_e32 v3, v19, v15
	ds_read_b128 v[15:18], v56 offset:4160
	v_add_f32_e32 v2, v20, v2
	s_waitcnt lgkmcnt(0)
	v_mul_f32_e32 v19, v16, v7
	v_mul_f32_e32 v7, v15, v7
	v_fmac_f32_e32 v7, v16, v6
	v_fma_f32 v19, v15, v6, -v19
	v_add_f32_e32 v20, v26, v7
	v_mul_f32_e32 v6, v16, v9
	v_mul_f32_e32 v7, v15, v9
	v_fma_f32 v6, v15, v8, -v6
	v_fmac_f32_e32 v7, v16, v8
	v_add_f32_e32 v19, v21, v19
	v_add_f32_e32 v21, v10, v6
	;; [unrolled: 1-line block ×3, first 2 shown]
	ds_read2_b64 v[6:9], v14 offset0:32 offset1:48
	s_waitcnt lgkmcnt(0)
	v_mul_f32_e32 v10, v5, v7
	v_fma_f32 v10, v4, v6, -v10
	v_add_f32_e32 v10, v12, v10
	v_mul_f32_e32 v12, v5, v9
	v_mul_f32_e32 v11, v4, v7
	v_fma_f32 v12, v4, v8, -v12
	v_mul_f32_e32 v4, v4, v9
	v_fmac_f32_e32 v11, v5, v6
	v_fmac_f32_e32 v4, v5, v8
	v_add_f32_e32 v11, v13, v11
	v_add_f32_e32 v12, v3, v12
	v_add_f32_e32 v13, v2, v4
	v_mul_f32_e32 v2, v18, v7
	v_mul_f32_e32 v3, v17, v7
	v_fma_f32 v2, v17, v6, -v2
	v_fmac_f32_e32 v3, v18, v6
	v_add_f32_e32 v15, v19, v2
	v_add_f32_e32 v16, v20, v3
	v_mul_f32_e32 v2, v18, v9
	v_mul_f32_e32 v3, v17, v9
	v_fma_f32 v2, v17, v8, -v2
	v_fmac_f32_e32 v3, v18, v8
	v_add_f32_e32 v17, v21, v2
	v_add_f32_e32 v18, v26, v3
	ds_read_b128 v[2:5], v56 offset:80
	ds_read2_b64 v[6:9], v14 offset0:64 offset1:80
	s_waitcnt lgkmcnt(0)
	v_mul_f32_e32 v19, v3, v7
	v_mul_f32_e32 v20, v2, v7
	v_fma_f32 v19, v2, v6, -v19
	v_fmac_f32_e32 v20, v3, v6
	v_add_f32_e32 v19, v10, v19
	v_add_f32_e32 v20, v11, v20
	v_mul_f32_e32 v10, v3, v9
	v_mul_f32_e32 v11, v2, v9
	v_fma_f32 v10, v2, v8, -v10
	v_fmac_f32_e32 v11, v3, v8
	v_add_f32_e32 v2, v12, v10
	v_add_f32_e32 v3, v13, v11
	ds_read_b128 v[10:13], v56 offset:4176
	s_waitcnt lgkmcnt(0)
	v_mul_f32_e32 v21, v11, v7
	v_mul_f32_e32 v7, v10, v7
	v_fmac_f32_e32 v7, v11, v6
	v_fma_f32 v21, v10, v6, -v21
	v_add_f32_e32 v16, v16, v7
	v_mul_f32_e32 v6, v11, v9
	v_mul_f32_e32 v7, v10, v9
	v_fma_f32 v6, v10, v8, -v6
	v_fmac_f32_e32 v7, v11, v8
	v_add_f32_e32 v10, v17, v6
	v_add_f32_e32 v11, v18, v7
	ds_read2_b64 v[6:9], v14 offset0:96 offset1:112
	v_add_f32_e32 v15, v15, v21
	s_waitcnt lgkmcnt(0)
	v_mul_f32_e32 v17, v5, v7
	v_fma_f32 v17, v4, v6, -v17
	v_add_f32_e32 v17, v19, v17
	v_mul_f32_e32 v19, v5, v9
	v_mul_f32_e32 v18, v4, v7
	v_fma_f32 v19, v4, v8, -v19
	v_mul_f32_e32 v4, v4, v9
	v_fmac_f32_e32 v18, v5, v6
	v_fmac_f32_e32 v4, v5, v8
	v_add_f32_e32 v18, v20, v18
	v_add_f32_e32 v19, v2, v19
	;; [unrolled: 1-line block ×3, first 2 shown]
	v_mul_f32_e32 v2, v13, v7
	v_mul_f32_e32 v3, v12, v7
	v_fma_f32 v2, v12, v6, -v2
	v_fmac_f32_e32 v3, v13, v6
	v_add_f32_e32 v21, v15, v2
	v_add_f32_e32 v26, v16, v3
	v_mul_f32_e32 v2, v13, v9
	v_mul_f32_e32 v3, v12, v9
	v_fma_f32 v2, v12, v8, -v2
	v_fmac_f32_e32 v3, v13, v8
	v_add_f32_e32 v10, v10, v2
	v_add_f32_e32 v11, v11, v3
	ds_read_b128 v[2:5], v56 offset:96
	ds_read2_b64 v[6:9], v14 offset0:128 offset1:144
	s_waitcnt lgkmcnt(0)
	v_mul_f32_e32 v12, v3, v7
	v_mul_f32_e32 v13, v2, v7
	;; [unrolled: 1-line block ×3, first 2 shown]
	v_fma_f32 v12, v2, v6, -v12
	v_fmac_f32_e32 v13, v3, v6
	v_fma_f32 v15, v2, v8, -v15
	v_mul_f32_e32 v2, v2, v9
	v_add_f32_e32 v12, v17, v12
	v_add_f32_e32 v13, v18, v13
	v_fmac_f32_e32 v2, v3, v8
	v_add_f32_e32 v3, v19, v15
	ds_read_b128 v[15:18], v56 offset:4192
	v_add_f32_e32 v2, v20, v2
	s_waitcnt lgkmcnt(0)
	v_mul_f32_e32 v19, v16, v7
	v_mul_f32_e32 v7, v15, v7
	v_fmac_f32_e32 v7, v16, v6
	v_fma_f32 v19, v15, v6, -v19
	v_add_f32_e32 v20, v26, v7
	v_mul_f32_e32 v6, v16, v9
	v_mul_f32_e32 v7, v15, v9
	v_fma_f32 v6, v15, v8, -v6
	v_fmac_f32_e32 v7, v16, v8
	v_add_f32_e32 v19, v21, v19
	v_add_f32_e32 v21, v10, v6
	;; [unrolled: 1-line block ×3, first 2 shown]
	ds_read2_b64 v[6:9], v14 offset0:160 offset1:176
	s_waitcnt lgkmcnt(0)
	v_mul_f32_e32 v10, v5, v7
	v_fma_f32 v10, v4, v6, -v10
	v_add_f32_e32 v10, v12, v10
	v_mul_f32_e32 v12, v5, v9
	v_mul_f32_e32 v11, v4, v7
	v_fma_f32 v12, v4, v8, -v12
	v_mul_f32_e32 v4, v4, v9
	v_fmac_f32_e32 v11, v5, v6
	v_fmac_f32_e32 v4, v5, v8
	v_add_f32_e32 v11, v13, v11
	v_add_f32_e32 v12, v3, v12
	;; [unrolled: 1-line block ×3, first 2 shown]
	v_mul_f32_e32 v2, v18, v7
	v_mul_f32_e32 v3, v17, v7
	v_fma_f32 v2, v17, v6, -v2
	v_fmac_f32_e32 v3, v18, v6
	v_add_f32_e32 v15, v19, v2
	v_add_f32_e32 v16, v20, v3
	v_mul_f32_e32 v2, v18, v9
	v_mul_f32_e32 v3, v17, v9
	v_fma_f32 v2, v17, v8, -v2
	v_fmac_f32_e32 v3, v18, v8
	v_add_f32_e32 v17, v21, v2
	v_add_f32_e32 v18, v26, v3
	ds_read_b128 v[2:5], v56 offset:112
	ds_read2_b64 v[6:9], v14 offset0:192 offset1:208
	s_waitcnt lgkmcnt(0)
	v_mul_f32_e32 v19, v3, v7
	v_mul_f32_e32 v20, v2, v7
	v_fma_f32 v19, v2, v6, -v19
	v_fmac_f32_e32 v20, v3, v6
	v_add_f32_e32 v19, v10, v19
	v_add_f32_e32 v20, v11, v20
	v_mul_f32_e32 v10, v3, v9
	v_mul_f32_e32 v11, v2, v9
	v_fma_f32 v10, v2, v8, -v10
	v_fmac_f32_e32 v11, v3, v8
	v_add_f32_e32 v2, v12, v10
	v_add_f32_e32 v3, v13, v11
	ds_read_b128 v[10:13], v56 offset:4208
	s_waitcnt lgkmcnt(0)
	v_mul_f32_e32 v21, v11, v7
	v_mul_f32_e32 v7, v10, v7
	v_fmac_f32_e32 v7, v11, v6
	v_fma_f32 v21, v10, v6, -v21
	v_add_f32_e32 v16, v16, v7
	v_mul_f32_e32 v6, v11, v9
	v_mul_f32_e32 v7, v10, v9
	v_fma_f32 v6, v10, v8, -v6
	v_fmac_f32_e32 v7, v11, v8
	v_add_f32_e32 v10, v17, v6
	v_add_f32_e32 v11, v18, v7
	ds_read2_b64 v[6:9], v14 offset0:224 offset1:240
	v_add_f32_e32 v15, v15, v21
	s_waitcnt lgkmcnt(0)
	v_mul_f32_e32 v14, v5, v7
	v_fma_f32 v14, v4, v6, -v14
	v_add_f32_e32 v18, v19, v14
	v_mul_f32_e32 v14, v5, v9
	v_mul_f32_e32 v17, v4, v7
	v_fma_f32 v14, v4, v8, -v14
	v_mul_f32_e32 v4, v4, v9
	v_fmac_f32_e32 v17, v5, v6
	v_fmac_f32_e32 v4, v5, v8
	v_add_f32_e32 v17, v20, v17
	v_add_f32_e32 v19, v2, v14
	;; [unrolled: 1-line block ×3, first 2 shown]
	v_mul_f32_e32 v2, v13, v7
	v_mul_f32_e32 v3, v12, v7
	v_fma_f32 v2, v12, v6, -v2
	v_fmac_f32_e32 v3, v13, v6
	v_add_f32_e32 v21, v15, v2
	v_add_f32_e32 v26, v16, v3
	v_mul_f32_e32 v2, v13, v9
	v_mul_f32_e32 v3, v12, v9
	v_fma_f32 v2, v12, v8, -v2
	v_fmac_f32_e32 v3, v13, v8
	v_add_u32_e32 v14, 0x1000, v54
	v_add_f32_e32 v10, v10, v2
	v_add_f32_e32 v11, v11, v3
	ds_read_b128 v[2:5], v56 offset:128
	ds_read2_b64 v[6:9], v14 offset1:16
	s_waitcnt lgkmcnt(0)
	v_mul_f32_e32 v12, v3, v7
	v_mul_f32_e32 v13, v2, v7
	;; [unrolled: 1-line block ×3, first 2 shown]
	v_fma_f32 v12, v2, v6, -v12
	v_fmac_f32_e32 v13, v3, v6
	v_fma_f32 v15, v2, v8, -v15
	v_mul_f32_e32 v2, v2, v9
	v_add_f32_e32 v12, v18, v12
	v_add_f32_e32 v13, v17, v13
	v_fmac_f32_e32 v2, v3, v8
	v_add_f32_e32 v3, v19, v15
	ds_read_b128 v[15:18], v56 offset:4224
	v_add_f32_e32 v2, v20, v2
	s_waitcnt lgkmcnt(0)
	v_mul_f32_e32 v19, v16, v7
	v_mul_f32_e32 v7, v15, v7
	v_fmac_f32_e32 v7, v16, v6
	v_fma_f32 v19, v15, v6, -v19
	v_add_f32_e32 v20, v26, v7
	v_mul_f32_e32 v6, v16, v9
	v_mul_f32_e32 v7, v15, v9
	v_fma_f32 v6, v15, v8, -v6
	v_fmac_f32_e32 v7, v16, v8
	v_add_f32_e32 v19, v21, v19
	v_add_f32_e32 v21, v10, v6
	;; [unrolled: 1-line block ×3, first 2 shown]
	ds_read2_b64 v[6:9], v14 offset0:32 offset1:48
	s_waitcnt lgkmcnt(0)
	v_mul_f32_e32 v10, v5, v7
	v_fma_f32 v10, v4, v6, -v10
	v_add_f32_e32 v10, v12, v10
	v_mul_f32_e32 v12, v5, v9
	v_mul_f32_e32 v11, v4, v7
	v_fma_f32 v12, v4, v8, -v12
	v_mul_f32_e32 v4, v4, v9
	v_fmac_f32_e32 v11, v5, v6
	v_fmac_f32_e32 v4, v5, v8
	v_add_f32_e32 v11, v13, v11
	v_add_f32_e32 v12, v3, v12
	;; [unrolled: 1-line block ×3, first 2 shown]
	v_mul_f32_e32 v2, v18, v7
	v_mul_f32_e32 v3, v17, v7
	v_fma_f32 v2, v17, v6, -v2
	v_fmac_f32_e32 v3, v18, v6
	v_add_f32_e32 v15, v19, v2
	v_add_f32_e32 v16, v20, v3
	v_mul_f32_e32 v2, v18, v9
	v_mul_f32_e32 v3, v17, v9
	v_fma_f32 v2, v17, v8, -v2
	v_fmac_f32_e32 v3, v18, v8
	v_add_f32_e32 v17, v21, v2
	v_add_f32_e32 v18, v26, v3
	ds_read_b128 v[2:5], v56 offset:144
	ds_read2_b64 v[6:9], v14 offset0:64 offset1:80
	s_waitcnt lgkmcnt(0)
	v_mul_f32_e32 v19, v3, v7
	v_mul_f32_e32 v20, v2, v7
	v_fma_f32 v19, v2, v6, -v19
	v_fmac_f32_e32 v20, v3, v6
	v_add_f32_e32 v19, v10, v19
	v_add_f32_e32 v20, v11, v20
	v_mul_f32_e32 v10, v3, v9
	v_mul_f32_e32 v11, v2, v9
	v_fma_f32 v10, v2, v8, -v10
	v_fmac_f32_e32 v11, v3, v8
	v_add_f32_e32 v2, v12, v10
	v_add_f32_e32 v3, v13, v11
	ds_read_b128 v[10:13], v56 offset:4240
	s_waitcnt lgkmcnt(0)
	v_mul_f32_e32 v21, v11, v7
	v_mul_f32_e32 v7, v10, v7
	v_fmac_f32_e32 v7, v11, v6
	v_fma_f32 v21, v10, v6, -v21
	v_add_f32_e32 v16, v16, v7
	v_mul_f32_e32 v6, v11, v9
	v_mul_f32_e32 v7, v10, v9
	v_fma_f32 v6, v10, v8, -v6
	v_fmac_f32_e32 v7, v11, v8
	v_add_f32_e32 v10, v17, v6
	v_add_f32_e32 v11, v18, v7
	ds_read2_b64 v[6:9], v14 offset0:96 offset1:112
	v_add_f32_e32 v15, v15, v21
	s_waitcnt lgkmcnt(0)
	v_mul_f32_e32 v17, v5, v7
	v_fma_f32 v17, v4, v6, -v17
	v_add_f32_e32 v17, v19, v17
	v_mul_f32_e32 v19, v5, v9
	v_mul_f32_e32 v18, v4, v7
	v_fma_f32 v19, v4, v8, -v19
	v_mul_f32_e32 v4, v4, v9
	v_fmac_f32_e32 v18, v5, v6
	v_fmac_f32_e32 v4, v5, v8
	v_add_f32_e32 v18, v20, v18
	v_add_f32_e32 v19, v2, v19
	;; [unrolled: 1-line block ×3, first 2 shown]
	v_mul_f32_e32 v2, v13, v7
	v_mul_f32_e32 v3, v12, v7
	v_fma_f32 v2, v12, v6, -v2
	v_fmac_f32_e32 v3, v13, v6
	v_add_f32_e32 v21, v15, v2
	v_add_f32_e32 v26, v16, v3
	v_mul_f32_e32 v2, v13, v9
	v_mul_f32_e32 v3, v12, v9
	v_fma_f32 v2, v12, v8, -v2
	v_fmac_f32_e32 v3, v13, v8
	v_add_f32_e32 v10, v10, v2
	v_add_f32_e32 v11, v11, v3
	ds_read_b128 v[2:5], v56 offset:160
	ds_read2_b64 v[6:9], v14 offset0:128 offset1:144
	s_waitcnt lgkmcnt(0)
	v_mul_f32_e32 v12, v3, v7
	v_mul_f32_e32 v13, v2, v7
	;; [unrolled: 1-line block ×3, first 2 shown]
	v_fma_f32 v12, v2, v6, -v12
	v_fmac_f32_e32 v13, v3, v6
	v_fma_f32 v15, v2, v8, -v15
	v_mul_f32_e32 v2, v2, v9
	v_add_f32_e32 v12, v17, v12
	v_add_f32_e32 v13, v18, v13
	v_fmac_f32_e32 v2, v3, v8
	v_add_f32_e32 v3, v19, v15
	ds_read_b128 v[15:18], v56 offset:4256
	v_add_f32_e32 v2, v20, v2
	s_waitcnt lgkmcnt(0)
	v_mul_f32_e32 v19, v16, v7
	v_mul_f32_e32 v7, v15, v7
	v_fmac_f32_e32 v7, v16, v6
	v_fma_f32 v19, v15, v6, -v19
	v_add_f32_e32 v20, v26, v7
	v_mul_f32_e32 v6, v16, v9
	v_mul_f32_e32 v7, v15, v9
	v_fma_f32 v6, v15, v8, -v6
	v_fmac_f32_e32 v7, v16, v8
	v_add_f32_e32 v19, v21, v19
	v_add_f32_e32 v21, v10, v6
	;; [unrolled: 1-line block ×3, first 2 shown]
	ds_read2_b64 v[6:9], v14 offset0:160 offset1:176
	s_waitcnt lgkmcnt(0)
	v_mul_f32_e32 v10, v5, v7
	v_fma_f32 v10, v4, v6, -v10
	v_add_f32_e32 v10, v12, v10
	v_mul_f32_e32 v12, v5, v9
	v_mul_f32_e32 v11, v4, v7
	v_fma_f32 v12, v4, v8, -v12
	v_mul_f32_e32 v4, v4, v9
	v_fmac_f32_e32 v11, v5, v6
	v_fmac_f32_e32 v4, v5, v8
	v_add_f32_e32 v11, v13, v11
	v_add_f32_e32 v12, v3, v12
	v_add_f32_e32 v13, v2, v4
	v_mul_f32_e32 v2, v18, v7
	v_mul_f32_e32 v3, v17, v7
	v_fma_f32 v2, v17, v6, -v2
	v_fmac_f32_e32 v3, v18, v6
	v_add_f32_e32 v15, v19, v2
	v_add_f32_e32 v16, v20, v3
	v_mul_f32_e32 v2, v18, v9
	v_mul_f32_e32 v3, v17, v9
	v_fma_f32 v2, v17, v8, -v2
	v_fmac_f32_e32 v3, v18, v8
	v_add_f32_e32 v17, v21, v2
	v_add_f32_e32 v18, v26, v3
	ds_read_b128 v[2:5], v56 offset:176
	ds_read2_b64 v[6:9], v14 offset0:192 offset1:208
	s_waitcnt lgkmcnt(0)
	v_mul_f32_e32 v19, v3, v7
	v_mul_f32_e32 v20, v2, v7
	v_fma_f32 v19, v2, v6, -v19
	v_fmac_f32_e32 v20, v3, v6
	v_add_f32_e32 v19, v10, v19
	v_add_f32_e32 v20, v11, v20
	v_mul_f32_e32 v10, v3, v9
	v_mul_f32_e32 v11, v2, v9
	v_fma_f32 v10, v2, v8, -v10
	v_fmac_f32_e32 v11, v3, v8
	v_add_f32_e32 v2, v12, v10
	v_add_f32_e32 v3, v13, v11
	ds_read_b128 v[10:13], v56 offset:4272
	s_waitcnt lgkmcnt(0)
	v_mul_f32_e32 v21, v11, v7
	v_mul_f32_e32 v7, v10, v7
	v_fmac_f32_e32 v7, v11, v6
	v_fma_f32 v21, v10, v6, -v21
	v_add_f32_e32 v16, v16, v7
	v_mul_f32_e32 v6, v11, v9
	v_mul_f32_e32 v7, v10, v9
	v_fma_f32 v6, v10, v8, -v6
	v_fmac_f32_e32 v7, v11, v8
	v_add_f32_e32 v10, v17, v6
	v_add_f32_e32 v11, v18, v7
	ds_read2_b64 v[6:9], v14 offset0:224 offset1:240
	v_add_f32_e32 v15, v15, v21
	s_waitcnt lgkmcnt(0)
	v_mul_f32_e32 v14, v5, v7
	v_fma_f32 v14, v4, v6, -v14
	v_add_f32_e32 v18, v19, v14
	v_mul_f32_e32 v14, v5, v9
	v_mul_f32_e32 v17, v4, v7
	v_fma_f32 v14, v4, v8, -v14
	v_mul_f32_e32 v4, v4, v9
	v_fmac_f32_e32 v17, v5, v6
	v_fmac_f32_e32 v4, v5, v8
	v_add_f32_e32 v17, v20, v17
	v_add_f32_e32 v19, v2, v14
	;; [unrolled: 1-line block ×3, first 2 shown]
	v_mul_f32_e32 v2, v13, v7
	v_mul_f32_e32 v3, v12, v7
	v_fma_f32 v2, v12, v6, -v2
	v_fmac_f32_e32 v3, v13, v6
	v_add_f32_e32 v21, v15, v2
	v_add_f32_e32 v26, v16, v3
	v_mul_f32_e32 v2, v13, v9
	v_mul_f32_e32 v3, v12, v9
	v_fma_f32 v2, v12, v8, -v2
	v_fmac_f32_e32 v3, v13, v8
	v_add_u32_e32 v14, 0x1800, v54
	v_add_f32_e32 v10, v10, v2
	v_add_f32_e32 v11, v11, v3
	ds_read_b128 v[2:5], v56 offset:192
	ds_read2_b64 v[6:9], v14 offset1:16
	s_waitcnt lgkmcnt(0)
	v_mul_f32_e32 v12, v3, v7
	v_mul_f32_e32 v13, v2, v7
	;; [unrolled: 1-line block ×3, first 2 shown]
	v_fma_f32 v12, v2, v6, -v12
	v_fmac_f32_e32 v13, v3, v6
	v_fma_f32 v15, v2, v8, -v15
	v_mul_f32_e32 v2, v2, v9
	v_add_f32_e32 v12, v18, v12
	v_add_f32_e32 v13, v17, v13
	v_fmac_f32_e32 v2, v3, v8
	v_add_f32_e32 v3, v19, v15
	ds_read_b128 v[15:18], v56 offset:4288
	v_add_f32_e32 v2, v20, v2
	s_waitcnt lgkmcnt(0)
	v_mul_f32_e32 v19, v16, v7
	v_mul_f32_e32 v7, v15, v7
	v_fmac_f32_e32 v7, v16, v6
	v_fma_f32 v19, v15, v6, -v19
	v_add_f32_e32 v20, v26, v7
	v_mul_f32_e32 v6, v16, v9
	v_mul_f32_e32 v7, v15, v9
	v_fma_f32 v6, v15, v8, -v6
	v_fmac_f32_e32 v7, v16, v8
	v_add_f32_e32 v19, v21, v19
	v_add_f32_e32 v21, v10, v6
	;; [unrolled: 1-line block ×3, first 2 shown]
	ds_read2_b64 v[6:9], v14 offset0:32 offset1:48
	s_waitcnt lgkmcnt(0)
	v_mul_f32_e32 v10, v5, v7
	v_fma_f32 v10, v4, v6, -v10
	v_add_f32_e32 v10, v12, v10
	v_mul_f32_e32 v12, v5, v9
	v_mul_f32_e32 v11, v4, v7
	v_fma_f32 v12, v4, v8, -v12
	v_mul_f32_e32 v4, v4, v9
	v_fmac_f32_e32 v11, v5, v6
	v_fmac_f32_e32 v4, v5, v8
	v_add_f32_e32 v11, v13, v11
	v_add_f32_e32 v12, v3, v12
	;; [unrolled: 1-line block ×3, first 2 shown]
	v_mul_f32_e32 v2, v18, v7
	v_mul_f32_e32 v3, v17, v7
	v_fma_f32 v2, v17, v6, -v2
	v_fmac_f32_e32 v3, v18, v6
	v_add_f32_e32 v15, v19, v2
	v_add_f32_e32 v16, v20, v3
	v_mul_f32_e32 v2, v18, v9
	v_mul_f32_e32 v3, v17, v9
	v_fma_f32 v2, v17, v8, -v2
	v_fmac_f32_e32 v3, v18, v8
	v_add_f32_e32 v17, v21, v2
	v_add_f32_e32 v18, v26, v3
	ds_read_b128 v[2:5], v56 offset:208
	ds_read2_b64 v[6:9], v14 offset0:64 offset1:80
	s_waitcnt lgkmcnt(0)
	v_mul_f32_e32 v19, v3, v7
	v_mul_f32_e32 v20, v2, v7
	v_fma_f32 v19, v2, v6, -v19
	v_fmac_f32_e32 v20, v3, v6
	v_add_f32_e32 v19, v10, v19
	v_add_f32_e32 v20, v11, v20
	v_mul_f32_e32 v10, v3, v9
	v_mul_f32_e32 v11, v2, v9
	v_fma_f32 v10, v2, v8, -v10
	v_fmac_f32_e32 v11, v3, v8
	v_add_f32_e32 v2, v12, v10
	v_add_f32_e32 v3, v13, v11
	ds_read_b128 v[10:13], v56 offset:4304
	s_waitcnt lgkmcnt(0)
	v_mul_f32_e32 v21, v11, v7
	v_mul_f32_e32 v7, v10, v7
	v_fmac_f32_e32 v7, v11, v6
	v_fma_f32 v21, v10, v6, -v21
	v_add_f32_e32 v16, v16, v7
	v_mul_f32_e32 v6, v11, v9
	v_mul_f32_e32 v7, v10, v9
	v_fma_f32 v6, v10, v8, -v6
	v_fmac_f32_e32 v7, v11, v8
	v_add_f32_e32 v10, v17, v6
	v_add_f32_e32 v11, v18, v7
	ds_read2_b64 v[6:9], v14 offset0:96 offset1:112
	v_add_f32_e32 v15, v15, v21
	s_waitcnt lgkmcnt(0)
	v_mul_f32_e32 v17, v5, v7
	v_fma_f32 v17, v4, v6, -v17
	v_add_f32_e32 v17, v19, v17
	v_mul_f32_e32 v19, v5, v9
	v_mul_f32_e32 v18, v4, v7
	v_fma_f32 v19, v4, v8, -v19
	v_mul_f32_e32 v4, v4, v9
	v_fmac_f32_e32 v18, v5, v6
	v_fmac_f32_e32 v4, v5, v8
	v_add_f32_e32 v18, v20, v18
	v_add_f32_e32 v19, v2, v19
	;; [unrolled: 1-line block ×3, first 2 shown]
	v_mul_f32_e32 v2, v13, v7
	v_mul_f32_e32 v3, v12, v7
	v_fma_f32 v2, v12, v6, -v2
	v_fmac_f32_e32 v3, v13, v6
	v_add_f32_e32 v21, v15, v2
	v_add_f32_e32 v26, v16, v3
	v_mul_f32_e32 v2, v13, v9
	v_mul_f32_e32 v3, v12, v9
	v_fma_f32 v2, v12, v8, -v2
	v_fmac_f32_e32 v3, v13, v8
	v_add_f32_e32 v10, v10, v2
	v_add_f32_e32 v11, v11, v3
	ds_read_b128 v[2:5], v56 offset:224
	ds_read2_b64 v[6:9], v14 offset0:128 offset1:144
	s_waitcnt lgkmcnt(0)
	v_mul_f32_e32 v12, v3, v7
	v_mul_f32_e32 v13, v2, v7
	;; [unrolled: 1-line block ×3, first 2 shown]
	v_fma_f32 v12, v2, v6, -v12
	v_fmac_f32_e32 v13, v3, v6
	v_fma_f32 v15, v2, v8, -v15
	v_mul_f32_e32 v2, v2, v9
	v_add_f32_e32 v12, v17, v12
	v_add_f32_e32 v13, v18, v13
	v_fmac_f32_e32 v2, v3, v8
	v_add_f32_e32 v3, v19, v15
	ds_read_b128 v[15:18], v56 offset:4320
	v_add_f32_e32 v2, v20, v2
	s_waitcnt lgkmcnt(0)
	v_mul_f32_e32 v19, v16, v7
	v_mul_f32_e32 v7, v15, v7
	v_fmac_f32_e32 v7, v16, v6
	v_fma_f32 v19, v15, v6, -v19
	v_add_f32_e32 v20, v26, v7
	v_mul_f32_e32 v6, v16, v9
	v_mul_f32_e32 v7, v15, v9
	v_fma_f32 v6, v15, v8, -v6
	v_fmac_f32_e32 v7, v16, v8
	v_add_f32_e32 v19, v21, v19
	v_add_f32_e32 v21, v10, v6
	;; [unrolled: 1-line block ×3, first 2 shown]
	ds_read2_b64 v[6:9], v14 offset0:160 offset1:176
	s_waitcnt lgkmcnt(0)
	v_mul_f32_e32 v10, v5, v7
	v_fma_f32 v10, v4, v6, -v10
	v_add_f32_e32 v10, v12, v10
	v_mul_f32_e32 v12, v5, v9
	v_mul_f32_e32 v11, v4, v7
	v_fma_f32 v12, v4, v8, -v12
	v_mul_f32_e32 v4, v4, v9
	v_fmac_f32_e32 v11, v5, v6
	v_fmac_f32_e32 v4, v5, v8
	v_add_f32_e32 v11, v13, v11
	v_add_f32_e32 v12, v3, v12
	;; [unrolled: 1-line block ×3, first 2 shown]
	v_mul_f32_e32 v2, v18, v7
	v_mul_f32_e32 v3, v17, v7
	v_fma_f32 v2, v17, v6, -v2
	v_fmac_f32_e32 v3, v18, v6
	v_add_f32_e32 v15, v19, v2
	v_add_f32_e32 v16, v20, v3
	v_mul_f32_e32 v2, v18, v9
	v_mul_f32_e32 v3, v17, v9
	v_fma_f32 v2, v17, v8, -v2
	v_fmac_f32_e32 v3, v18, v8
	v_add_f32_e32 v17, v21, v2
	v_add_f32_e32 v18, v26, v3
	ds_read_b128 v[2:5], v56 offset:240
	ds_read2_b64 v[6:9], v14 offset0:192 offset1:208
	s_waitcnt lgkmcnt(0)
	v_mul_f32_e32 v19, v3, v7
	v_mul_f32_e32 v20, v2, v7
	v_fma_f32 v19, v2, v6, -v19
	v_fmac_f32_e32 v20, v3, v6
	v_add_f32_e32 v19, v10, v19
	v_add_f32_e32 v21, v11, v20
	v_mul_f32_e32 v10, v3, v9
	v_mul_f32_e32 v11, v2, v9
	v_fma_f32 v10, v2, v8, -v10
	v_fmac_f32_e32 v11, v3, v8
	v_add_f32_e32 v2, v12, v10
	v_add_f32_e32 v3, v13, v11
	ds_read_b128 v[10:13], v56 offset:4336
	s_waitcnt lgkmcnt(0)
	v_mul_f32_e32 v20, v11, v7
	v_mul_f32_e32 v7, v10, v7
	v_fmac_f32_e32 v7, v11, v6
	v_fma_f32 v20, v10, v6, -v20
	v_add_f32_e32 v26, v16, v7
	v_mul_f32_e32 v6, v11, v9
	v_mul_f32_e32 v7, v10, v9
	v_fma_f32 v6, v10, v8, -v6
	v_fmac_f32_e32 v7, v11, v8
	v_add_f32_e32 v10, v17, v6
	v_add_f32_e32 v11, v18, v7
	ds_read2_b64 v[6:9], v14 offset0:224 offset1:240
	v_add_f32_e32 v15, v15, v20
	s_waitcnt lgkmcnt(0)
	s_barrier
	v_mul_f32_e32 v14, v5, v7
	v_fma_f32 v14, v4, v6, -v14
	v_add_f32_e32 v20, v19, v14
	v_mul_f32_e32 v14, v5, v9
	v_fma_f32 v14, v4, v8, -v14
	v_mul_f32_e32 v16, v4, v7
	v_add_f32_e32 v18, v2, v14
	v_mul_f32_e32 v2, v13, v7
	v_fmac_f32_e32 v16, v5, v6
	v_fma_f32 v2, v12, v6, -v2
	v_add_f32_e32 v21, v21, v16
	v_add_f32_e32 v16, v15, v2
	v_mul_f32_e32 v2, v13, v9
	v_fma_f32 v2, v12, v8, -v2
	v_add_f32_e32 v15, v10, v2
	v_mov_b32_e32 v2, s43
	v_mul_f32_e32 v4, v4, v9
	v_addc_co_u32_e32 v53, vcc, v53, v2, vcc
	v_fmac_f32_e32 v4, v5, v8
	v_add_co_u32_e32 v46, vcc, s55, v46
	v_add_f32_e32 v19, v3, v4
	v_mul_f32_e32 v3, v12, v7
	v_addc_co_u32_e32 v47, vcc, 0, v47, vcc
	v_fmac_f32_e32 v3, v13, v6
	v_add_co_u32_e32 v50, vcc, s42, v50
	v_add_f32_e32 v17, v26, v3
	;; [unrolled: 5-line block ×3, first 2 shown]
	v_addc_co_u32_e32 v49, vcc, 0, v49, vcc
	s_cbranch_scc1 .LBB73_55
.LBB73_7:                               ;   Parent Loop BB73_4 Depth=1
                                        ; =>  This Inner Loop Header: Depth=2
	v_mov_b32_e32 v3, s23
	v_add_co_u32_e32 v2, vcc, s22, v1
	v_addc_co_u32_e32 v3, vcc, 0, v3, vcc
	s_waitcnt vmcnt(3)
	v_add_co_u32_e32 v4, vcc, v50, v40
	s_waitcnt vmcnt(2)
	v_addc_co_u32_e32 v5, vcc, v51, v41, vcc
	v_cmp_le_i64_e64 s[12:13], s[38:39], v[2:3]
	v_cmp_eq_u64_e64 s[16:17], s[22:23], v[30:31]
	v_cmp_gt_i64_e32 vcc, v[2:3], v[24:25]
	s_and_b64 s[28:29], s[36:37], s[16:17]
	s_or_b64 s[16:17], s[12:13], vcc
	s_or_b64 s[16:17], s[16:17], s[28:29]
	s_nor_b64 s[16:17], s[0:1], s[16:17]
	s_and_saveexec_b64 s[18:19], s[16:17]
	s_xor_b64 s[16:17], exec, s[18:19]
	s_cbranch_execz .LBB73_9
; %bb.8:                                ;   in Loop: Header=BB73_7 Depth=2
	global_load_dwordx2 v[6:7], v[4:5], off
	s_waitcnt vmcnt(0)
	ds_write_b64 v55, v[6:7]
.LBB73_9:                               ;   in Loop: Header=BB73_7 Depth=2
	s_or_saveexec_b64 s[16:17], s[16:17]
	s_xor_b64 s[26:27], s[28:29], -1
	s_xor_b64 exec, exec, s[16:17]
	s_cbranch_execz .LBB73_15
; %bb.10:                               ;   in Loop: Header=BB73_7 Depth=2
	s_and_saveexec_b64 s[18:19], s[26:27]
	s_xor_b64 s[18:19], exec, s[18:19]
; %bb.11:                               ;   in Loop: Header=BB73_7 Depth=2
	v_mov_b32_e32 v6, v23
	v_mov_b32_e32 v7, v23
	ds_write_b64 v55, v[6:7]
; %bb.12:                               ;   in Loop: Header=BB73_7 Depth=2
	s_andn2_saveexec_b64 s[18:19], s[18:19]
; %bb.13:                               ;   in Loop: Header=BB73_7 Depth=2
	ds_write_b64 v55, v[22:23]
; %bb.14:                               ;   in Loop: Header=BB73_7 Depth=2
	s_or_b64 exec, exec, s[18:19]
.LBB73_15:                              ;   in Loop: Header=BB73_7 Depth=2
	s_or_b64 exec, exec, s[16:17]
	v_cmp_eq_u64_e64 s[16:17], s[22:23], v[34:35]
	v_cmp_lt_i64_e64 s[18:19], v[28:29], v[2:3]
	s_and_b64 s[16:17], s[36:37], s[16:17]
	s_or_b64 s[12:13], s[12:13], s[18:19]
	s_or_b64 s[12:13], s[12:13], s[16:17]
	s_nor_b64 s[12:13], s[2:3], s[12:13]
	s_and_saveexec_b64 s[18:19], s[12:13]
	s_xor_b64 s[12:13], exec, s[18:19]
	s_cbranch_execz .LBB73_17
; %bb.16:                               ;   in Loop: Header=BB73_7 Depth=2
	global_load_dwordx2 v[4:5], v[4:5], off offset:128
	s_waitcnt vmcnt(0)
	ds_write_b64 v55, v[4:5] offset:128
.LBB73_17:                              ;   in Loop: Header=BB73_7 Depth=2
	s_andn2_saveexec_b64 s[12:13], s[12:13]
	s_cbranch_execz .LBB73_23
; %bb.18:                               ;   in Loop: Header=BB73_7 Depth=2
	s_xor_b64 s[16:17], s[16:17], -1
	s_and_saveexec_b64 s[18:19], s[16:17]
	s_xor_b64 s[16:17], exec, s[18:19]
; %bb.19:                               ;   in Loop: Header=BB73_7 Depth=2
	v_mov_b32_e32 v4, v23
	v_mov_b32_e32 v5, v23
	ds_write_b64 v55, v[4:5] offset:128
; %bb.20:                               ;   in Loop: Header=BB73_7 Depth=2
	s_andn2_saveexec_b64 s[16:17], s[16:17]
; %bb.21:                               ;   in Loop: Header=BB73_7 Depth=2
	ds_write_b64 v55, v[22:23] offset:128
; %bb.22:                               ;   in Loop: Header=BB73_7 Depth=2
	s_or_b64 exec, exec, s[16:17]
.LBB73_23:                              ;   in Loop: Header=BB73_7 Depth=2
	s_or_b64 exec, exec, s[12:13]
	v_add_co_u32_e64 v4, s[12:13], 16, v2
	s_waitcnt vmcnt(1)
	v_add_co_u32_e64 v2, s[16:17], v52, v40
	v_addc_co_u32_e64 v5, s[12:13], 0, v3, s[12:13]
	s_waitcnt vmcnt(0)
	v_addc_co_u32_e64 v3, s[16:17], v53, v41, s[16:17]
	v_cmp_le_i64_e64 s[12:13], s[38:39], v[4:5]
	v_cmp_eq_u64_e64 s[16:17], s[22:23], v[36:37]
	v_cmp_gt_i64_e64 s[18:19], v[4:5], v[24:25]
	s_and_b64 s[46:47], s[36:37], s[16:17]
	s_or_b64 s[16:17], s[12:13], s[18:19]
	s_or_b64 s[16:17], s[16:17], s[46:47]
	s_nor_b64 s[16:17], s[0:1], s[16:17]
	s_and_saveexec_b64 s[18:19], s[16:17]
	s_xor_b64 s[16:17], exec, s[18:19]
	s_cbranch_execz .LBB73_25
; %bb.24:                               ;   in Loop: Header=BB73_7 Depth=2
	global_load_dwordx2 v[4:5], v[2:3], off
	s_waitcnt vmcnt(0)
	ds_write_b64 v55, v[4:5] offset:4096
.LBB73_25:                              ;   in Loop: Header=BB73_7 Depth=2
	s_andn2_saveexec_b64 s[16:17], s[16:17]
	s_cbranch_execz .LBB73_31
; %bb.26:                               ;   in Loop: Header=BB73_7 Depth=2
	s_xor_b64 s[18:19], s[46:47], -1
	s_and_saveexec_b64 s[46:47], s[18:19]
	s_xor_b64 s[18:19], exec, s[46:47]
; %bb.27:                               ;   in Loop: Header=BB73_7 Depth=2
	v_mov_b32_e32 v4, v23
	v_mov_b32_e32 v5, v23
	ds_write_b64 v55, v[4:5] offset:4096
; %bb.28:                               ;   in Loop: Header=BB73_7 Depth=2
	s_andn2_saveexec_b64 s[18:19], s[18:19]
; %bb.29:                               ;   in Loop: Header=BB73_7 Depth=2
	ds_write_b64 v55, v[22:23] offset:4096
; %bb.30:                               ;   in Loop: Header=BB73_7 Depth=2
	s_or_b64 exec, exec, s[18:19]
.LBB73_31:                              ;   in Loop: Header=BB73_7 Depth=2
	s_or_b64 exec, exec, s[16:17]
	s_or_b64 s[12:13], s[12:13], vcc
	s_or_b64 s[12:13], s[12:13], s[28:29]
	s_nor_b64 s[12:13], s[2:3], s[12:13]
	s_and_saveexec_b64 s[16:17], s[12:13]
	s_xor_b64 s[12:13], exec, s[16:17]
	s_cbranch_execz .LBB73_33
; %bb.32:                               ;   in Loop: Header=BB73_7 Depth=2
	global_load_dwordx2 v[2:3], v[2:3], off offset:128
	s_waitcnt vmcnt(0)
	ds_write_b64 v55, v[2:3] offset:4224
.LBB73_33:                              ;   in Loop: Header=BB73_7 Depth=2
	s_andn2_saveexec_b64 s[12:13], s[12:13]
	s_cbranch_execz .LBB73_39
; %bb.34:                               ;   in Loop: Header=BB73_7 Depth=2
	s_and_saveexec_b64 s[16:17], s[26:27]
	s_xor_b64 s[16:17], exec, s[16:17]
; %bb.35:                               ;   in Loop: Header=BB73_7 Depth=2
	v_mov_b32_e32 v2, v23
	v_mov_b32_e32 v3, v23
	ds_write_b64 v55, v[2:3] offset:4224
; %bb.36:                               ;   in Loop: Header=BB73_7 Depth=2
	s_andn2_saveexec_b64 s[16:17], s[16:17]
; %bb.37:                               ;   in Loop: Header=BB73_7 Depth=2
	ds_write_b64 v55, v[22:23] offset:4224
; %bb.38:                               ;   in Loop: Header=BB73_7 Depth=2
	s_or_b64 exec, exec, s[16:17]
.LBB73_39:                              ;   in Loop: Header=BB73_7 Depth=2
	s_or_b64 exec, exec, s[12:13]
	v_mov_b32_e32 v3, s23
	v_add_co_u32_e32 v2, vcc, s22, v0
	v_addc_co_u32_e32 v3, vcc, 0, v3, vcc
	v_cmp_gt_i64_e32 vcc, s[38:39], v[2:3]
	s_and_b64 s[12:13], s[8:9], vcc
	s_xor_b64 s[12:13], s[12:13], -1
	s_and_saveexec_b64 s[16:17], s[12:13]
	s_xor_b64 s[12:13], exec, s[16:17]
; %bb.40:                               ;   in Loop: Header=BB73_7 Depth=2
	v_mov_b32_e32 v4, v23
	v_mov_b32_e32 v5, v23
	ds_write_b64 v57, v[4:5]
; %bb.41:                               ;   in Loop: Header=BB73_7 Depth=2
	s_andn2_saveexec_b64 s[12:13], s[12:13]
	s_cbranch_execz .LBB73_43
; %bb.42:                               ;   in Loop: Header=BB73_7 Depth=2
	global_load_dwordx2 v[4:5], v[46:47], off offset:-128
	s_waitcnt vmcnt(0)
	ds_write_b64 v57, v[4:5]
.LBB73_43:                              ;   in Loop: Header=BB73_7 Depth=2
	s_or_b64 exec, exec, s[12:13]
	v_cmp_gt_i64_e64 s[12:13], s[44:45], v[2:3]
	s_and_b64 s[16:17], s[8:9], s[12:13]
	s_xor_b64 s[16:17], s[16:17], -1
	s_and_saveexec_b64 s[18:19], s[16:17]
	s_xor_b64 s[16:17], exec, s[18:19]
; %bb.44:                               ;   in Loop: Header=BB73_7 Depth=2
	v_mov_b32_e32 v2, v23
	v_mov_b32_e32 v3, v23
	ds_write_b64 v57, v[2:3] offset:128
; %bb.45:                               ;   in Loop: Header=BB73_7 Depth=2
	s_andn2_saveexec_b64 s[16:17], s[16:17]
	s_cbranch_execz .LBB73_47
; %bb.46:                               ;   in Loop: Header=BB73_7 Depth=2
	global_load_dwordx2 v[2:3], v[46:47], off
	s_waitcnt vmcnt(0)
	ds_write_b64 v57, v[2:3] offset:128
.LBB73_47:                              ;   in Loop: Header=BB73_7 Depth=2
	s_or_b64 exec, exec, s[16:17]
	s_and_b64 s[16:17], s[10:11], vcc
	s_xor_b64 s[16:17], s[16:17], -1
	s_and_saveexec_b64 s[18:19], s[16:17]
	s_xor_b64 s[16:17], exec, s[18:19]
; %bb.48:                               ;   in Loop: Header=BB73_7 Depth=2
	v_mov_b32_e32 v2, v23
	v_mov_b32_e32 v3, v23
	ds_write_b64 v57, v[2:3] offset:4096
; %bb.49:                               ;   in Loop: Header=BB73_7 Depth=2
	s_andn2_saveexec_b64 s[16:17], s[16:17]
	s_cbranch_execz .LBB73_51
; %bb.50:                               ;   in Loop: Header=BB73_7 Depth=2
	global_load_dwordx2 v[2:3], v[48:49], off offset:-128
	s_waitcnt vmcnt(0)
	ds_write_b64 v57, v[2:3] offset:4096
.LBB73_51:                              ;   in Loop: Header=BB73_7 Depth=2
	s_or_b64 exec, exec, s[16:17]
	s_and_b64 s[12:13], s[10:11], s[12:13]
	s_xor_b64 s[12:13], s[12:13], -1
	s_and_saveexec_b64 s[16:17], s[12:13]
	s_xor_b64 s[12:13], exec, s[16:17]
; %bb.52:                               ;   in Loop: Header=BB73_7 Depth=2
	v_mov_b32_e32 v2, v23
	v_mov_b32_e32 v3, v23
	ds_write_b64 v57, v[2:3] offset:4224
; %bb.53:                               ;   in Loop: Header=BB73_7 Depth=2
	s_andn2_saveexec_b64 s[12:13], s[12:13]
	s_cbranch_execz .LBB73_6
; %bb.54:                               ;   in Loop: Header=BB73_7 Depth=2
	global_load_dwordx2 v[2:3], v[48:49], off
	s_waitcnt vmcnt(0)
	ds_write_b64 v57, v[2:3] offset:4224
	s_branch .LBB73_6
.LBB73_55:                              ;   in Loop: Header=BB73_4 Depth=1
	v_ashrrev_i32_e32 v2, 31, v58
	v_mul_lo_u32 v4, s41, v58
	v_mul_lo_u32 v5, s40, v2
	v_mad_u64_u32 v[2:3], s[8:9], s40, v58, 0
	v_cmp_gt_i32_e32 vcc, s30, v58
	v_add3_u32 v3, v3, v5, v4
	v_lshlrev_b64 v[2:3], 3, v[2:3]
	v_mov_b32_e32 v4, s50
	v_add_co_u32_e64 v2, s[8:9], s49, v2
	v_addc_co_u32_e64 v3, s[8:9], v4, v3, s[8:9]
	s_and_b64 s[8:9], s[4:5], vcc
	s_and_saveexec_b64 s[10:11], s[8:9]
	s_cbranch_execz .LBB73_57
; %bb.56:                               ;   in Loop: Header=BB73_4 Depth=1
	v_add_co_u32_e64 v4, s[8:9], v2, v40
	v_addc_co_u32_e64 v5, s[8:9], v3, v41, s[8:9]
	global_load_dwordx2 v[6:7], v[4:5], off
	v_mul_f32_e32 v8, s33, v21
	v_mul_f32_e32 v9, s31, v21
	v_fma_f32 v8, v20, s31, -v8
	v_fmac_f32_e32 v9, s33, v20
	s_waitcnt vmcnt(0)
	v_add_f32_e32 v6, v6, v8
	v_add_f32_e32 v7, v9, v7
	global_store_dwordx2 v[4:5], v[6:7], off
.LBB73_57:                              ;   in Loop: Header=BB73_4 Depth=1
	s_or_b64 exec, exec, s[10:11]
	s_and_b64 s[10:11], s[14:15], vcc
	s_and_saveexec_b64 s[8:9], s[10:11]
	s_cbranch_execz .LBB73_59
; %bb.58:                               ;   in Loop: Header=BB73_4 Depth=1
	v_add_co_u32_e32 v2, vcc, v2, v32
	v_addc_co_u32_e32 v3, vcc, v3, v33, vcc
	global_load_dwordx2 v[4:5], v[2:3], off
	v_mul_f32_e32 v6, s33, v19
	v_mul_f32_e32 v7, s31, v19
	v_fma_f32 v6, v18, s31, -v6
	v_fmac_f32_e32 v7, s33, v18
	s_waitcnt vmcnt(0)
	v_add_f32_e32 v4, v4, v6
	v_add_f32_e32 v5, v7, v5
	global_store_dwordx2 v[2:3], v[4:5], off
.LBB73_59:                              ;   in Loop: Header=BB73_4 Depth=1
	s_or_b64 exec, exec, s[8:9]
	v_add_u32_e32 v4, 16, v58
	v_ashrrev_i32_e32 v2, 31, v4
	v_mul_lo_u32 v5, s40, v2
	v_mul_lo_u32 v6, s41, v4
	v_mad_u64_u32 v[2:3], s[8:9], s40, v4, 0
	v_cmp_gt_i32_e32 vcc, s30, v4
	v_mov_b32_e32 v4, s50
	v_add3_u32 v3, v3, v5, v6
	v_lshlrev_b64 v[2:3], 3, v[2:3]
	v_add_co_u32_e64 v2, s[8:9], s49, v2
	v_addc_co_u32_e64 v3, s[8:9], v4, v3, s[8:9]
	s_and_b64 s[8:9], s[4:5], vcc
	s_and_saveexec_b64 s[10:11], s[8:9]
	s_cbranch_execz .LBB73_61
; %bb.60:                               ;   in Loop: Header=BB73_4 Depth=1
	v_add_co_u32_e64 v4, s[8:9], v2, v40
	v_addc_co_u32_e64 v5, s[8:9], v3, v41, s[8:9]
	global_load_dwordx2 v[6:7], v[4:5], off
	v_mul_f32_e32 v8, s33, v17
	v_mul_f32_e32 v9, s31, v17
	v_fma_f32 v8, v16, s31, -v8
	v_fmac_f32_e32 v9, s33, v16
	s_waitcnt vmcnt(0)
	v_add_f32_e32 v6, v6, v8
	v_add_f32_e32 v7, v9, v7
	global_store_dwordx2 v[4:5], v[6:7], off
.LBB73_61:                              ;   in Loop: Header=BB73_4 Depth=1
	s_or_b64 exec, exec, s[10:11]
	s_and_b64 s[10:11], s[14:15], vcc
	s_and_saveexec_b64 s[8:9], s[10:11]
	s_cbranch_execz .LBB73_3
; %bb.62:                               ;   in Loop: Header=BB73_4 Depth=1
	v_add_co_u32_e32 v2, vcc, v2, v32
	v_addc_co_u32_e32 v3, vcc, v3, v33, vcc
	global_load_dwordx2 v[4:5], v[2:3], off
	v_mul_f32_e32 v6, s33, v14
	v_mul_f32_e32 v7, s31, v14
	v_fma_f32 v6, v15, s31, -v6
	v_fmac_f32_e32 v7, s33, v15
	s_waitcnt vmcnt(0)
	v_add_f32_e32 v4, v4, v6
	v_add_f32_e32 v5, v7, v5
	global_store_dwordx2 v[2:3], v[4:5], off
	s_branch .LBB73_3
.LBB73_63:
	s_endpgm
	.section	.rodata,"a",@progbits
	.p2align	6, 0x0
	.amdhsa_kernel _ZL30rocblas_trmm_outofplace_kernelI19rocblas_complex_numIfELi32ELi2ELb1ELb0ELb0ELb0ES1_KS1_S1_Ev17rocblas_diagonal_iiT6_lPT7_lllS6_lllPT8_llli
		.amdhsa_group_segment_fixed_size 16384
		.amdhsa_private_segment_fixed_size 28
		.amdhsa_kernarg_size 392
		.amdhsa_user_sgpr_count 6
		.amdhsa_user_sgpr_private_segment_buffer 1
		.amdhsa_user_sgpr_dispatch_ptr 0
		.amdhsa_user_sgpr_queue_ptr 0
		.amdhsa_user_sgpr_kernarg_segment_ptr 1
		.amdhsa_user_sgpr_dispatch_id 0
		.amdhsa_user_sgpr_flat_scratch_init 0
		.amdhsa_user_sgpr_private_segment_size 0
		.amdhsa_uses_dynamic_stack 0
		.amdhsa_system_sgpr_private_segment_wavefront_offset 1
		.amdhsa_system_sgpr_workgroup_id_x 1
		.amdhsa_system_sgpr_workgroup_id_y 1
		.amdhsa_system_sgpr_workgroup_id_z 1
		.amdhsa_system_sgpr_workgroup_info 0
		.amdhsa_system_vgpr_workitem_id 1
		.amdhsa_next_free_vgpr 64
		.amdhsa_next_free_sgpr 61
		.amdhsa_reserve_vcc 1
		.amdhsa_reserve_flat_scratch 0
		.amdhsa_float_round_mode_32 0
		.amdhsa_float_round_mode_16_64 0
		.amdhsa_float_denorm_mode_32 3
		.amdhsa_float_denorm_mode_16_64 3
		.amdhsa_dx10_clamp 1
		.amdhsa_ieee_mode 1
		.amdhsa_fp16_overflow 0
		.amdhsa_exception_fp_ieee_invalid_op 0
		.amdhsa_exception_fp_denorm_src 0
		.amdhsa_exception_fp_ieee_div_zero 0
		.amdhsa_exception_fp_ieee_overflow 0
		.amdhsa_exception_fp_ieee_underflow 0
		.amdhsa_exception_fp_ieee_inexact 0
		.amdhsa_exception_int_div_zero 0
	.end_amdhsa_kernel
	.section	.text._ZL30rocblas_trmm_outofplace_kernelI19rocblas_complex_numIfELi32ELi2ELb1ELb0ELb0ELb0ES1_KS1_S1_Ev17rocblas_diagonal_iiT6_lPT7_lllS6_lllPT8_llli,"axG",@progbits,_ZL30rocblas_trmm_outofplace_kernelI19rocblas_complex_numIfELi32ELi2ELb1ELb0ELb0ELb0ES1_KS1_S1_Ev17rocblas_diagonal_iiT6_lPT7_lllS6_lllPT8_llli,comdat
.Lfunc_end73:
	.size	_ZL30rocblas_trmm_outofplace_kernelI19rocblas_complex_numIfELi32ELi2ELb1ELb0ELb0ELb0ES1_KS1_S1_Ev17rocblas_diagonal_iiT6_lPT7_lllS6_lllPT8_llli, .Lfunc_end73-_ZL30rocblas_trmm_outofplace_kernelI19rocblas_complex_numIfELi32ELi2ELb1ELb0ELb0ELb0ES1_KS1_S1_Ev17rocblas_diagonal_iiT6_lPT7_lllS6_lllPT8_llli
                                        ; -- End function
	.set _ZL30rocblas_trmm_outofplace_kernelI19rocblas_complex_numIfELi32ELi2ELb1ELb0ELb0ELb0ES1_KS1_S1_Ev17rocblas_diagonal_iiT6_lPT7_lllS6_lllPT8_llli.num_vgpr, 64
	.set _ZL30rocblas_trmm_outofplace_kernelI19rocblas_complex_numIfELi32ELi2ELb1ELb0ELb0ELb0ES1_KS1_S1_Ev17rocblas_diagonal_iiT6_lPT7_lllS6_lllPT8_llli.num_agpr, 0
	.set _ZL30rocblas_trmm_outofplace_kernelI19rocblas_complex_numIfELi32ELi2ELb1ELb0ELb0ELb0ES1_KS1_S1_Ev17rocblas_diagonal_iiT6_lPT7_lllS6_lllPT8_llli.numbered_sgpr, 60
	.set _ZL30rocblas_trmm_outofplace_kernelI19rocblas_complex_numIfELi32ELi2ELb1ELb0ELb0ELb0ES1_KS1_S1_Ev17rocblas_diagonal_iiT6_lPT7_lllS6_lllPT8_llli.num_named_barrier, 0
	.set _ZL30rocblas_trmm_outofplace_kernelI19rocblas_complex_numIfELi32ELi2ELb1ELb0ELb0ELb0ES1_KS1_S1_Ev17rocblas_diagonal_iiT6_lPT7_lllS6_lllPT8_llli.private_seg_size, 28
	.set _ZL30rocblas_trmm_outofplace_kernelI19rocblas_complex_numIfELi32ELi2ELb1ELb0ELb0ELb0ES1_KS1_S1_Ev17rocblas_diagonal_iiT6_lPT7_lllS6_lllPT8_llli.uses_vcc, 1
	.set _ZL30rocblas_trmm_outofplace_kernelI19rocblas_complex_numIfELi32ELi2ELb1ELb0ELb0ELb0ES1_KS1_S1_Ev17rocblas_diagonal_iiT6_lPT7_lllS6_lllPT8_llli.uses_flat_scratch, 0
	.set _ZL30rocblas_trmm_outofplace_kernelI19rocblas_complex_numIfELi32ELi2ELb1ELb0ELb0ELb0ES1_KS1_S1_Ev17rocblas_diagonal_iiT6_lPT7_lllS6_lllPT8_llli.has_dyn_sized_stack, 0
	.set _ZL30rocblas_trmm_outofplace_kernelI19rocblas_complex_numIfELi32ELi2ELb1ELb0ELb0ELb0ES1_KS1_S1_Ev17rocblas_diagonal_iiT6_lPT7_lllS6_lllPT8_llli.has_recursion, 0
	.set _ZL30rocblas_trmm_outofplace_kernelI19rocblas_complex_numIfELi32ELi2ELb1ELb0ELb0ELb0ES1_KS1_S1_Ev17rocblas_diagonal_iiT6_lPT7_lllS6_lllPT8_llli.has_indirect_call, 0
	.section	.AMDGPU.csdata,"",@progbits
; Kernel info:
; codeLenInByte = 6552
; TotalNumSgprs: 64
; NumVgprs: 64
; ScratchSize: 28
; MemoryBound: 1
; FloatMode: 240
; IeeeMode: 1
; LDSByteSize: 16384 bytes/workgroup (compile time only)
; SGPRBlocks: 8
; VGPRBlocks: 15
; NumSGPRsForWavesPerEU: 65
; NumVGPRsForWavesPerEU: 64
; Occupancy: 4
; WaveLimiterHint : 0
; COMPUTE_PGM_RSRC2:SCRATCH_EN: 1
; COMPUTE_PGM_RSRC2:USER_SGPR: 6
; COMPUTE_PGM_RSRC2:TRAP_HANDLER: 0
; COMPUTE_PGM_RSRC2:TGID_X_EN: 1
; COMPUTE_PGM_RSRC2:TGID_Y_EN: 1
; COMPUTE_PGM_RSRC2:TGID_Z_EN: 1
; COMPUTE_PGM_RSRC2:TIDIG_COMP_CNT: 1
	.section	.text._ZL30rocblas_trmm_outofplace_kernelI19rocblas_complex_numIfELi32ELi2ELb1ELb1ELb0ELb0EPKS1_S2_S1_Ev17rocblas_diagonal_iiT6_lPT7_lllS7_lllPT8_llli,"axG",@progbits,_ZL30rocblas_trmm_outofplace_kernelI19rocblas_complex_numIfELi32ELi2ELb1ELb1ELb0ELb0EPKS1_S2_S1_Ev17rocblas_diagonal_iiT6_lPT7_lllS7_lllPT8_llli,comdat
	.globl	_ZL30rocblas_trmm_outofplace_kernelI19rocblas_complex_numIfELi32ELi2ELb1ELb1ELb0ELb0EPKS1_S2_S1_Ev17rocblas_diagonal_iiT6_lPT7_lllS7_lllPT8_llli ; -- Begin function _ZL30rocblas_trmm_outofplace_kernelI19rocblas_complex_numIfELi32ELi2ELb1ELb1ELb0ELb0EPKS1_S2_S1_Ev17rocblas_diagonal_iiT6_lPT7_lllS7_lllPT8_llli
	.p2align	8
	.type	_ZL30rocblas_trmm_outofplace_kernelI19rocblas_complex_numIfELi32ELi2ELb1ELb1ELb0ELb0EPKS1_S2_S1_Ev17rocblas_diagonal_iiT6_lPT7_lllS7_lllPT8_llli,@function
_ZL30rocblas_trmm_outofplace_kernelI19rocblas_complex_numIfELi32ELi2ELb1ELb1ELb0ELb0EPKS1_S2_S1_Ev17rocblas_diagonal_iiT6_lPT7_lllS7_lllPT8_llli: ; @_ZL30rocblas_trmm_outofplace_kernelI19rocblas_complex_numIfELi32ELi2ELb1ELb1ELb0ELb0EPKS1_S2_S1_Ev17rocblas_diagonal_iiT6_lPT7_lllS7_lllPT8_llli
; %bb.0:
	s_load_dwordx16 s[12:27], s[4:5], 0x10
	s_mov_b64 s[62:63], s[2:3]
	s_mov_b64 s[60:61], s[0:1]
	s_add_u32 s60, s60, s9
	s_addc_u32 s61, s61, 0
	s_waitcnt lgkmcnt(0)
	s_mul_i32 s0, s15, s8
	s_mul_hi_u32 s1, s14, s8
	s_add_i32 s1, s1, s0
	s_mul_i32 s0, s14, s8
	s_lshl_b64 s[0:1], s[0:1], 3
	s_add_u32 s0, s12, s0
	s_addc_u32 s1, s13, s1
	s_load_dwordx2 s[34:35], s[0:1], 0x0
	s_waitcnt lgkmcnt(0)
	s_or_b32 s0, s34, s35
	s_bitset0_b32 s0, 31
	s_cmp_eq_u32 s0, 0
	s_cbranch_scc1 .LBB74_64
; %bb.1:
	s_load_dwordx4 s[28:31], s[4:5], 0x0
	s_waitcnt lgkmcnt(0)
	s_add_i32 s0, s30, -1
	s_ashr_i32 s1, s0, 31
	s_lshr_b32 s1, s1, 27
	s_add_i32 s0, s0, s1
	s_ashr_i32 s31, s0, 5
	s_cmp_gt_i32 s7, s31
	s_cbranch_scc1 .LBB74_64
; %bb.2:
	s_mul_i32 s0, s23, s8
	s_mul_hi_u32 s1, s22, s8
	s_load_dwordx8 s[36:43], s[4:5], 0x50
	s_load_dwordx4 s[44:47], s[4:5], 0x70
	s_add_i32 s1, s1, s0
	s_mul_i32 s0, s22, s8
	s_lshl_b64 s[10:11], s[0:1], 3
	s_add_u32 s0, s16, s10
	s_addc_u32 s1, s17, s11
	s_lshl_b64 s[12:13], s[18:19], 3
	s_add_u32 s2, s0, s12
	s_addc_u32 s3, s1, s13
	s_waitcnt lgkmcnt(0)
	s_mul_i32 s0, s47, s8
	s_mul_hi_u32 s1, s46, s8
	s_add_i32 s1, s1, s0
	s_mul_i32 s0, s46, s8
	s_lshl_b64 s[0:1], s[0:1], 3
	s_load_dword s33, s[4:5], 0x8c
	s_add_u32 s4, s40, s0
	s_addc_u32 s5, s41, s1
	s_lshl_b64 s[0:1], s[42:43], 3
	s_add_u32 s54, s4, s0
	s_addc_u32 s55, s5, s1
	s_lshl_b32 s4, s6, 5
	v_add_u32_e32 v22, s4, v1
	v_ashrrev_i32_e32 v23, 31, v22
	v_mul_lo_u32 v4, s20, v23
	v_mul_lo_u32 v5, s21, v22
	v_mad_u64_u32 v[2:3], s[0:1], s20, v22, 0
	v_add_u32_e32 v24, s4, v0
	v_ashrrev_i32_e32 v25, 31, v24
	v_add3_u32 v3, v3, v4, v5
	v_lshlrev_b64 v[2:3], 3, v[2:3]
	v_mov_b32_e32 v4, s3
	v_add_co_u32_e32 v2, vcc, s2, v2
	v_addc_co_u32_e32 v3, vcc, v4, v3, vcc
	buffer_store_dword v2, off, s[60:63], 0 offset:8 ; 4-byte Folded Spill
	s_nop 0
	buffer_store_dword v3, off, s[60:63], 0 offset:12 ; 4-byte Folded Spill
	s_sub_i32 s6, s29, s4
	v_lshlrev_b32_e32 v2, 8, v1
	v_lshlrev_b32_e32 v0, 3, v0
	v_add_co_u32_e32 v36, vcc, 16, v24
	s_cmp_gt_i32 s6, 0
	v_add_u32_e32 v54, v0, v2
	v_add_u32_e32 v55, 0x2000, v2
	v_addc_co_u32_e32 v37, vcc, 0, v25, vcc
	v_add_u32_e32 v2, 16, v24
	s_cselect_b64 s[22:23], -1, 0
	s_cmpk_eq_i32 s28, 0x84
	v_ashrrev_i32_e32 v3, 31, v2
	v_sub_co_u32_e32 v32, vcc, v24, v22
	s_cselect_b64 s[40:41], -1, 0
	s_ashr_i32 s43, s29, 31
	s_ashr_i32 s56, s30, 31
	s_lshl_b64 s[46:47], s[20:21], 8
	v_cmp_gt_i32_e64 s[14:15], s29, v2
	buffer_store_dword v2, off, s[60:63], 0 ; 4-byte Folded Spill
	s_nop 0
	buffer_store_dword v3, off, s[60:63], 0 offset:4 ; 4-byte Folded Spill
	v_subb_co_u32_e32 v33, vcc, v25, v23, vcc
	s_add_u32 s48, s29, -16
	v_add_co_u32_e32 v34, vcc, 16, v32
	v_lshlrev_b64 v[2:3], 3, v[22:23]
	s_addc_u32 s49, s43, -1
	v_addc_co_u32_e32 v35, vcc, 0, v33, vcc
	s_movk_i32 s9, 0x80
	v_add_co_u32_e32 v4, vcc, s9, v2
	s_add_u32 s9, s16, s12
	s_addc_u32 s12, s17, s13
	s_add_u32 s10, s9, s10
	v_addc_co_u32_e32 v5, vcc, 0, v3, vcc
	s_addc_u32 s11, s12, s11
	v_mov_b32_e32 v2, s10
	v_mov_b32_e32 v3, s11
	v_mad_u64_u32 v[6:7], s[10:11], s20, v4, v[2:3]
	s_mul_i32 s9, s39, s8
	s_mul_hi_u32 s10, s38, s8
	s_add_i32 s9, s10, s9
	s_mul_i32 s8, s38, s8
	s_lshl_b64 s[8:9], s[8:9], 3
	s_lshl_b64 s[10:11], s[26:27], 3
	s_add_u32 s8, s8, s10
	v_mul_lo_u32 v2, s20, v5
	v_mul_lo_u32 v3, s21, v4
	s_addc_u32 s9, s9, s11
	s_add_u32 s20, s24, s8
	s_mov_b32 s42, s29
	s_addc_u32 s21, s25, s9
	v_cmp_le_i64_e64 s[2:3], s[42:43], v[36:37]
	v_add_co_u32_e32 v38, vcc, -16, v32
	v_lshlrev_b64 v[40:41], 3, v[24:25]
	s_add_u32 s24, s20, 0x80
	v_add_u32_e32 v56, v55, v0
	v_cmp_le_i32_e64 s[0:1], s29, v24
	v_cmp_gt_i32_e64 s[4:5], s29, v24
	v_addc_co_u32_e32 v39, vcc, -1, v33, vcc
	v_add3_u32 v7, v3, v7, v2
	s_addc_u32 s25, s21, 0
	s_lshl_b64 s[26:27], s[36:37], 3
	s_waitcnt lgkmcnt(0)
	s_lshl_b32 s57, s33, 5
	v_mov_b32_e32 v43, 0
	v_mov_b32_e32 v42, 1.0
	s_movk_i32 s58, 0x100
	v_lshl_add_u32 v44, s7, 5, v1
	buffer_store_dword v6, off, s[60:63], 0 offset:16 ; 4-byte Folded Spill
	s_nop 0
	buffer_store_dword v7, off, s[60:63], 0 offset:20 ; 4-byte Folded Spill
	s_branch .LBB74_4
.LBB74_3:                               ;   in Loop: Header=BB74_4 Depth=1
	s_or_b64 exec, exec, s[8:9]
	s_add_i32 s7, s33, s7
	s_cmp_le_i32 s7, s31
	v_add_u32_e32 v44, s57, v44
	s_cbranch_scc0 .LBB74_64
.LBB74_4:                               ; =>This Loop Header: Depth=1
                                        ;     Child Loop BB74_7 Depth 2
	v_lshl_add_u32 v57, s7, 5, v1
	s_andn2_b64 vcc, exec, s[22:23]
	v_ashrrev_i32_e32 v58, 31, v57
	s_cbranch_vccnz .LBB74_55
; %bb.5:                                ;   in Loop: Header=BB74_4 Depth=1
	buffer_load_dword v50, off, s[60:63], 0 offset:8 ; 4-byte Folded Reload
	buffer_load_dword v51, off, s[60:63], 0 offset:12 ; 4-byte Folded Reload
	buffer_load_dword v52, off, s[60:63], 0 offset:16 ; 4-byte Folded Reload
	buffer_load_dword v53, off, s[60:63], 0 offset:20 ; 4-byte Folded Reload
	v_mov_b32_e32 v2, s24
	v_ashrrev_i32_e32 v45, 31, v44
	v_mov_b32_e32 v3, s25
	v_mad_u64_u32 v[46:47], s[8:9], s26, v44, v[2:3]
	v_lshlrev_b64 v[2:3], 3, v[44:45]
	v_mul_lo_u32 v4, s27, v44
	v_add_co_u32_e32 v6, vcc, 0x80, v2
	v_addc_co_u32_e32 v2, vcc, 0, v3, vcc
	v_mul_lo_u32 v7, s36, v2
	v_mov_b32_e32 v2, s20
	v_mov_b32_e32 v3, s21
	v_mul_lo_u32 v5, s26, v45
	v_mul_lo_u32 v8, s37, v6
	v_mad_u64_u32 v[48:49], s[8:9], s36, v6, v[2:3]
	v_mov_b32_e32 v3, s56
	v_sub_co_u32_e32 v2, vcc, s30, v57
	v_subb_co_u32_e32 v3, vcc, v3, v58, vcc
	v_cmp_lt_i64_e64 s[8:9], 0, v[2:3]
	v_cmp_lt_i64_e64 s[10:11], 16, v[2:3]
	v_add3_u32 v47, v4, v47, v5
	v_add3_u32 v49, v8, v49, v7
	s_mov_b64 s[28:29], 0
	v_mov_b32_e32 v14, 0
	v_mov_b32_e32 v15, 0
	;; [unrolled: 1-line block ×8, first 2 shown]
	s_branch .LBB74_7
.LBB74_6:                               ;   in Loop: Header=BB74_7 Depth=2
	s_or_b64 exec, exec, s[12:13]
	s_waitcnt lgkmcnt(0)
	s_barrier
	ds_read_b128 v[59:62], v55
	ds_read_b128 v[10:13], v55 offset:16
	ds_read_b128 v[6:9], v55 offset:32
	;; [unrolled: 1-line block ×3, first 2 shown]
	ds_read2_b64 v[26:29], v0 offset1:16
	v_add_co_u32_e32 v52, vcc, s46, v52
	s_add_u32 s28, s28, 32
	s_addc_u32 s29, s29, 0
	s_waitcnt lgkmcnt(0)
	v_mul_f32_e32 v45, v60, v27
	v_mul_f32_e32 v63, v59, v27
	v_fma_f32 v45, v59, v26, -v45
	v_fmac_f32_e32 v63, v60, v26
	v_add_f32_e32 v45, v20, v45
	v_add_f32_e32 v63, v21, v63
	v_mul_f32_e32 v20, v60, v29
	v_mul_f32_e32 v21, v59, v29
	v_fma_f32 v20, v59, v28, -v20
	v_fmac_f32_e32 v21, v60, v28
	v_add_f32_e32 v59, v18, v20
	v_add_f32_e32 v60, v19, v21
	ds_read_b128 v[18:21], v55 offset:4096
	s_cmp_ge_i32 s28, s6
	s_waitcnt lgkmcnt(0)
	v_mul_f32_e32 v30, v19, v27
	v_mul_f32_e32 v27, v18, v27
	v_fma_f32 v30, v18, v26, -v30
	v_fmac_f32_e32 v27, v19, v26
	v_add_f32_e32 v26, v16, v30
	v_add_f32_e32 v27, v17, v27
	v_mul_f32_e32 v16, v19, v29
	v_mul_f32_e32 v17, v18, v29
	v_fma_f32 v16, v18, v28, -v16
	v_fmac_f32_e32 v17, v19, v28
	v_add_f32_e32 v18, v15, v16
	v_add_f32_e32 v19, v14, v17
	ds_read2_b64 v[14:17], v0 offset0:32 offset1:48
	s_waitcnt lgkmcnt(0)
	v_mul_f32_e32 v28, v62, v15
	v_fma_f32 v28, v61, v14, -v28
	v_mul_f32_e32 v29, v61, v15
	v_add_f32_e32 v28, v45, v28
	v_mul_f32_e32 v45, v21, v15
	v_mul_f32_e32 v15, v20, v15
	v_mul_f32_e32 v30, v62, v17
	v_fmac_f32_e32 v15, v21, v14
	v_fmac_f32_e32 v29, v62, v14
	v_fma_f32 v30, v61, v16, -v30
	v_mul_f32_e32 v31, v61, v17
	v_fma_f32 v45, v20, v14, -v45
	v_add_f32_e32 v61, v27, v15
	v_mul_f32_e32 v14, v21, v17
	v_mul_f32_e32 v15, v20, v17
	v_fma_f32 v14, v20, v16, -v14
	v_fmac_f32_e32 v15, v21, v16
	v_add_f32_e32 v29, v63, v29
	v_fmac_f32_e32 v31, v62, v16
	v_add_f32_e32 v62, v18, v14
	v_add_f32_e32 v63, v19, v15
	ds_read2_b64 v[14:17], v0 offset0:64 offset1:80
	v_add_f32_e32 v30, v59, v30
	v_add_f32_e32 v31, v60, v31
	;; [unrolled: 1-line block ×3, first 2 shown]
	s_waitcnt lgkmcnt(0)
	v_mul_f32_e32 v18, v11, v15
	v_mul_f32_e32 v19, v10, v15
	v_fma_f32 v18, v10, v14, -v18
	v_fmac_f32_e32 v19, v11, v14
	v_add_f32_e32 v45, v28, v18
	v_add_f32_e32 v59, v29, v19
	v_mul_f32_e32 v18, v11, v17
	v_mul_f32_e32 v19, v10, v17
	v_fma_f32 v18, v10, v16, -v18
	v_fmac_f32_e32 v19, v11, v16
	v_add_f32_e32 v10, v30, v18
	v_add_f32_e32 v11, v31, v19
	ds_read_b128 v[18:21], v55 offset:4112
	s_waitcnt lgkmcnt(0)
	v_mul_f32_e32 v26, v19, v15
	v_mul_f32_e32 v15, v18, v15
	v_fmac_f32_e32 v15, v19, v14
	v_fma_f32 v26, v18, v14, -v26
	v_add_f32_e32 v27, v61, v15
	v_mul_f32_e32 v14, v19, v17
	v_mul_f32_e32 v15, v18, v17
	v_fma_f32 v14, v18, v16, -v14
	v_fmac_f32_e32 v15, v19, v16
	v_add_f32_e32 v18, v62, v14
	v_add_f32_e32 v19, v63, v15
	ds_read2_b64 v[14:17], v0 offset0:96 offset1:112
	v_add_f32_e32 v26, v60, v26
	s_waitcnt lgkmcnt(0)
	v_mul_f32_e32 v28, v13, v15
	v_mul_f32_e32 v30, v13, v17
	v_fma_f32 v28, v12, v14, -v28
	v_mul_f32_e32 v29, v12, v15
	v_fma_f32 v30, v12, v16, -v30
	v_mul_f32_e32 v12, v12, v17
	v_fmac_f32_e32 v12, v13, v16
	v_add_f32_e32 v30, v10, v30
	v_add_f32_e32 v31, v11, v12
	v_mul_f32_e32 v10, v21, v15
	v_mul_f32_e32 v11, v20, v15
	v_fma_f32 v10, v20, v14, -v10
	v_fmac_f32_e32 v11, v21, v14
	v_fmac_f32_e32 v29, v13, v14
	v_add_f32_e32 v14, v26, v10
	v_add_f32_e32 v15, v27, v11
	v_mul_f32_e32 v10, v21, v17
	v_mul_f32_e32 v11, v20, v17
	v_fma_f32 v10, v20, v16, -v10
	v_fmac_f32_e32 v11, v21, v16
	v_add_f32_e32 v20, v18, v10
	v_add_f32_e32 v21, v19, v11
	ds_read2_b64 v[10:13], v0 offset0:128 offset1:144
	v_add_f32_e32 v28, v45, v28
	v_add_f32_e32 v29, v59, v29
	s_waitcnt lgkmcnt(0)
	v_mul_f32_e32 v16, v7, v11
	v_fma_f32 v16, v6, v10, -v16
	v_mul_f32_e32 v17, v6, v11
	v_add_f32_e32 v26, v28, v16
	v_mul_f32_e32 v16, v7, v13
	v_fmac_f32_e32 v17, v7, v10
	v_fma_f32 v16, v6, v12, -v16
	v_mul_f32_e32 v6, v6, v13
	v_add_f32_e32 v27, v29, v17
	v_fmac_f32_e32 v6, v7, v12
	v_add_f32_e32 v7, v30, v16
	ds_read_b128 v[16:19], v55 offset:4128
	v_add_f32_e32 v6, v31, v6
	s_waitcnt lgkmcnt(0)
	v_mul_f32_e32 v28, v17, v11
	v_mul_f32_e32 v11, v16, v11
	v_fmac_f32_e32 v11, v17, v10
	v_fma_f32 v28, v16, v10, -v28
	v_add_f32_e32 v15, v15, v11
	v_mul_f32_e32 v10, v17, v13
	v_mul_f32_e32 v11, v16, v13
	v_fma_f32 v10, v16, v12, -v10
	v_fmac_f32_e32 v11, v17, v12
	v_add_f32_e32 v20, v20, v10
	v_add_f32_e32 v21, v21, v11
	ds_read2_b64 v[10:13], v0 offset0:160 offset1:176
	v_add_f32_e32 v14, v14, v28
	s_waitcnt lgkmcnt(0)
	v_mul_f32_e32 v16, v9, v11
	v_fma_f32 v16, v8, v10, -v16
	v_add_f32_e32 v26, v26, v16
	v_mul_f32_e32 v16, v9, v13
	v_mul_f32_e32 v17, v8, v11
	v_fma_f32 v16, v8, v12, -v16
	v_mul_f32_e32 v8, v8, v13
	v_fmac_f32_e32 v8, v9, v12
	v_add_f32_e32 v28, v7, v16
	v_add_f32_e32 v29, v6, v8
	v_mul_f32_e32 v6, v19, v11
	v_mul_f32_e32 v7, v18, v11
	v_fmac_f32_e32 v17, v9, v10
	v_fma_f32 v6, v18, v10, -v6
	v_fmac_f32_e32 v7, v19, v10
	v_add_f32_e32 v27, v27, v17
	v_add_f32_e32 v16, v14, v6
	;; [unrolled: 1-line block ×3, first 2 shown]
	v_mul_f32_e32 v6, v19, v13
	v_mul_f32_e32 v7, v18, v13
	v_fma_f32 v6, v18, v12, -v6
	v_fmac_f32_e32 v7, v19, v12
	v_add_f32_e32 v18, v20, v6
	v_add_f32_e32 v19, v21, v7
	ds_read2_b64 v[6:9], v0 offset0:192 offset1:208
	s_waitcnt lgkmcnt(0)
	v_mul_f32_e32 v10, v3, v7
	v_mul_f32_e32 v11, v2, v7
	v_fma_f32 v10, v2, v6, -v10
	v_fmac_f32_e32 v11, v3, v6
	v_add_f32_e32 v14, v26, v10
	v_add_f32_e32 v15, v27, v11
	v_mul_f32_e32 v10, v3, v9
	v_mul_f32_e32 v11, v2, v9
	v_fma_f32 v10, v2, v8, -v10
	v_fmac_f32_e32 v11, v3, v8
	v_add_f32_e32 v2, v28, v10
	v_add_f32_e32 v3, v29, v11
	ds_read_b128 v[10:13], v55 offset:4144
	s_waitcnt lgkmcnt(0)
	v_mul_f32_e32 v20, v11, v7
	v_mul_f32_e32 v7, v10, v7
	v_fmac_f32_e32 v7, v11, v6
	v_fma_f32 v20, v10, v6, -v20
	v_add_f32_e32 v17, v17, v7
	v_mul_f32_e32 v6, v11, v9
	v_mul_f32_e32 v7, v10, v9
	v_fma_f32 v6, v10, v8, -v6
	v_fmac_f32_e32 v7, v11, v8
	v_add_f32_e32 v10, v18, v6
	v_add_f32_e32 v11, v19, v7
	ds_read2_b64 v[6:9], v0 offset0:224 offset1:240
	v_add_f32_e32 v16, v16, v20
	s_waitcnt lgkmcnt(0)
	v_mul_f32_e32 v18, v5, v7
	v_fma_f32 v18, v4, v6, -v18
	v_add_f32_e32 v18, v14, v18
	v_mul_f32_e32 v14, v5, v9
	v_mul_f32_e32 v19, v4, v7
	v_fma_f32 v14, v4, v8, -v14
	v_mul_f32_e32 v4, v4, v9
	v_fmac_f32_e32 v19, v5, v6
	v_fmac_f32_e32 v4, v5, v8
	v_add_f32_e32 v15, v15, v19
	v_add_f32_e32 v19, v2, v14
	;; [unrolled: 1-line block ×3, first 2 shown]
	v_mul_f32_e32 v2, v13, v7
	v_mul_f32_e32 v3, v12, v7
	v_fma_f32 v2, v12, v6, -v2
	v_fmac_f32_e32 v3, v13, v6
	v_add_f32_e32 v21, v16, v2
	v_add_f32_e32 v26, v17, v3
	v_mul_f32_e32 v2, v13, v9
	v_mul_f32_e32 v3, v12, v9
	v_fma_f32 v2, v12, v8, -v2
	v_fmac_f32_e32 v3, v13, v8
	v_add_u32_e32 v14, 0x800, v0
	v_add_f32_e32 v10, v10, v2
	v_add_f32_e32 v11, v11, v3
	ds_read_b128 v[2:5], v55 offset:64
	ds_read2_b64 v[6:9], v14 offset1:16
	s_waitcnt lgkmcnt(0)
	v_mul_f32_e32 v13, v2, v7
	v_fmac_f32_e32 v13, v3, v6
	v_mul_f32_e32 v12, v3, v7
	v_add_f32_e32 v13, v15, v13
	v_mul_f32_e32 v15, v3, v9
	v_fma_f32 v12, v2, v6, -v12
	v_fma_f32 v15, v2, v8, -v15
	v_mul_f32_e32 v2, v2, v9
	v_add_f32_e32 v12, v18, v12
	v_fmac_f32_e32 v2, v3, v8
	v_add_f32_e32 v3, v19, v15
	ds_read_b128 v[15:18], v55 offset:4160
	v_add_f32_e32 v2, v20, v2
	s_waitcnt lgkmcnt(0)
	v_mul_f32_e32 v19, v16, v7
	v_mul_f32_e32 v7, v15, v7
	v_fmac_f32_e32 v7, v16, v6
	v_fma_f32 v19, v15, v6, -v19
	v_add_f32_e32 v20, v26, v7
	v_mul_f32_e32 v6, v16, v9
	v_mul_f32_e32 v7, v15, v9
	v_fma_f32 v6, v15, v8, -v6
	v_fmac_f32_e32 v7, v16, v8
	v_add_f32_e32 v19, v21, v19
	v_add_f32_e32 v21, v10, v6
	;; [unrolled: 1-line block ×3, first 2 shown]
	ds_read2_b64 v[6:9], v14 offset0:32 offset1:48
	s_waitcnt lgkmcnt(0)
	v_mul_f32_e32 v10, v5, v7
	v_fma_f32 v10, v4, v6, -v10
	v_add_f32_e32 v10, v12, v10
	v_mul_f32_e32 v12, v5, v9
	v_mul_f32_e32 v11, v4, v7
	v_fma_f32 v12, v4, v8, -v12
	v_mul_f32_e32 v4, v4, v9
	v_fmac_f32_e32 v11, v5, v6
	v_fmac_f32_e32 v4, v5, v8
	v_add_f32_e32 v11, v13, v11
	v_add_f32_e32 v12, v3, v12
	v_add_f32_e32 v13, v2, v4
	v_mul_f32_e32 v2, v18, v7
	v_mul_f32_e32 v3, v17, v7
	v_fma_f32 v2, v17, v6, -v2
	v_fmac_f32_e32 v3, v18, v6
	v_add_f32_e32 v15, v19, v2
	v_add_f32_e32 v16, v20, v3
	v_mul_f32_e32 v2, v18, v9
	v_mul_f32_e32 v3, v17, v9
	v_fma_f32 v2, v17, v8, -v2
	v_fmac_f32_e32 v3, v18, v8
	v_add_f32_e32 v17, v21, v2
	v_add_f32_e32 v18, v26, v3
	ds_read_b128 v[2:5], v55 offset:80
	ds_read2_b64 v[6:9], v14 offset0:64 offset1:80
	s_waitcnt lgkmcnt(0)
	v_mul_f32_e32 v19, v3, v7
	v_mul_f32_e32 v20, v2, v7
	v_fma_f32 v19, v2, v6, -v19
	v_fmac_f32_e32 v20, v3, v6
	v_add_f32_e32 v19, v10, v19
	v_add_f32_e32 v20, v11, v20
	v_mul_f32_e32 v10, v3, v9
	v_mul_f32_e32 v11, v2, v9
	v_fma_f32 v10, v2, v8, -v10
	v_fmac_f32_e32 v11, v3, v8
	v_add_f32_e32 v2, v12, v10
	v_add_f32_e32 v3, v13, v11
	ds_read_b128 v[10:13], v55 offset:4176
	s_waitcnt lgkmcnt(0)
	v_mul_f32_e32 v21, v11, v7
	v_mul_f32_e32 v7, v10, v7
	v_fmac_f32_e32 v7, v11, v6
	v_fma_f32 v21, v10, v6, -v21
	v_add_f32_e32 v16, v16, v7
	v_mul_f32_e32 v6, v11, v9
	v_mul_f32_e32 v7, v10, v9
	v_fma_f32 v6, v10, v8, -v6
	v_fmac_f32_e32 v7, v11, v8
	v_add_f32_e32 v10, v17, v6
	v_add_f32_e32 v11, v18, v7
	ds_read2_b64 v[6:9], v14 offset0:96 offset1:112
	v_add_f32_e32 v15, v15, v21
	s_waitcnt lgkmcnt(0)
	v_mul_f32_e32 v17, v5, v7
	v_fma_f32 v17, v4, v6, -v17
	v_add_f32_e32 v17, v19, v17
	v_mul_f32_e32 v19, v5, v9
	v_mul_f32_e32 v18, v4, v7
	v_fma_f32 v19, v4, v8, -v19
	v_mul_f32_e32 v4, v4, v9
	v_fmac_f32_e32 v18, v5, v6
	v_fmac_f32_e32 v4, v5, v8
	v_add_f32_e32 v18, v20, v18
	v_add_f32_e32 v19, v2, v19
	;; [unrolled: 1-line block ×3, first 2 shown]
	v_mul_f32_e32 v2, v13, v7
	v_mul_f32_e32 v3, v12, v7
	v_fma_f32 v2, v12, v6, -v2
	v_fmac_f32_e32 v3, v13, v6
	v_add_f32_e32 v21, v15, v2
	v_add_f32_e32 v26, v16, v3
	v_mul_f32_e32 v2, v13, v9
	v_mul_f32_e32 v3, v12, v9
	v_fma_f32 v2, v12, v8, -v2
	v_fmac_f32_e32 v3, v13, v8
	v_add_f32_e32 v10, v10, v2
	v_add_f32_e32 v11, v11, v3
	ds_read_b128 v[2:5], v55 offset:96
	ds_read2_b64 v[6:9], v14 offset0:128 offset1:144
	s_waitcnt lgkmcnt(0)
	v_mul_f32_e32 v12, v3, v7
	v_mul_f32_e32 v13, v2, v7
	;; [unrolled: 1-line block ×3, first 2 shown]
	v_fma_f32 v12, v2, v6, -v12
	v_fmac_f32_e32 v13, v3, v6
	v_fma_f32 v15, v2, v8, -v15
	v_mul_f32_e32 v2, v2, v9
	v_add_f32_e32 v12, v17, v12
	v_add_f32_e32 v13, v18, v13
	v_fmac_f32_e32 v2, v3, v8
	v_add_f32_e32 v3, v19, v15
	ds_read_b128 v[15:18], v55 offset:4192
	v_add_f32_e32 v2, v20, v2
	s_waitcnt lgkmcnt(0)
	v_mul_f32_e32 v19, v16, v7
	v_mul_f32_e32 v7, v15, v7
	v_fmac_f32_e32 v7, v16, v6
	v_fma_f32 v19, v15, v6, -v19
	v_add_f32_e32 v20, v26, v7
	v_mul_f32_e32 v6, v16, v9
	v_mul_f32_e32 v7, v15, v9
	v_fma_f32 v6, v15, v8, -v6
	v_fmac_f32_e32 v7, v16, v8
	v_add_f32_e32 v19, v21, v19
	v_add_f32_e32 v21, v10, v6
	;; [unrolled: 1-line block ×3, first 2 shown]
	ds_read2_b64 v[6:9], v14 offset0:160 offset1:176
	s_waitcnt lgkmcnt(0)
	v_mul_f32_e32 v10, v5, v7
	v_fma_f32 v10, v4, v6, -v10
	v_add_f32_e32 v10, v12, v10
	v_mul_f32_e32 v12, v5, v9
	v_mul_f32_e32 v11, v4, v7
	v_fma_f32 v12, v4, v8, -v12
	v_mul_f32_e32 v4, v4, v9
	v_fmac_f32_e32 v11, v5, v6
	v_fmac_f32_e32 v4, v5, v8
	v_add_f32_e32 v11, v13, v11
	v_add_f32_e32 v12, v3, v12
	;; [unrolled: 1-line block ×3, first 2 shown]
	v_mul_f32_e32 v2, v18, v7
	v_mul_f32_e32 v3, v17, v7
	v_fma_f32 v2, v17, v6, -v2
	v_fmac_f32_e32 v3, v18, v6
	v_add_f32_e32 v15, v19, v2
	v_add_f32_e32 v16, v20, v3
	v_mul_f32_e32 v2, v18, v9
	v_mul_f32_e32 v3, v17, v9
	v_fma_f32 v2, v17, v8, -v2
	v_fmac_f32_e32 v3, v18, v8
	v_add_f32_e32 v17, v21, v2
	v_add_f32_e32 v18, v26, v3
	ds_read_b128 v[2:5], v55 offset:112
	ds_read2_b64 v[6:9], v14 offset0:192 offset1:208
	s_waitcnt lgkmcnt(0)
	v_mul_f32_e32 v19, v3, v7
	v_mul_f32_e32 v20, v2, v7
	v_fma_f32 v19, v2, v6, -v19
	v_fmac_f32_e32 v20, v3, v6
	v_add_f32_e32 v19, v10, v19
	v_add_f32_e32 v20, v11, v20
	v_mul_f32_e32 v10, v3, v9
	v_mul_f32_e32 v11, v2, v9
	v_fma_f32 v10, v2, v8, -v10
	v_fmac_f32_e32 v11, v3, v8
	v_add_f32_e32 v2, v12, v10
	v_add_f32_e32 v3, v13, v11
	ds_read_b128 v[10:13], v55 offset:4208
	s_waitcnt lgkmcnt(0)
	v_mul_f32_e32 v21, v11, v7
	v_mul_f32_e32 v7, v10, v7
	v_fmac_f32_e32 v7, v11, v6
	v_fma_f32 v21, v10, v6, -v21
	v_add_f32_e32 v16, v16, v7
	v_mul_f32_e32 v6, v11, v9
	v_mul_f32_e32 v7, v10, v9
	v_fma_f32 v6, v10, v8, -v6
	v_fmac_f32_e32 v7, v11, v8
	v_add_f32_e32 v10, v17, v6
	v_add_f32_e32 v11, v18, v7
	ds_read2_b64 v[6:9], v14 offset0:224 offset1:240
	v_add_f32_e32 v15, v15, v21
	s_waitcnt lgkmcnt(0)
	v_mul_f32_e32 v14, v5, v7
	v_fma_f32 v14, v4, v6, -v14
	v_add_f32_e32 v18, v19, v14
	v_mul_f32_e32 v14, v5, v9
	v_mul_f32_e32 v17, v4, v7
	v_fma_f32 v14, v4, v8, -v14
	v_mul_f32_e32 v4, v4, v9
	v_fmac_f32_e32 v17, v5, v6
	v_fmac_f32_e32 v4, v5, v8
	v_add_f32_e32 v17, v20, v17
	v_add_f32_e32 v19, v2, v14
	;; [unrolled: 1-line block ×3, first 2 shown]
	v_mul_f32_e32 v2, v13, v7
	v_mul_f32_e32 v3, v12, v7
	v_fma_f32 v2, v12, v6, -v2
	v_fmac_f32_e32 v3, v13, v6
	v_add_f32_e32 v21, v15, v2
	v_add_f32_e32 v26, v16, v3
	v_mul_f32_e32 v2, v13, v9
	v_mul_f32_e32 v3, v12, v9
	v_fma_f32 v2, v12, v8, -v2
	v_fmac_f32_e32 v3, v13, v8
	v_add_u32_e32 v14, 0x1000, v0
	v_add_f32_e32 v10, v10, v2
	v_add_f32_e32 v11, v11, v3
	ds_read_b128 v[2:5], v55 offset:128
	ds_read2_b64 v[6:9], v14 offset1:16
	s_waitcnt lgkmcnt(0)
	v_mul_f32_e32 v12, v3, v7
	v_mul_f32_e32 v13, v2, v7
	;; [unrolled: 1-line block ×3, first 2 shown]
	v_fma_f32 v12, v2, v6, -v12
	v_fmac_f32_e32 v13, v3, v6
	v_fma_f32 v15, v2, v8, -v15
	v_mul_f32_e32 v2, v2, v9
	v_add_f32_e32 v12, v18, v12
	v_add_f32_e32 v13, v17, v13
	v_fmac_f32_e32 v2, v3, v8
	v_add_f32_e32 v3, v19, v15
	ds_read_b128 v[15:18], v55 offset:4224
	v_add_f32_e32 v2, v20, v2
	s_waitcnt lgkmcnt(0)
	v_mul_f32_e32 v19, v16, v7
	v_mul_f32_e32 v7, v15, v7
	v_fmac_f32_e32 v7, v16, v6
	v_fma_f32 v19, v15, v6, -v19
	v_add_f32_e32 v20, v26, v7
	v_mul_f32_e32 v6, v16, v9
	v_mul_f32_e32 v7, v15, v9
	v_fma_f32 v6, v15, v8, -v6
	v_fmac_f32_e32 v7, v16, v8
	v_add_f32_e32 v19, v21, v19
	v_add_f32_e32 v21, v10, v6
	;; [unrolled: 1-line block ×3, first 2 shown]
	ds_read2_b64 v[6:9], v14 offset0:32 offset1:48
	s_waitcnt lgkmcnt(0)
	v_mul_f32_e32 v10, v5, v7
	v_fma_f32 v10, v4, v6, -v10
	v_add_f32_e32 v10, v12, v10
	v_mul_f32_e32 v12, v5, v9
	v_mul_f32_e32 v11, v4, v7
	v_fma_f32 v12, v4, v8, -v12
	v_mul_f32_e32 v4, v4, v9
	v_fmac_f32_e32 v11, v5, v6
	v_fmac_f32_e32 v4, v5, v8
	v_add_f32_e32 v11, v13, v11
	v_add_f32_e32 v12, v3, v12
	v_add_f32_e32 v13, v2, v4
	v_mul_f32_e32 v2, v18, v7
	v_mul_f32_e32 v3, v17, v7
	v_fma_f32 v2, v17, v6, -v2
	v_fmac_f32_e32 v3, v18, v6
	v_add_f32_e32 v15, v19, v2
	v_add_f32_e32 v16, v20, v3
	v_mul_f32_e32 v2, v18, v9
	v_mul_f32_e32 v3, v17, v9
	v_fma_f32 v2, v17, v8, -v2
	v_fmac_f32_e32 v3, v18, v8
	v_add_f32_e32 v17, v21, v2
	v_add_f32_e32 v18, v26, v3
	ds_read_b128 v[2:5], v55 offset:144
	ds_read2_b64 v[6:9], v14 offset0:64 offset1:80
	s_waitcnt lgkmcnt(0)
	v_mul_f32_e32 v19, v3, v7
	v_mul_f32_e32 v20, v2, v7
	v_fma_f32 v19, v2, v6, -v19
	v_fmac_f32_e32 v20, v3, v6
	v_add_f32_e32 v19, v10, v19
	v_add_f32_e32 v20, v11, v20
	v_mul_f32_e32 v10, v3, v9
	v_mul_f32_e32 v11, v2, v9
	v_fma_f32 v10, v2, v8, -v10
	v_fmac_f32_e32 v11, v3, v8
	v_add_f32_e32 v2, v12, v10
	v_add_f32_e32 v3, v13, v11
	ds_read_b128 v[10:13], v55 offset:4240
	s_waitcnt lgkmcnt(0)
	v_mul_f32_e32 v21, v11, v7
	v_mul_f32_e32 v7, v10, v7
	v_fmac_f32_e32 v7, v11, v6
	v_fma_f32 v21, v10, v6, -v21
	v_add_f32_e32 v16, v16, v7
	v_mul_f32_e32 v6, v11, v9
	v_mul_f32_e32 v7, v10, v9
	v_fma_f32 v6, v10, v8, -v6
	v_fmac_f32_e32 v7, v11, v8
	v_add_f32_e32 v10, v17, v6
	v_add_f32_e32 v11, v18, v7
	ds_read2_b64 v[6:9], v14 offset0:96 offset1:112
	v_add_f32_e32 v15, v15, v21
	s_waitcnt lgkmcnt(0)
	v_mul_f32_e32 v17, v5, v7
	v_fma_f32 v17, v4, v6, -v17
	v_add_f32_e32 v17, v19, v17
	v_mul_f32_e32 v19, v5, v9
	v_mul_f32_e32 v18, v4, v7
	v_fma_f32 v19, v4, v8, -v19
	v_mul_f32_e32 v4, v4, v9
	v_fmac_f32_e32 v18, v5, v6
	v_fmac_f32_e32 v4, v5, v8
	v_add_f32_e32 v18, v20, v18
	v_add_f32_e32 v19, v2, v19
	;; [unrolled: 1-line block ×3, first 2 shown]
	v_mul_f32_e32 v2, v13, v7
	v_mul_f32_e32 v3, v12, v7
	v_fma_f32 v2, v12, v6, -v2
	v_fmac_f32_e32 v3, v13, v6
	v_add_f32_e32 v21, v15, v2
	v_add_f32_e32 v26, v16, v3
	v_mul_f32_e32 v2, v13, v9
	v_mul_f32_e32 v3, v12, v9
	v_fma_f32 v2, v12, v8, -v2
	v_fmac_f32_e32 v3, v13, v8
	v_add_f32_e32 v10, v10, v2
	v_add_f32_e32 v11, v11, v3
	ds_read_b128 v[2:5], v55 offset:160
	ds_read2_b64 v[6:9], v14 offset0:128 offset1:144
	s_waitcnt lgkmcnt(0)
	v_mul_f32_e32 v12, v3, v7
	v_mul_f32_e32 v13, v2, v7
	;; [unrolled: 1-line block ×3, first 2 shown]
	v_fma_f32 v12, v2, v6, -v12
	v_fmac_f32_e32 v13, v3, v6
	v_fma_f32 v15, v2, v8, -v15
	v_mul_f32_e32 v2, v2, v9
	v_add_f32_e32 v12, v17, v12
	v_add_f32_e32 v13, v18, v13
	v_fmac_f32_e32 v2, v3, v8
	v_add_f32_e32 v3, v19, v15
	ds_read_b128 v[15:18], v55 offset:4256
	v_add_f32_e32 v2, v20, v2
	s_waitcnt lgkmcnt(0)
	v_mul_f32_e32 v19, v16, v7
	v_mul_f32_e32 v7, v15, v7
	v_fmac_f32_e32 v7, v16, v6
	v_fma_f32 v19, v15, v6, -v19
	v_add_f32_e32 v20, v26, v7
	v_mul_f32_e32 v6, v16, v9
	v_mul_f32_e32 v7, v15, v9
	v_fma_f32 v6, v15, v8, -v6
	v_fmac_f32_e32 v7, v16, v8
	v_add_f32_e32 v19, v21, v19
	v_add_f32_e32 v21, v10, v6
	;; [unrolled: 1-line block ×3, first 2 shown]
	ds_read2_b64 v[6:9], v14 offset0:160 offset1:176
	s_waitcnt lgkmcnt(0)
	v_mul_f32_e32 v10, v5, v7
	v_fma_f32 v10, v4, v6, -v10
	v_add_f32_e32 v10, v12, v10
	v_mul_f32_e32 v12, v5, v9
	v_mul_f32_e32 v11, v4, v7
	v_fma_f32 v12, v4, v8, -v12
	v_mul_f32_e32 v4, v4, v9
	v_fmac_f32_e32 v11, v5, v6
	v_fmac_f32_e32 v4, v5, v8
	v_add_f32_e32 v11, v13, v11
	v_add_f32_e32 v12, v3, v12
	v_add_f32_e32 v13, v2, v4
	v_mul_f32_e32 v2, v18, v7
	v_mul_f32_e32 v3, v17, v7
	v_fma_f32 v2, v17, v6, -v2
	v_fmac_f32_e32 v3, v18, v6
	v_add_f32_e32 v15, v19, v2
	v_add_f32_e32 v16, v20, v3
	v_mul_f32_e32 v2, v18, v9
	v_mul_f32_e32 v3, v17, v9
	v_fma_f32 v2, v17, v8, -v2
	v_fmac_f32_e32 v3, v18, v8
	v_add_f32_e32 v17, v21, v2
	v_add_f32_e32 v18, v26, v3
	ds_read_b128 v[2:5], v55 offset:176
	ds_read2_b64 v[6:9], v14 offset0:192 offset1:208
	s_waitcnt lgkmcnt(0)
	v_mul_f32_e32 v19, v3, v7
	v_mul_f32_e32 v20, v2, v7
	v_fma_f32 v19, v2, v6, -v19
	v_fmac_f32_e32 v20, v3, v6
	v_add_f32_e32 v19, v10, v19
	v_add_f32_e32 v20, v11, v20
	v_mul_f32_e32 v10, v3, v9
	v_mul_f32_e32 v11, v2, v9
	v_fma_f32 v10, v2, v8, -v10
	v_fmac_f32_e32 v11, v3, v8
	v_add_f32_e32 v2, v12, v10
	v_add_f32_e32 v3, v13, v11
	ds_read_b128 v[10:13], v55 offset:4272
	s_waitcnt lgkmcnt(0)
	v_mul_f32_e32 v21, v11, v7
	v_mul_f32_e32 v7, v10, v7
	v_fmac_f32_e32 v7, v11, v6
	v_fma_f32 v21, v10, v6, -v21
	v_add_f32_e32 v16, v16, v7
	v_mul_f32_e32 v6, v11, v9
	v_mul_f32_e32 v7, v10, v9
	v_fma_f32 v6, v10, v8, -v6
	v_fmac_f32_e32 v7, v11, v8
	v_add_f32_e32 v10, v17, v6
	v_add_f32_e32 v11, v18, v7
	ds_read2_b64 v[6:9], v14 offset0:224 offset1:240
	v_add_f32_e32 v15, v15, v21
	s_waitcnt lgkmcnt(0)
	v_mul_f32_e32 v14, v5, v7
	v_fma_f32 v14, v4, v6, -v14
	v_add_f32_e32 v18, v19, v14
	v_mul_f32_e32 v14, v5, v9
	v_mul_f32_e32 v17, v4, v7
	v_fma_f32 v14, v4, v8, -v14
	v_mul_f32_e32 v4, v4, v9
	v_fmac_f32_e32 v17, v5, v6
	v_fmac_f32_e32 v4, v5, v8
	v_add_f32_e32 v17, v20, v17
	v_add_f32_e32 v19, v2, v14
	;; [unrolled: 1-line block ×3, first 2 shown]
	v_mul_f32_e32 v2, v13, v7
	v_mul_f32_e32 v3, v12, v7
	v_fma_f32 v2, v12, v6, -v2
	v_fmac_f32_e32 v3, v13, v6
	v_add_f32_e32 v21, v15, v2
	v_add_f32_e32 v26, v16, v3
	v_mul_f32_e32 v2, v13, v9
	v_mul_f32_e32 v3, v12, v9
	v_fma_f32 v2, v12, v8, -v2
	v_fmac_f32_e32 v3, v13, v8
	v_add_u32_e32 v14, 0x1800, v0
	v_add_f32_e32 v10, v10, v2
	v_add_f32_e32 v11, v11, v3
	ds_read_b128 v[2:5], v55 offset:192
	ds_read2_b64 v[6:9], v14 offset1:16
	s_waitcnt lgkmcnt(0)
	v_mul_f32_e32 v12, v3, v7
	v_mul_f32_e32 v13, v2, v7
	v_mul_f32_e32 v15, v3, v9
	v_fma_f32 v12, v2, v6, -v12
	v_fmac_f32_e32 v13, v3, v6
	v_fma_f32 v15, v2, v8, -v15
	v_mul_f32_e32 v2, v2, v9
	v_add_f32_e32 v12, v18, v12
	v_add_f32_e32 v13, v17, v13
	v_fmac_f32_e32 v2, v3, v8
	v_add_f32_e32 v3, v19, v15
	ds_read_b128 v[15:18], v55 offset:4288
	v_add_f32_e32 v2, v20, v2
	s_waitcnt lgkmcnt(0)
	v_mul_f32_e32 v19, v16, v7
	v_mul_f32_e32 v7, v15, v7
	v_fmac_f32_e32 v7, v16, v6
	v_fma_f32 v19, v15, v6, -v19
	v_add_f32_e32 v20, v26, v7
	v_mul_f32_e32 v6, v16, v9
	v_mul_f32_e32 v7, v15, v9
	v_fma_f32 v6, v15, v8, -v6
	v_fmac_f32_e32 v7, v16, v8
	v_add_f32_e32 v19, v21, v19
	v_add_f32_e32 v21, v10, v6
	;; [unrolled: 1-line block ×3, first 2 shown]
	ds_read2_b64 v[6:9], v14 offset0:32 offset1:48
	s_waitcnt lgkmcnt(0)
	v_mul_f32_e32 v10, v5, v7
	v_fma_f32 v10, v4, v6, -v10
	v_add_f32_e32 v10, v12, v10
	v_mul_f32_e32 v12, v5, v9
	v_mul_f32_e32 v11, v4, v7
	v_fma_f32 v12, v4, v8, -v12
	v_mul_f32_e32 v4, v4, v9
	v_fmac_f32_e32 v11, v5, v6
	v_fmac_f32_e32 v4, v5, v8
	v_add_f32_e32 v11, v13, v11
	v_add_f32_e32 v12, v3, v12
	;; [unrolled: 1-line block ×3, first 2 shown]
	v_mul_f32_e32 v2, v18, v7
	v_mul_f32_e32 v3, v17, v7
	v_fma_f32 v2, v17, v6, -v2
	v_fmac_f32_e32 v3, v18, v6
	v_add_f32_e32 v15, v19, v2
	v_add_f32_e32 v16, v20, v3
	v_mul_f32_e32 v2, v18, v9
	v_mul_f32_e32 v3, v17, v9
	v_fma_f32 v2, v17, v8, -v2
	v_fmac_f32_e32 v3, v18, v8
	v_add_f32_e32 v17, v21, v2
	v_add_f32_e32 v18, v26, v3
	ds_read_b128 v[2:5], v55 offset:208
	ds_read2_b64 v[6:9], v14 offset0:64 offset1:80
	s_waitcnt lgkmcnt(0)
	v_mul_f32_e32 v19, v3, v7
	v_mul_f32_e32 v20, v2, v7
	v_fma_f32 v19, v2, v6, -v19
	v_fmac_f32_e32 v20, v3, v6
	v_add_f32_e32 v19, v10, v19
	v_add_f32_e32 v20, v11, v20
	v_mul_f32_e32 v10, v3, v9
	v_mul_f32_e32 v11, v2, v9
	v_fma_f32 v10, v2, v8, -v10
	v_fmac_f32_e32 v11, v3, v8
	v_add_f32_e32 v2, v12, v10
	v_add_f32_e32 v3, v13, v11
	ds_read_b128 v[10:13], v55 offset:4304
	s_waitcnt lgkmcnt(0)
	v_mul_f32_e32 v21, v11, v7
	v_mul_f32_e32 v7, v10, v7
	v_fmac_f32_e32 v7, v11, v6
	v_fma_f32 v21, v10, v6, -v21
	v_add_f32_e32 v16, v16, v7
	v_mul_f32_e32 v6, v11, v9
	v_mul_f32_e32 v7, v10, v9
	v_fma_f32 v6, v10, v8, -v6
	v_fmac_f32_e32 v7, v11, v8
	v_add_f32_e32 v10, v17, v6
	v_add_f32_e32 v11, v18, v7
	ds_read2_b64 v[6:9], v14 offset0:96 offset1:112
	v_add_f32_e32 v15, v15, v21
	s_waitcnt lgkmcnt(0)
	v_mul_f32_e32 v17, v5, v7
	v_fma_f32 v17, v4, v6, -v17
	v_add_f32_e32 v17, v19, v17
	v_mul_f32_e32 v19, v5, v9
	v_mul_f32_e32 v18, v4, v7
	v_fma_f32 v19, v4, v8, -v19
	v_mul_f32_e32 v4, v4, v9
	v_fmac_f32_e32 v18, v5, v6
	v_fmac_f32_e32 v4, v5, v8
	v_add_f32_e32 v18, v20, v18
	v_add_f32_e32 v19, v2, v19
	;; [unrolled: 1-line block ×3, first 2 shown]
	v_mul_f32_e32 v2, v13, v7
	v_mul_f32_e32 v3, v12, v7
	v_fma_f32 v2, v12, v6, -v2
	v_fmac_f32_e32 v3, v13, v6
	v_add_f32_e32 v21, v15, v2
	v_add_f32_e32 v26, v16, v3
	v_mul_f32_e32 v2, v13, v9
	v_mul_f32_e32 v3, v12, v9
	v_fma_f32 v2, v12, v8, -v2
	v_fmac_f32_e32 v3, v13, v8
	v_add_f32_e32 v10, v10, v2
	v_add_f32_e32 v11, v11, v3
	ds_read_b128 v[2:5], v55 offset:224
	ds_read2_b64 v[6:9], v14 offset0:128 offset1:144
	s_waitcnt lgkmcnt(0)
	v_mul_f32_e32 v12, v3, v7
	v_mul_f32_e32 v13, v2, v7
	;; [unrolled: 1-line block ×3, first 2 shown]
	v_fma_f32 v12, v2, v6, -v12
	v_fmac_f32_e32 v13, v3, v6
	v_fma_f32 v15, v2, v8, -v15
	v_mul_f32_e32 v2, v2, v9
	v_add_f32_e32 v12, v17, v12
	v_add_f32_e32 v13, v18, v13
	v_fmac_f32_e32 v2, v3, v8
	v_add_f32_e32 v3, v19, v15
	ds_read_b128 v[15:18], v55 offset:4320
	v_add_f32_e32 v2, v20, v2
	s_waitcnt lgkmcnt(0)
	v_mul_f32_e32 v19, v16, v7
	v_mul_f32_e32 v7, v15, v7
	v_fmac_f32_e32 v7, v16, v6
	v_fma_f32 v19, v15, v6, -v19
	v_add_f32_e32 v20, v26, v7
	v_mul_f32_e32 v6, v16, v9
	v_mul_f32_e32 v7, v15, v9
	v_fma_f32 v6, v15, v8, -v6
	v_fmac_f32_e32 v7, v16, v8
	v_add_f32_e32 v19, v21, v19
	v_add_f32_e32 v21, v10, v6
	;; [unrolled: 1-line block ×3, first 2 shown]
	ds_read2_b64 v[6:9], v14 offset0:160 offset1:176
	s_waitcnt lgkmcnt(0)
	v_mul_f32_e32 v10, v5, v7
	v_fma_f32 v10, v4, v6, -v10
	v_add_f32_e32 v10, v12, v10
	v_mul_f32_e32 v12, v5, v9
	v_mul_f32_e32 v11, v4, v7
	v_fma_f32 v12, v4, v8, -v12
	v_mul_f32_e32 v4, v4, v9
	v_fmac_f32_e32 v11, v5, v6
	v_fmac_f32_e32 v4, v5, v8
	v_add_f32_e32 v11, v13, v11
	v_add_f32_e32 v12, v3, v12
	;; [unrolled: 1-line block ×3, first 2 shown]
	v_mul_f32_e32 v2, v18, v7
	v_mul_f32_e32 v3, v17, v7
	v_fma_f32 v2, v17, v6, -v2
	v_fmac_f32_e32 v3, v18, v6
	v_add_f32_e32 v15, v19, v2
	v_add_f32_e32 v16, v20, v3
	v_mul_f32_e32 v2, v18, v9
	v_mul_f32_e32 v3, v17, v9
	v_fma_f32 v2, v17, v8, -v2
	v_fmac_f32_e32 v3, v18, v8
	v_add_f32_e32 v17, v21, v2
	v_add_f32_e32 v18, v26, v3
	ds_read_b128 v[2:5], v55 offset:240
	ds_read2_b64 v[6:9], v14 offset0:192 offset1:208
	s_waitcnt lgkmcnt(0)
	v_mul_f32_e32 v19, v3, v7
	v_mul_f32_e32 v20, v2, v7
	v_fma_f32 v19, v2, v6, -v19
	v_fmac_f32_e32 v20, v3, v6
	v_add_f32_e32 v19, v10, v19
	v_add_f32_e32 v21, v11, v20
	v_mul_f32_e32 v10, v3, v9
	v_mul_f32_e32 v11, v2, v9
	v_fma_f32 v10, v2, v8, -v10
	v_fmac_f32_e32 v11, v3, v8
	v_add_f32_e32 v2, v12, v10
	v_add_f32_e32 v3, v13, v11
	ds_read_b128 v[10:13], v55 offset:4336
	s_waitcnt lgkmcnt(0)
	v_mul_f32_e32 v20, v11, v7
	v_mul_f32_e32 v7, v10, v7
	v_fmac_f32_e32 v7, v11, v6
	v_fma_f32 v20, v10, v6, -v20
	v_add_f32_e32 v26, v16, v7
	v_mul_f32_e32 v6, v11, v9
	v_mul_f32_e32 v7, v10, v9
	v_fma_f32 v6, v10, v8, -v6
	v_fmac_f32_e32 v7, v11, v8
	v_add_f32_e32 v10, v17, v6
	v_add_f32_e32 v11, v18, v7
	ds_read2_b64 v[6:9], v14 offset0:224 offset1:240
	v_add_f32_e32 v15, v15, v20
	s_waitcnt lgkmcnt(0)
	s_barrier
	v_mul_f32_e32 v14, v5, v7
	v_fma_f32 v14, v4, v6, -v14
	v_add_f32_e32 v20, v19, v14
	v_mul_f32_e32 v14, v5, v9
	v_fma_f32 v14, v4, v8, -v14
	v_mul_f32_e32 v16, v4, v7
	v_add_f32_e32 v18, v2, v14
	v_mul_f32_e32 v2, v13, v7
	v_fmac_f32_e32 v16, v5, v6
	v_fma_f32 v2, v12, v6, -v2
	v_add_f32_e32 v21, v21, v16
	v_add_f32_e32 v16, v15, v2
	v_mul_f32_e32 v2, v13, v9
	v_fma_f32 v2, v12, v8, -v2
	v_add_f32_e32 v15, v10, v2
	v_mov_b32_e32 v2, s47
	v_mul_f32_e32 v4, v4, v9
	v_addc_co_u32_e32 v53, vcc, v53, v2, vcc
	v_fmac_f32_e32 v4, v5, v8
	v_add_co_u32_e32 v46, vcc, s58, v46
	v_add_f32_e32 v19, v3, v4
	v_mul_f32_e32 v3, v12, v7
	v_addc_co_u32_e32 v47, vcc, 0, v47, vcc
	v_fmac_f32_e32 v3, v13, v6
	v_add_co_u32_e32 v50, vcc, s46, v50
	v_add_f32_e32 v17, v26, v3
	;; [unrolled: 5-line block ×3, first 2 shown]
	v_addc_co_u32_e32 v49, vcc, 0, v49, vcc
	s_cbranch_scc1 .LBB74_56
.LBB74_7:                               ;   Parent Loop BB74_4 Depth=1
                                        ; =>  This Inner Loop Header: Depth=2
	v_mov_b32_e32 v3, s29
	v_add_co_u32_e32 v2, vcc, s28, v22
	v_addc_co_u32_e32 v3, vcc, v23, v3, vcc
	s_waitcnt vmcnt(3)
	v_add_co_u32_e32 v4, vcc, v50, v40
	s_waitcnt vmcnt(2)
	v_addc_co_u32_e32 v5, vcc, v51, v41, vcc
	v_cmp_le_i64_e64 s[12:13], s[42:43], v[2:3]
	v_cmp_eq_u64_e64 s[16:17], s[28:29], v[32:33]
	v_cmp_lt_i64_e32 vcc, v[2:3], v[24:25]
	s_and_b64 s[50:51], s[40:41], s[16:17]
	s_or_b64 s[16:17], s[12:13], vcc
	s_or_b64 s[16:17], s[16:17], s[50:51]
	s_nor_b64 s[16:17], s[0:1], s[16:17]
	s_and_saveexec_b64 s[18:19], s[16:17]
	s_xor_b64 s[16:17], exec, s[18:19]
	s_cbranch_execz .LBB74_9
; %bb.8:                                ;   in Loop: Header=BB74_7 Depth=2
	global_load_dwordx2 v[6:7], v[4:5], off
	s_waitcnt vmcnt(0)
	ds_write_b64 v54, v[6:7]
.LBB74_9:                               ;   in Loop: Header=BB74_7 Depth=2
	s_or_saveexec_b64 s[16:17], s[16:17]
	s_xor_b64 s[38:39], s[50:51], -1
	s_xor_b64 exec, exec, s[16:17]
	s_cbranch_execz .LBB74_15
; %bb.10:                               ;   in Loop: Header=BB74_7 Depth=2
	s_and_saveexec_b64 s[18:19], s[38:39]
	s_xor_b64 s[18:19], exec, s[18:19]
; %bb.11:                               ;   in Loop: Header=BB74_7 Depth=2
	v_mov_b32_e32 v6, v43
	v_mov_b32_e32 v7, v43
	ds_write_b64 v54, v[6:7]
; %bb.12:                               ;   in Loop: Header=BB74_7 Depth=2
	s_andn2_saveexec_b64 s[18:19], s[18:19]
; %bb.13:                               ;   in Loop: Header=BB74_7 Depth=2
	ds_write_b64 v54, v[42:43]
; %bb.14:                               ;   in Loop: Header=BB74_7 Depth=2
	s_or_b64 exec, exec, s[18:19]
.LBB74_15:                              ;   in Loop: Header=BB74_7 Depth=2
	s_or_b64 exec, exec, s[16:17]
	v_cmp_eq_u64_e64 s[16:17], s[28:29], v[34:35]
	v_cmp_gt_i64_e64 s[18:19], v[36:37], v[2:3]
	s_and_b64 s[16:17], s[40:41], s[16:17]
	s_or_b64 s[12:13], s[12:13], s[18:19]
	s_or_b64 s[12:13], s[12:13], s[16:17]
	s_nor_b64 s[12:13], s[2:3], s[12:13]
	s_and_saveexec_b64 s[18:19], s[12:13]
	s_xor_b64 s[12:13], exec, s[18:19]
	s_cbranch_execz .LBB74_17
; %bb.16:                               ;   in Loop: Header=BB74_7 Depth=2
	global_load_dwordx2 v[4:5], v[4:5], off offset:128
	s_waitcnt vmcnt(0)
	ds_write_b64 v54, v[4:5] offset:128
.LBB74_17:                              ;   in Loop: Header=BB74_7 Depth=2
	s_andn2_saveexec_b64 s[12:13], s[12:13]
	s_cbranch_execz .LBB74_23
; %bb.18:                               ;   in Loop: Header=BB74_7 Depth=2
	s_xor_b64 s[16:17], s[16:17], -1
	s_and_saveexec_b64 s[18:19], s[16:17]
	s_xor_b64 s[16:17], exec, s[18:19]
; %bb.19:                               ;   in Loop: Header=BB74_7 Depth=2
	v_mov_b32_e32 v4, v43
	v_mov_b32_e32 v5, v43
	ds_write_b64 v54, v[4:5] offset:128
; %bb.20:                               ;   in Loop: Header=BB74_7 Depth=2
	s_andn2_saveexec_b64 s[16:17], s[16:17]
; %bb.21:                               ;   in Loop: Header=BB74_7 Depth=2
	ds_write_b64 v54, v[42:43] offset:128
; %bb.22:                               ;   in Loop: Header=BB74_7 Depth=2
	s_or_b64 exec, exec, s[16:17]
.LBB74_23:                              ;   in Loop: Header=BB74_7 Depth=2
	s_or_b64 exec, exec, s[12:13]
	v_add_co_u32_e64 v4, s[12:13], 16, v2
	s_waitcnt vmcnt(1)
	v_add_co_u32_e64 v2, s[16:17], v52, v40
	v_addc_co_u32_e64 v5, s[12:13], 0, v3, s[12:13]
	s_waitcnt vmcnt(0)
	v_addc_co_u32_e64 v3, s[16:17], v53, v41, s[16:17]
	v_cmp_le_i64_e64 s[12:13], s[42:43], v[4:5]
	v_cmp_eq_u64_e64 s[16:17], s[28:29], v[38:39]
	v_cmp_lt_i64_e64 s[18:19], v[4:5], v[24:25]
	s_and_b64 s[52:53], s[40:41], s[16:17]
	s_or_b64 s[16:17], s[12:13], s[18:19]
	s_or_b64 s[16:17], s[16:17], s[52:53]
	s_nor_b64 s[16:17], s[0:1], s[16:17]
	s_and_saveexec_b64 s[18:19], s[16:17]
	s_xor_b64 s[16:17], exec, s[18:19]
	s_cbranch_execz .LBB74_25
; %bb.24:                               ;   in Loop: Header=BB74_7 Depth=2
	global_load_dwordx2 v[4:5], v[2:3], off
	s_waitcnt vmcnt(0)
	ds_write_b64 v54, v[4:5] offset:4096
.LBB74_25:                              ;   in Loop: Header=BB74_7 Depth=2
	s_andn2_saveexec_b64 s[16:17], s[16:17]
	s_cbranch_execz .LBB74_31
; %bb.26:                               ;   in Loop: Header=BB74_7 Depth=2
	s_xor_b64 s[18:19], s[52:53], -1
	s_and_saveexec_b64 s[52:53], s[18:19]
	s_xor_b64 s[18:19], exec, s[52:53]
; %bb.27:                               ;   in Loop: Header=BB74_7 Depth=2
	v_mov_b32_e32 v4, v43
	v_mov_b32_e32 v5, v43
	ds_write_b64 v54, v[4:5] offset:4096
; %bb.28:                               ;   in Loop: Header=BB74_7 Depth=2
	s_andn2_saveexec_b64 s[18:19], s[18:19]
; %bb.29:                               ;   in Loop: Header=BB74_7 Depth=2
	ds_write_b64 v54, v[42:43] offset:4096
; %bb.30:                               ;   in Loop: Header=BB74_7 Depth=2
	s_or_b64 exec, exec, s[18:19]
.LBB74_31:                              ;   in Loop: Header=BB74_7 Depth=2
	s_or_b64 exec, exec, s[16:17]
	s_or_b64 s[12:13], s[12:13], vcc
	s_or_b64 s[12:13], s[12:13], s[50:51]
	s_nor_b64 s[12:13], s[2:3], s[12:13]
	s_and_saveexec_b64 s[16:17], s[12:13]
	s_xor_b64 s[12:13], exec, s[16:17]
	s_cbranch_execz .LBB74_33
; %bb.32:                               ;   in Loop: Header=BB74_7 Depth=2
	global_load_dwordx2 v[2:3], v[2:3], off offset:128
	s_waitcnt vmcnt(0)
	ds_write_b64 v54, v[2:3] offset:4224
.LBB74_33:                              ;   in Loop: Header=BB74_7 Depth=2
	s_andn2_saveexec_b64 s[12:13], s[12:13]
	s_cbranch_execz .LBB74_39
; %bb.34:                               ;   in Loop: Header=BB74_7 Depth=2
	s_and_saveexec_b64 s[16:17], s[38:39]
	s_xor_b64 s[16:17], exec, s[16:17]
; %bb.35:                               ;   in Loop: Header=BB74_7 Depth=2
	v_mov_b32_e32 v2, v43
	v_mov_b32_e32 v3, v43
	ds_write_b64 v54, v[2:3] offset:4224
; %bb.36:                               ;   in Loop: Header=BB74_7 Depth=2
	s_andn2_saveexec_b64 s[16:17], s[16:17]
; %bb.37:                               ;   in Loop: Header=BB74_7 Depth=2
	ds_write_b64 v54, v[42:43] offset:4224
; %bb.38:                               ;   in Loop: Header=BB74_7 Depth=2
	s_or_b64 exec, exec, s[16:17]
.LBB74_39:                              ;   in Loop: Header=BB74_7 Depth=2
	s_or_b64 exec, exec, s[12:13]
	v_mov_b32_e32 v3, s29
	v_add_co_u32_e32 v2, vcc, s28, v24
	v_addc_co_u32_e32 v3, vcc, v25, v3, vcc
	v_cmp_gt_i64_e32 vcc, s[42:43], v[2:3]
	s_and_b64 s[12:13], s[8:9], vcc
	s_xor_b64 s[12:13], s[12:13], -1
	s_and_saveexec_b64 s[16:17], s[12:13]
	s_xor_b64 s[12:13], exec, s[16:17]
; %bb.40:                               ;   in Loop: Header=BB74_7 Depth=2
	v_mov_b32_e32 v4, v43
	v_mov_b32_e32 v5, v43
	ds_write_b64 v56, v[4:5]
; %bb.41:                               ;   in Loop: Header=BB74_7 Depth=2
	s_or_saveexec_b64 s[16:17], s[12:13]
	v_add_co_u32_e64 v4, s[12:13], v46, v40
	v_addc_co_u32_e64 v5, s[12:13], v47, v41, s[12:13]
	s_xor_b64 exec, exec, s[16:17]
	s_cbranch_execz .LBB74_43
; %bb.42:                               ;   in Loop: Header=BB74_7 Depth=2
	global_load_dwordx2 v[6:7], v[4:5], off offset:-128
	s_waitcnt vmcnt(0)
	ds_write_b64 v56, v[6:7]
.LBB74_43:                              ;   in Loop: Header=BB74_7 Depth=2
	s_or_b64 exec, exec, s[16:17]
	v_cmp_gt_i64_e64 s[12:13], s[48:49], v[2:3]
	s_and_b64 s[16:17], s[8:9], s[12:13]
	s_xor_b64 s[16:17], s[16:17], -1
	s_and_saveexec_b64 s[18:19], s[16:17]
	s_xor_b64 s[16:17], exec, s[18:19]
; %bb.44:                               ;   in Loop: Header=BB74_7 Depth=2
	v_mov_b32_e32 v2, v43
	v_mov_b32_e32 v3, v43
	ds_write_b64 v56, v[2:3] offset:128
                                        ; implicit-def: $vgpr4_vgpr5
; %bb.45:                               ;   in Loop: Header=BB74_7 Depth=2
	s_andn2_saveexec_b64 s[16:17], s[16:17]
	s_cbranch_execz .LBB74_47
; %bb.46:                               ;   in Loop: Header=BB74_7 Depth=2
	global_load_dwordx2 v[2:3], v[4:5], off
	s_waitcnt vmcnt(0)
	ds_write_b64 v56, v[2:3] offset:128
.LBB74_47:                              ;   in Loop: Header=BB74_7 Depth=2
	s_or_b64 exec, exec, s[16:17]
	s_and_b64 s[16:17], s[10:11], vcc
	s_xor_b64 s[16:17], s[16:17], -1
	s_and_saveexec_b64 s[18:19], s[16:17]
	s_xor_b64 s[16:17], exec, s[18:19]
; %bb.48:                               ;   in Loop: Header=BB74_7 Depth=2
	v_mov_b32_e32 v2, v43
	v_mov_b32_e32 v3, v43
	ds_write_b64 v56, v[2:3] offset:4096
; %bb.49:                               ;   in Loop: Header=BB74_7 Depth=2
	s_or_saveexec_b64 s[16:17], s[16:17]
	v_add_co_u32_e32 v2, vcc, v48, v40
	v_addc_co_u32_e32 v3, vcc, v49, v41, vcc
	s_xor_b64 exec, exec, s[16:17]
	s_cbranch_execz .LBB74_51
; %bb.50:                               ;   in Loop: Header=BB74_7 Depth=2
	global_load_dwordx2 v[4:5], v[2:3], off
	s_waitcnt vmcnt(0)
	ds_write_b64 v56, v[4:5] offset:4096
.LBB74_51:                              ;   in Loop: Header=BB74_7 Depth=2
	s_or_b64 exec, exec, s[16:17]
	s_and_b64 s[12:13], s[10:11], s[12:13]
	s_xor_b64 s[12:13], s[12:13], -1
	s_and_saveexec_b64 s[16:17], s[12:13]
	s_xor_b64 s[12:13], exec, s[16:17]
; %bb.52:                               ;   in Loop: Header=BB74_7 Depth=2
	v_mov_b32_e32 v2, v43
	v_mov_b32_e32 v3, v43
	ds_write_b64 v56, v[2:3] offset:4224
                                        ; implicit-def: $vgpr2_vgpr3
; %bb.53:                               ;   in Loop: Header=BB74_7 Depth=2
	s_andn2_saveexec_b64 s[12:13], s[12:13]
	s_cbranch_execz .LBB74_6
; %bb.54:                               ;   in Loop: Header=BB74_7 Depth=2
	global_load_dwordx2 v[2:3], v[2:3], off offset:128
	s_waitcnt vmcnt(0)
	ds_write_b64 v56, v[2:3] offset:4224
	s_branch .LBB74_6
.LBB74_55:                              ;   in Loop: Header=BB74_4 Depth=1
	v_mov_b32_e32 v20, 0
	v_mov_b32_e32 v21, 0
	;; [unrolled: 1-line block ×8, first 2 shown]
.LBB74_56:                              ;   in Loop: Header=BB74_4 Depth=1
	v_mul_lo_u32 v4, s45, v57
	v_mul_lo_u32 v5, s44, v58
	v_mad_u64_u32 v[2:3], s[8:9], s44, v57, 0
	v_cmp_gt_i32_e32 vcc, s30, v57
	v_add3_u32 v3, v3, v5, v4
	v_lshlrev_b64 v[2:3], 3, v[2:3]
	v_mov_b32_e32 v4, s55
	v_add_co_u32_e64 v2, s[8:9], s54, v2
	v_addc_co_u32_e64 v3, s[8:9], v4, v3, s[8:9]
	s_and_b64 s[8:9], s[4:5], vcc
	s_and_saveexec_b64 s[10:11], s[8:9]
	s_cbranch_execz .LBB74_58
; %bb.57:                               ;   in Loop: Header=BB74_4 Depth=1
	v_add_co_u32_e64 v4, s[8:9], v2, v40
	v_addc_co_u32_e64 v5, s[8:9], v3, v41, s[8:9]
	global_load_dwordx2 v[6:7], v[4:5], off
	v_mul_f32_e32 v8, s35, v21
	v_mul_f32_e32 v9, s34, v21
	v_fma_f32 v8, v20, s34, -v8
	v_fmac_f32_e32 v9, s35, v20
	s_waitcnt vmcnt(0)
	v_add_f32_e32 v6, v6, v8
	v_add_f32_e32 v7, v9, v7
	global_store_dwordx2 v[4:5], v[6:7], off
.LBB74_58:                              ;   in Loop: Header=BB74_4 Depth=1
	s_or_b64 exec, exec, s[10:11]
	s_and_b64 s[10:11], s[14:15], vcc
	s_and_saveexec_b64 s[8:9], s[10:11]
	s_cbranch_execz .LBB74_60
; %bb.59:                               ;   in Loop: Header=BB74_4 Depth=1
	buffer_load_dword v4, off, s[60:63], 0  ; 4-byte Folded Reload
	buffer_load_dword v5, off, s[60:63], 0 offset:4 ; 4-byte Folded Reload
	v_mul_f32_e32 v6, s35, v19
	v_mul_f32_e32 v7, s34, v19
	v_fma_f32 v6, v18, s34, -v6
	v_fmac_f32_e32 v7, s35, v18
	s_waitcnt vmcnt(0)
	v_lshlrev_b64 v[4:5], 3, v[4:5]
	v_add_co_u32_e32 v2, vcc, v2, v4
	v_addc_co_u32_e32 v3, vcc, v3, v5, vcc
	global_load_dwordx2 v[4:5], v[2:3], off
	s_waitcnt vmcnt(0)
	v_add_f32_e32 v4, v4, v6
	v_add_f32_e32 v5, v7, v5
	global_store_dwordx2 v[2:3], v[4:5], off
.LBB74_60:                              ;   in Loop: Header=BB74_4 Depth=1
	s_or_b64 exec, exec, s[8:9]
	v_add_u32_e32 v4, 16, v57
	v_ashrrev_i32_e32 v2, 31, v4
	v_mul_lo_u32 v5, s44, v2
	v_mul_lo_u32 v6, s45, v4
	v_mad_u64_u32 v[2:3], s[8:9], s44, v4, 0
	v_cmp_gt_i32_e32 vcc, s30, v4
	v_mov_b32_e32 v4, s55
	v_add3_u32 v3, v3, v5, v6
	v_lshlrev_b64 v[2:3], 3, v[2:3]
	v_add_co_u32_e64 v2, s[8:9], s54, v2
	v_addc_co_u32_e64 v3, s[8:9], v4, v3, s[8:9]
	s_and_b64 s[8:9], s[4:5], vcc
	s_and_saveexec_b64 s[10:11], s[8:9]
	s_cbranch_execz .LBB74_62
; %bb.61:                               ;   in Loop: Header=BB74_4 Depth=1
	v_add_co_u32_e64 v4, s[8:9], v2, v40
	v_addc_co_u32_e64 v5, s[8:9], v3, v41, s[8:9]
	global_load_dwordx2 v[6:7], v[4:5], off
	v_mul_f32_e32 v8, s35, v17
	v_mul_f32_e32 v9, s34, v17
	v_fma_f32 v8, v16, s34, -v8
	v_fmac_f32_e32 v9, s35, v16
	s_waitcnt vmcnt(0)
	v_add_f32_e32 v6, v6, v8
	v_add_f32_e32 v7, v9, v7
	global_store_dwordx2 v[4:5], v[6:7], off
.LBB74_62:                              ;   in Loop: Header=BB74_4 Depth=1
	s_or_b64 exec, exec, s[10:11]
	s_and_b64 s[10:11], s[14:15], vcc
	s_and_saveexec_b64 s[8:9], s[10:11]
	s_cbranch_execz .LBB74_3
; %bb.63:                               ;   in Loop: Header=BB74_4 Depth=1
	buffer_load_dword v4, off, s[60:63], 0  ; 4-byte Folded Reload
	buffer_load_dword v5, off, s[60:63], 0 offset:4 ; 4-byte Folded Reload
	v_mul_f32_e32 v6, s35, v14
	v_mul_f32_e32 v7, s34, v14
	v_fma_f32 v6, v15, s34, -v6
	v_fmac_f32_e32 v7, s35, v15
	s_waitcnt vmcnt(0)
	v_lshlrev_b64 v[4:5], 3, v[4:5]
	v_add_co_u32_e32 v2, vcc, v2, v4
	v_addc_co_u32_e32 v3, vcc, v3, v5, vcc
	global_load_dwordx2 v[4:5], v[2:3], off
	s_waitcnt vmcnt(0)
	v_add_f32_e32 v4, v4, v6
	v_add_f32_e32 v5, v7, v5
	global_store_dwordx2 v[2:3], v[4:5], off
	s_branch .LBB74_3
.LBB74_64:
	s_endpgm
	.section	.rodata,"a",@progbits
	.p2align	6, 0x0
	.amdhsa_kernel _ZL30rocblas_trmm_outofplace_kernelI19rocblas_complex_numIfELi32ELi2ELb1ELb1ELb0ELb0EPKS1_S2_S1_Ev17rocblas_diagonal_iiT6_lPT7_lllS7_lllPT8_llli
		.amdhsa_group_segment_fixed_size 16384
		.amdhsa_private_segment_fixed_size 28
		.amdhsa_kernarg_size 392
		.amdhsa_user_sgpr_count 6
		.amdhsa_user_sgpr_private_segment_buffer 1
		.amdhsa_user_sgpr_dispatch_ptr 0
		.amdhsa_user_sgpr_queue_ptr 0
		.amdhsa_user_sgpr_kernarg_segment_ptr 1
		.amdhsa_user_sgpr_dispatch_id 0
		.amdhsa_user_sgpr_flat_scratch_init 0
		.amdhsa_user_sgpr_private_segment_size 0
		.amdhsa_uses_dynamic_stack 0
		.amdhsa_system_sgpr_private_segment_wavefront_offset 1
		.amdhsa_system_sgpr_workgroup_id_x 1
		.amdhsa_system_sgpr_workgroup_id_y 1
		.amdhsa_system_sgpr_workgroup_id_z 1
		.amdhsa_system_sgpr_workgroup_info 0
		.amdhsa_system_vgpr_workitem_id 1
		.amdhsa_next_free_vgpr 64
		.amdhsa_next_free_sgpr 64
		.amdhsa_reserve_vcc 1
		.amdhsa_reserve_flat_scratch 0
		.amdhsa_float_round_mode_32 0
		.amdhsa_float_round_mode_16_64 0
		.amdhsa_float_denorm_mode_32 3
		.amdhsa_float_denorm_mode_16_64 3
		.amdhsa_dx10_clamp 1
		.amdhsa_ieee_mode 1
		.amdhsa_fp16_overflow 0
		.amdhsa_exception_fp_ieee_invalid_op 0
		.amdhsa_exception_fp_denorm_src 0
		.amdhsa_exception_fp_ieee_div_zero 0
		.amdhsa_exception_fp_ieee_overflow 0
		.amdhsa_exception_fp_ieee_underflow 0
		.amdhsa_exception_fp_ieee_inexact 0
		.amdhsa_exception_int_div_zero 0
	.end_amdhsa_kernel
	.section	.text._ZL30rocblas_trmm_outofplace_kernelI19rocblas_complex_numIfELi32ELi2ELb1ELb1ELb0ELb0EPKS1_S2_S1_Ev17rocblas_diagonal_iiT6_lPT7_lllS7_lllPT8_llli,"axG",@progbits,_ZL30rocblas_trmm_outofplace_kernelI19rocblas_complex_numIfELi32ELi2ELb1ELb1ELb0ELb0EPKS1_S2_S1_Ev17rocblas_diagonal_iiT6_lPT7_lllS7_lllPT8_llli,comdat
.Lfunc_end74:
	.size	_ZL30rocblas_trmm_outofplace_kernelI19rocblas_complex_numIfELi32ELi2ELb1ELb1ELb0ELb0EPKS1_S2_S1_Ev17rocblas_diagonal_iiT6_lPT7_lllS7_lllPT8_llli, .Lfunc_end74-_ZL30rocblas_trmm_outofplace_kernelI19rocblas_complex_numIfELi32ELi2ELb1ELb1ELb0ELb0EPKS1_S2_S1_Ev17rocblas_diagonal_iiT6_lPT7_lllS7_lllPT8_llli
                                        ; -- End function
	.set _ZL30rocblas_trmm_outofplace_kernelI19rocblas_complex_numIfELi32ELi2ELb1ELb1ELb0ELb0EPKS1_S2_S1_Ev17rocblas_diagonal_iiT6_lPT7_lllS7_lllPT8_llli.num_vgpr, 64
	.set _ZL30rocblas_trmm_outofplace_kernelI19rocblas_complex_numIfELi32ELi2ELb1ELb1ELb0ELb0EPKS1_S2_S1_Ev17rocblas_diagonal_iiT6_lPT7_lllS7_lllPT8_llli.num_agpr, 0
	.set _ZL30rocblas_trmm_outofplace_kernelI19rocblas_complex_numIfELi32ELi2ELb1ELb1ELb0ELb0EPKS1_S2_S1_Ev17rocblas_diagonal_iiT6_lPT7_lllS7_lllPT8_llli.numbered_sgpr, 64
	.set _ZL30rocblas_trmm_outofplace_kernelI19rocblas_complex_numIfELi32ELi2ELb1ELb1ELb0ELb0EPKS1_S2_S1_Ev17rocblas_diagonal_iiT6_lPT7_lllS7_lllPT8_llli.num_named_barrier, 0
	.set _ZL30rocblas_trmm_outofplace_kernelI19rocblas_complex_numIfELi32ELi2ELb1ELb1ELb0ELb0EPKS1_S2_S1_Ev17rocblas_diagonal_iiT6_lPT7_lllS7_lllPT8_llli.private_seg_size, 28
	.set _ZL30rocblas_trmm_outofplace_kernelI19rocblas_complex_numIfELi32ELi2ELb1ELb1ELb0ELb0EPKS1_S2_S1_Ev17rocblas_diagonal_iiT6_lPT7_lllS7_lllPT8_llli.uses_vcc, 1
	.set _ZL30rocblas_trmm_outofplace_kernelI19rocblas_complex_numIfELi32ELi2ELb1ELb1ELb0ELb0EPKS1_S2_S1_Ev17rocblas_diagonal_iiT6_lPT7_lllS7_lllPT8_llli.uses_flat_scratch, 0
	.set _ZL30rocblas_trmm_outofplace_kernelI19rocblas_complex_numIfELi32ELi2ELb1ELb1ELb0ELb0EPKS1_S2_S1_Ev17rocblas_diagonal_iiT6_lPT7_lllS7_lllPT8_llli.has_dyn_sized_stack, 0
	.set _ZL30rocblas_trmm_outofplace_kernelI19rocblas_complex_numIfELi32ELi2ELb1ELb1ELb0ELb0EPKS1_S2_S1_Ev17rocblas_diagonal_iiT6_lPT7_lllS7_lllPT8_llli.has_recursion, 0
	.set _ZL30rocblas_trmm_outofplace_kernelI19rocblas_complex_numIfELi32ELi2ELb1ELb1ELb0ELb0EPKS1_S2_S1_Ev17rocblas_diagonal_iiT6_lPT7_lllS7_lllPT8_llli.has_indirect_call, 0
	.section	.AMDGPU.csdata,"",@progbits
; Kernel info:
; codeLenInByte = 6688
; TotalNumSgprs: 68
; NumVgprs: 64
; ScratchSize: 28
; MemoryBound: 1
; FloatMode: 240
; IeeeMode: 1
; LDSByteSize: 16384 bytes/workgroup (compile time only)
; SGPRBlocks: 8
; VGPRBlocks: 15
; NumSGPRsForWavesPerEU: 68
; NumVGPRsForWavesPerEU: 64
; Occupancy: 4
; WaveLimiterHint : 0
; COMPUTE_PGM_RSRC2:SCRATCH_EN: 1
; COMPUTE_PGM_RSRC2:USER_SGPR: 6
; COMPUTE_PGM_RSRC2:TRAP_HANDLER: 0
; COMPUTE_PGM_RSRC2:TGID_X_EN: 1
; COMPUTE_PGM_RSRC2:TGID_Y_EN: 1
; COMPUTE_PGM_RSRC2:TGID_Z_EN: 1
; COMPUTE_PGM_RSRC2:TIDIG_COMP_CNT: 1
	.section	.text._ZL30rocblas_trmm_outofplace_kernelI19rocblas_complex_numIfELi32ELi2ELb1ELb1ELb0ELb0ES1_KS1_S1_Ev17rocblas_diagonal_iiT6_lPT7_lllS6_lllPT8_llli,"axG",@progbits,_ZL30rocblas_trmm_outofplace_kernelI19rocblas_complex_numIfELi32ELi2ELb1ELb1ELb0ELb0ES1_KS1_S1_Ev17rocblas_diagonal_iiT6_lPT7_lllS6_lllPT8_llli,comdat
	.globl	_ZL30rocblas_trmm_outofplace_kernelI19rocblas_complex_numIfELi32ELi2ELb1ELb1ELb0ELb0ES1_KS1_S1_Ev17rocblas_diagonal_iiT6_lPT7_lllS6_lllPT8_llli ; -- Begin function _ZL30rocblas_trmm_outofplace_kernelI19rocblas_complex_numIfELi32ELi2ELb1ELb1ELb0ELb0ES1_KS1_S1_Ev17rocblas_diagonal_iiT6_lPT7_lllS6_lllPT8_llli
	.p2align	8
	.type	_ZL30rocblas_trmm_outofplace_kernelI19rocblas_complex_numIfELi32ELi2ELb1ELb1ELb0ELb0ES1_KS1_S1_Ev17rocblas_diagonal_iiT6_lPT7_lllS6_lllPT8_llli,@function
_ZL30rocblas_trmm_outofplace_kernelI19rocblas_complex_numIfELi32ELi2ELb1ELb1ELb0ELb0ES1_KS1_S1_Ev17rocblas_diagonal_iiT6_lPT7_lllS6_lllPT8_llli: ; @_ZL30rocblas_trmm_outofplace_kernelI19rocblas_complex_numIfELi32ELi2ELb1ELb1ELb0ELb0ES1_KS1_S1_Ev17rocblas_diagonal_iiT6_lPT7_lllS6_lllPT8_llli
; %bb.0:
	s_load_dwordx4 s[28:31], s[4:5], 0x0
	s_load_dword s33, s[4:5], 0x10
	s_mov_b64 s[62:63], s[2:3]
	s_mov_b64 s[60:61], s[0:1]
	s_add_u32 s60, s60, s9
	s_addc_u32 s61, s61, 0
	s_waitcnt lgkmcnt(0)
	s_or_b32 s0, s31, s33
	s_bitset0_b32 s0, 31
	s_cmp_eq_u32 s0, 0
	s_cbranch_scc1 .LBB75_64
; %bb.1:
	s_add_i32 s0, s30, -1
	s_ashr_i32 s1, s0, 31
	s_lshr_b32 s1, s1, 27
	s_add_i32 s0, s0, s1
	s_ashr_i32 s52, s0, 5
	s_cmp_gt_i32 s7, s52
	s_cbranch_scc1 .LBB75_64
; %bb.2:
	s_load_dwordx16 s[12:27], s[4:5], 0x20
	s_load_dwordx8 s[36:43], s[4:5], 0x60
	s_mov_b32 s56, s30
	v_mov_b32_e32 v43, 0
	v_mov_b32_e32 v42, 1.0
	s_waitcnt lgkmcnt(0)
	s_mul_i32 s1, s19, s8
	s_mul_hi_u32 s2, s18, s8
	s_mul_i32 s0, s18, s8
	s_add_i32 s1, s2, s1
	s_lshl_b64 s[10:11], s[0:1], 3
	s_add_u32 s0, s12, s10
	s_addc_u32 s1, s13, s11
	s_lshl_b64 s[18:19], s[14:15], 3
	s_add_u32 s2, s0, s18
	s_addc_u32 s3, s1, s19
	s_mul_i32 s0, s43, s8
	s_mul_hi_u32 s1, s42, s8
	s_add_i32 s1, s1, s0
	s_mul_i32 s0, s42, s8
	s_lshl_b64 s[0:1], s[0:1], 3
	s_add_u32 s9, s36, s0
	s_addc_u32 s14, s37, s1
	s_lshl_b64 s[0:1], s[38:39], 3
	s_add_u32 s53, s9, s0
	s_addc_u32 s54, s14, s1
	s_lshl_b32 s6, s6, 5
	v_add_u32_e32 v22, s6, v1
	v_ashrrev_i32_e32 v23, 31, v22
	v_mul_lo_u32 v4, s16, v23
	v_mul_lo_u32 v5, s17, v22
	v_mad_u64_u32 v[2:3], s[0:1], s16, v22, 0
	v_add_u32_e32 v24, s6, v0
	v_ashrrev_i32_e32 v25, 31, v24
	v_add3_u32 v3, v3, v4, v5
	v_lshlrev_b64 v[2:3], 3, v[2:3]
	v_mov_b32_e32 v4, s3
	v_add_co_u32_e32 v2, vcc, s2, v2
	v_addc_co_u32_e32 v3, vcc, v4, v3, vcc
	buffer_store_dword v2, off, s[60:63], 0 offset:8 ; 4-byte Folded Spill
	s_nop 0
	buffer_store_dword v3, off, s[60:63], 0 offset:12 ; 4-byte Folded Spill
	s_sub_i32 s6, s29, s6
	v_lshlrev_b32_e32 v2, 8, v1
	v_lshlrev_b32_e32 v0, 3, v0
	v_add_co_u32_e32 v36, vcc, 16, v24
	s_cmp_gt_i32 s6, 0
	v_add_u32_e32 v54, v0, v2
	v_add_u32_e32 v55, 0x2000, v2
	v_addc_co_u32_e32 v37, vcc, 0, v25, vcc
	v_add_u32_e32 v2, 16, v24
	s_cselect_b64 s[34:35], -1, 0
	s_cmpk_eq_i32 s28, 0x84
	v_ashrrev_i32_e32 v3, 31, v2
	v_sub_co_u32_e32 v32, vcc, v24, v22
	s_cselect_b64 s[36:37], -1, 0
	s_ashr_i32 s39, s29, 31
	s_ashr_i32 s55, s30, 31
	s_lshl_b64 s[42:43], s[16:17], 8
	s_load_dword s57, s[4:5], 0x8c
	v_cmp_gt_i32_e64 s[14:15], s29, v2
	buffer_store_dword v2, off, s[60:63], 0 ; 4-byte Folded Spill
	s_nop 0
	buffer_store_dword v3, off, s[60:63], 0 offset:4 ; 4-byte Folded Spill
	v_subb_co_u32_e32 v33, vcc, v25, v23, vcc
	s_add_u32 s44, s29, -16
	v_add_co_u32_e32 v34, vcc, 16, v32
	v_lshlrev_b64 v[2:3], 3, v[22:23]
	s_addc_u32 s45, s39, -1
	v_addc_co_u32_e32 v35, vcc, 0, v33, vcc
	s_movk_i32 s9, 0x80
	v_add_co_u32_e32 v4, vcc, s9, v2
	s_add_u32 s9, s12, s18
	s_addc_u32 s12, s13, s19
	s_add_u32 s10, s9, s10
	v_addc_co_u32_e32 v5, vcc, 0, v3, vcc
	s_addc_u32 s11, s12, s11
	v_mov_b32_e32 v2, s10
	v_mov_b32_e32 v3, s11
	v_mad_u64_u32 v[6:7], s[10:11], s16, v4, v[2:3]
	s_mul_i32 s9, s27, s8
	s_mul_hi_u32 s10, s26, s8
	s_add_i32 s9, s10, s9
	s_mul_i32 s8, s26, s8
	s_lshl_b64 s[8:9], s[8:9], 3
	s_lshl_b64 s[10:11], s[22:23], 3
	s_add_u32 s8, s8, s10
	v_mul_lo_u32 v2, s16, v5
	v_mul_lo_u32 v3, s17, v4
	s_addc_u32 s9, s9, s11
	s_add_u32 s20, s20, s8
	s_mov_b32 s38, s29
	s_addc_u32 s21, s21, s9
	v_cmp_le_i64_e64 s[2:3], s[38:39], v[36:37]
	v_add_co_u32_e32 v38, vcc, -16, v32
	v_lshlrev_b64 v[40:41], 3, v[24:25]
	s_add_u32 s22, s20, 0x80
	v_add_u32_e32 v56, v55, v0
	v_cmp_le_i32_e64 s[0:1], s29, v24
	v_cmp_gt_i32_e64 s[4:5], s29, v24
	v_addc_co_u32_e32 v39, vcc, -1, v33, vcc
	v_add3_u32 v7, v3, v7, v2
	s_addc_u32 s23, s21, 0
	s_lshl_b64 s[26:27], s[24:25], 3
	s_waitcnt lgkmcnt(0)
	s_lshl_b32 s58, s57, 5
	s_movk_i32 s59, 0x100
	v_lshl_add_u32 v44, s7, 5, v1
	buffer_store_dword v6, off, s[60:63], 0 offset:16 ; 4-byte Folded Spill
	s_nop 0
	buffer_store_dword v7, off, s[60:63], 0 offset:20 ; 4-byte Folded Spill
	s_branch .LBB75_4
.LBB75_3:                               ;   in Loop: Header=BB75_4 Depth=1
	s_or_b64 exec, exec, s[8:9]
	s_add_i32 s7, s57, s7
	s_cmp_le_i32 s7, s52
	v_add_u32_e32 v44, s58, v44
	s_cbranch_scc0 .LBB75_64
.LBB75_4:                               ; =>This Loop Header: Depth=1
                                        ;     Child Loop BB75_7 Depth 2
	v_lshl_add_u32 v57, s7, 5, v1
	s_andn2_b64 vcc, exec, s[34:35]
	v_ashrrev_i32_e32 v58, 31, v57
	s_cbranch_vccnz .LBB75_55
; %bb.5:                                ;   in Loop: Header=BB75_4 Depth=1
	buffer_load_dword v50, off, s[60:63], 0 offset:8 ; 4-byte Folded Reload
	buffer_load_dword v51, off, s[60:63], 0 offset:12 ; 4-byte Folded Reload
	buffer_load_dword v52, off, s[60:63], 0 offset:16 ; 4-byte Folded Reload
	buffer_load_dword v53, off, s[60:63], 0 offset:20 ; 4-byte Folded Reload
	v_mov_b32_e32 v2, s22
	v_ashrrev_i32_e32 v45, 31, v44
	v_mov_b32_e32 v3, s23
	v_mad_u64_u32 v[46:47], s[8:9], s26, v44, v[2:3]
	v_lshlrev_b64 v[2:3], 3, v[44:45]
	v_mul_lo_u32 v4, s27, v44
	v_add_co_u32_e32 v6, vcc, 0x80, v2
	v_addc_co_u32_e32 v2, vcc, 0, v3, vcc
	v_mul_lo_u32 v7, s24, v2
	v_mov_b32_e32 v2, s20
	v_mov_b32_e32 v3, s21
	v_mul_lo_u32 v5, s26, v45
	v_mul_lo_u32 v8, s25, v6
	v_mad_u64_u32 v[48:49], s[8:9], s24, v6, v[2:3]
	v_mov_b32_e32 v3, s55
	v_sub_co_u32_e32 v2, vcc, s56, v57
	v_subb_co_u32_e32 v3, vcc, v3, v58, vcc
	v_cmp_lt_i64_e64 s[8:9], 0, v[2:3]
	v_cmp_lt_i64_e64 s[10:11], 16, v[2:3]
	v_add3_u32 v47, v4, v47, v5
	v_add3_u32 v49, v8, v49, v7
	s_mov_b64 s[28:29], 0
	v_mov_b32_e32 v14, 0
	v_mov_b32_e32 v15, 0
	;; [unrolled: 1-line block ×8, first 2 shown]
	s_branch .LBB75_7
.LBB75_6:                               ;   in Loop: Header=BB75_7 Depth=2
	s_or_b64 exec, exec, s[12:13]
	s_waitcnt lgkmcnt(0)
	s_barrier
	ds_read_b128 v[59:62], v55
	ds_read_b128 v[10:13], v55 offset:16
	ds_read_b128 v[6:9], v55 offset:32
	;; [unrolled: 1-line block ×3, first 2 shown]
	ds_read2_b64 v[26:29], v0 offset1:16
	v_add_co_u32_e32 v52, vcc, s42, v52
	s_add_u32 s28, s28, 32
	s_addc_u32 s29, s29, 0
	s_waitcnt lgkmcnt(0)
	v_mul_f32_e32 v45, v60, v27
	v_mul_f32_e32 v63, v59, v27
	v_fma_f32 v45, v59, v26, -v45
	v_fmac_f32_e32 v63, v60, v26
	v_add_f32_e32 v45, v20, v45
	v_add_f32_e32 v63, v21, v63
	v_mul_f32_e32 v20, v60, v29
	v_mul_f32_e32 v21, v59, v29
	v_fma_f32 v20, v59, v28, -v20
	v_fmac_f32_e32 v21, v60, v28
	v_add_f32_e32 v59, v18, v20
	v_add_f32_e32 v60, v19, v21
	ds_read_b128 v[18:21], v55 offset:4096
	s_cmp_ge_i32 s28, s6
	s_waitcnt lgkmcnt(0)
	v_mul_f32_e32 v30, v19, v27
	v_mul_f32_e32 v27, v18, v27
	v_fma_f32 v30, v18, v26, -v30
	v_fmac_f32_e32 v27, v19, v26
	v_add_f32_e32 v26, v16, v30
	v_add_f32_e32 v27, v17, v27
	v_mul_f32_e32 v16, v19, v29
	v_mul_f32_e32 v17, v18, v29
	v_fma_f32 v16, v18, v28, -v16
	v_fmac_f32_e32 v17, v19, v28
	v_add_f32_e32 v18, v15, v16
	v_add_f32_e32 v19, v14, v17
	ds_read2_b64 v[14:17], v0 offset0:32 offset1:48
	s_waitcnt lgkmcnt(0)
	v_mul_f32_e32 v28, v62, v15
	v_fma_f32 v28, v61, v14, -v28
	v_mul_f32_e32 v29, v61, v15
	v_add_f32_e32 v28, v45, v28
	v_mul_f32_e32 v45, v21, v15
	v_mul_f32_e32 v15, v20, v15
	;; [unrolled: 1-line block ×3, first 2 shown]
	v_fmac_f32_e32 v15, v21, v14
	v_fmac_f32_e32 v29, v62, v14
	v_fma_f32 v30, v61, v16, -v30
	v_mul_f32_e32 v31, v61, v17
	v_fma_f32 v45, v20, v14, -v45
	v_add_f32_e32 v61, v27, v15
	v_mul_f32_e32 v14, v21, v17
	v_mul_f32_e32 v15, v20, v17
	v_fma_f32 v14, v20, v16, -v14
	v_fmac_f32_e32 v15, v21, v16
	v_add_f32_e32 v29, v63, v29
	v_fmac_f32_e32 v31, v62, v16
	v_add_f32_e32 v62, v18, v14
	v_add_f32_e32 v63, v19, v15
	ds_read2_b64 v[14:17], v0 offset0:64 offset1:80
	v_add_f32_e32 v30, v59, v30
	v_add_f32_e32 v31, v60, v31
	;; [unrolled: 1-line block ×3, first 2 shown]
	s_waitcnt lgkmcnt(0)
	v_mul_f32_e32 v18, v11, v15
	v_mul_f32_e32 v19, v10, v15
	v_fma_f32 v18, v10, v14, -v18
	v_fmac_f32_e32 v19, v11, v14
	v_add_f32_e32 v45, v28, v18
	v_add_f32_e32 v59, v29, v19
	v_mul_f32_e32 v18, v11, v17
	v_mul_f32_e32 v19, v10, v17
	v_fma_f32 v18, v10, v16, -v18
	v_fmac_f32_e32 v19, v11, v16
	v_add_f32_e32 v10, v30, v18
	v_add_f32_e32 v11, v31, v19
	ds_read_b128 v[18:21], v55 offset:4112
	s_waitcnt lgkmcnt(0)
	v_mul_f32_e32 v26, v19, v15
	v_mul_f32_e32 v15, v18, v15
	v_fmac_f32_e32 v15, v19, v14
	v_fma_f32 v26, v18, v14, -v26
	v_add_f32_e32 v27, v61, v15
	v_mul_f32_e32 v14, v19, v17
	v_mul_f32_e32 v15, v18, v17
	v_fma_f32 v14, v18, v16, -v14
	v_fmac_f32_e32 v15, v19, v16
	v_add_f32_e32 v18, v62, v14
	v_add_f32_e32 v19, v63, v15
	ds_read2_b64 v[14:17], v0 offset0:96 offset1:112
	v_add_f32_e32 v26, v60, v26
	s_waitcnt lgkmcnt(0)
	v_mul_f32_e32 v28, v13, v15
	v_mul_f32_e32 v30, v13, v17
	v_fma_f32 v28, v12, v14, -v28
	v_mul_f32_e32 v29, v12, v15
	v_fma_f32 v30, v12, v16, -v30
	v_mul_f32_e32 v12, v12, v17
	v_fmac_f32_e32 v12, v13, v16
	v_add_f32_e32 v30, v10, v30
	v_add_f32_e32 v31, v11, v12
	v_mul_f32_e32 v10, v21, v15
	v_mul_f32_e32 v11, v20, v15
	v_fma_f32 v10, v20, v14, -v10
	v_fmac_f32_e32 v11, v21, v14
	v_fmac_f32_e32 v29, v13, v14
	v_add_f32_e32 v14, v26, v10
	v_add_f32_e32 v15, v27, v11
	v_mul_f32_e32 v10, v21, v17
	v_mul_f32_e32 v11, v20, v17
	v_fma_f32 v10, v20, v16, -v10
	v_fmac_f32_e32 v11, v21, v16
	v_add_f32_e32 v20, v18, v10
	v_add_f32_e32 v21, v19, v11
	ds_read2_b64 v[10:13], v0 offset0:128 offset1:144
	v_add_f32_e32 v28, v45, v28
	v_add_f32_e32 v29, v59, v29
	s_waitcnt lgkmcnt(0)
	v_mul_f32_e32 v16, v7, v11
	v_fma_f32 v16, v6, v10, -v16
	v_mul_f32_e32 v17, v6, v11
	v_add_f32_e32 v26, v28, v16
	v_mul_f32_e32 v16, v7, v13
	v_fmac_f32_e32 v17, v7, v10
	v_fma_f32 v16, v6, v12, -v16
	v_mul_f32_e32 v6, v6, v13
	v_add_f32_e32 v27, v29, v17
	v_fmac_f32_e32 v6, v7, v12
	v_add_f32_e32 v7, v30, v16
	ds_read_b128 v[16:19], v55 offset:4128
	v_add_f32_e32 v6, v31, v6
	s_waitcnt lgkmcnt(0)
	v_mul_f32_e32 v28, v17, v11
	v_mul_f32_e32 v11, v16, v11
	v_fmac_f32_e32 v11, v17, v10
	v_fma_f32 v28, v16, v10, -v28
	v_add_f32_e32 v15, v15, v11
	v_mul_f32_e32 v10, v17, v13
	v_mul_f32_e32 v11, v16, v13
	v_fma_f32 v10, v16, v12, -v10
	v_fmac_f32_e32 v11, v17, v12
	v_add_f32_e32 v20, v20, v10
	v_add_f32_e32 v21, v21, v11
	ds_read2_b64 v[10:13], v0 offset0:160 offset1:176
	v_add_f32_e32 v14, v14, v28
	s_waitcnt lgkmcnt(0)
	v_mul_f32_e32 v16, v9, v11
	v_fma_f32 v16, v8, v10, -v16
	v_add_f32_e32 v26, v26, v16
	v_mul_f32_e32 v16, v9, v13
	v_mul_f32_e32 v17, v8, v11
	v_fma_f32 v16, v8, v12, -v16
	v_mul_f32_e32 v8, v8, v13
	v_fmac_f32_e32 v8, v9, v12
	v_add_f32_e32 v28, v7, v16
	v_add_f32_e32 v29, v6, v8
	v_mul_f32_e32 v6, v19, v11
	v_mul_f32_e32 v7, v18, v11
	v_fmac_f32_e32 v17, v9, v10
	v_fma_f32 v6, v18, v10, -v6
	v_fmac_f32_e32 v7, v19, v10
	v_add_f32_e32 v27, v27, v17
	v_add_f32_e32 v16, v14, v6
	;; [unrolled: 1-line block ×3, first 2 shown]
	v_mul_f32_e32 v6, v19, v13
	v_mul_f32_e32 v7, v18, v13
	v_fma_f32 v6, v18, v12, -v6
	v_fmac_f32_e32 v7, v19, v12
	v_add_f32_e32 v18, v20, v6
	v_add_f32_e32 v19, v21, v7
	ds_read2_b64 v[6:9], v0 offset0:192 offset1:208
	s_waitcnt lgkmcnt(0)
	v_mul_f32_e32 v10, v3, v7
	v_mul_f32_e32 v11, v2, v7
	v_fma_f32 v10, v2, v6, -v10
	v_fmac_f32_e32 v11, v3, v6
	v_add_f32_e32 v14, v26, v10
	v_add_f32_e32 v15, v27, v11
	v_mul_f32_e32 v10, v3, v9
	v_mul_f32_e32 v11, v2, v9
	v_fma_f32 v10, v2, v8, -v10
	v_fmac_f32_e32 v11, v3, v8
	v_add_f32_e32 v2, v28, v10
	v_add_f32_e32 v3, v29, v11
	ds_read_b128 v[10:13], v55 offset:4144
	s_waitcnt lgkmcnt(0)
	v_mul_f32_e32 v20, v11, v7
	v_mul_f32_e32 v7, v10, v7
	v_fmac_f32_e32 v7, v11, v6
	v_fma_f32 v20, v10, v6, -v20
	v_add_f32_e32 v17, v17, v7
	v_mul_f32_e32 v6, v11, v9
	v_mul_f32_e32 v7, v10, v9
	v_fma_f32 v6, v10, v8, -v6
	v_fmac_f32_e32 v7, v11, v8
	v_add_f32_e32 v10, v18, v6
	v_add_f32_e32 v11, v19, v7
	ds_read2_b64 v[6:9], v0 offset0:224 offset1:240
	v_add_f32_e32 v16, v16, v20
	s_waitcnt lgkmcnt(0)
	v_mul_f32_e32 v18, v5, v7
	v_fma_f32 v18, v4, v6, -v18
	v_add_f32_e32 v18, v14, v18
	v_mul_f32_e32 v14, v5, v9
	v_mul_f32_e32 v19, v4, v7
	v_fma_f32 v14, v4, v8, -v14
	v_mul_f32_e32 v4, v4, v9
	v_fmac_f32_e32 v19, v5, v6
	v_fmac_f32_e32 v4, v5, v8
	v_add_f32_e32 v15, v15, v19
	v_add_f32_e32 v19, v2, v14
	;; [unrolled: 1-line block ×3, first 2 shown]
	v_mul_f32_e32 v2, v13, v7
	v_mul_f32_e32 v3, v12, v7
	v_fma_f32 v2, v12, v6, -v2
	v_fmac_f32_e32 v3, v13, v6
	v_add_f32_e32 v21, v16, v2
	v_add_f32_e32 v26, v17, v3
	v_mul_f32_e32 v2, v13, v9
	v_mul_f32_e32 v3, v12, v9
	v_fma_f32 v2, v12, v8, -v2
	v_fmac_f32_e32 v3, v13, v8
	v_add_u32_e32 v14, 0x800, v0
	v_add_f32_e32 v10, v10, v2
	v_add_f32_e32 v11, v11, v3
	ds_read_b128 v[2:5], v55 offset:64
	ds_read2_b64 v[6:9], v14 offset1:16
	s_waitcnt lgkmcnt(0)
	v_mul_f32_e32 v13, v2, v7
	v_fmac_f32_e32 v13, v3, v6
	v_mul_f32_e32 v12, v3, v7
	v_add_f32_e32 v13, v15, v13
	v_mul_f32_e32 v15, v3, v9
	v_fma_f32 v12, v2, v6, -v12
	v_fma_f32 v15, v2, v8, -v15
	v_mul_f32_e32 v2, v2, v9
	v_add_f32_e32 v12, v18, v12
	v_fmac_f32_e32 v2, v3, v8
	v_add_f32_e32 v3, v19, v15
	ds_read_b128 v[15:18], v55 offset:4160
	v_add_f32_e32 v2, v20, v2
	s_waitcnt lgkmcnt(0)
	v_mul_f32_e32 v19, v16, v7
	v_mul_f32_e32 v7, v15, v7
	v_fmac_f32_e32 v7, v16, v6
	v_fma_f32 v19, v15, v6, -v19
	v_add_f32_e32 v20, v26, v7
	v_mul_f32_e32 v6, v16, v9
	v_mul_f32_e32 v7, v15, v9
	v_fma_f32 v6, v15, v8, -v6
	v_fmac_f32_e32 v7, v16, v8
	v_add_f32_e32 v19, v21, v19
	v_add_f32_e32 v21, v10, v6
	;; [unrolled: 1-line block ×3, first 2 shown]
	ds_read2_b64 v[6:9], v14 offset0:32 offset1:48
	s_waitcnt lgkmcnt(0)
	v_mul_f32_e32 v10, v5, v7
	v_fma_f32 v10, v4, v6, -v10
	v_add_f32_e32 v10, v12, v10
	v_mul_f32_e32 v12, v5, v9
	v_mul_f32_e32 v11, v4, v7
	v_fma_f32 v12, v4, v8, -v12
	v_mul_f32_e32 v4, v4, v9
	v_fmac_f32_e32 v11, v5, v6
	v_fmac_f32_e32 v4, v5, v8
	v_add_f32_e32 v11, v13, v11
	v_add_f32_e32 v12, v3, v12
	;; [unrolled: 1-line block ×3, first 2 shown]
	v_mul_f32_e32 v2, v18, v7
	v_mul_f32_e32 v3, v17, v7
	v_fma_f32 v2, v17, v6, -v2
	v_fmac_f32_e32 v3, v18, v6
	v_add_f32_e32 v15, v19, v2
	v_add_f32_e32 v16, v20, v3
	v_mul_f32_e32 v2, v18, v9
	v_mul_f32_e32 v3, v17, v9
	v_fma_f32 v2, v17, v8, -v2
	v_fmac_f32_e32 v3, v18, v8
	v_add_f32_e32 v17, v21, v2
	v_add_f32_e32 v18, v26, v3
	ds_read_b128 v[2:5], v55 offset:80
	ds_read2_b64 v[6:9], v14 offset0:64 offset1:80
	s_waitcnt lgkmcnt(0)
	v_mul_f32_e32 v19, v3, v7
	v_mul_f32_e32 v20, v2, v7
	v_fma_f32 v19, v2, v6, -v19
	v_fmac_f32_e32 v20, v3, v6
	v_add_f32_e32 v19, v10, v19
	v_add_f32_e32 v20, v11, v20
	v_mul_f32_e32 v10, v3, v9
	v_mul_f32_e32 v11, v2, v9
	v_fma_f32 v10, v2, v8, -v10
	v_fmac_f32_e32 v11, v3, v8
	v_add_f32_e32 v2, v12, v10
	v_add_f32_e32 v3, v13, v11
	ds_read_b128 v[10:13], v55 offset:4176
	s_waitcnt lgkmcnt(0)
	v_mul_f32_e32 v21, v11, v7
	v_mul_f32_e32 v7, v10, v7
	v_fmac_f32_e32 v7, v11, v6
	v_fma_f32 v21, v10, v6, -v21
	v_add_f32_e32 v16, v16, v7
	v_mul_f32_e32 v6, v11, v9
	v_mul_f32_e32 v7, v10, v9
	v_fma_f32 v6, v10, v8, -v6
	v_fmac_f32_e32 v7, v11, v8
	v_add_f32_e32 v10, v17, v6
	v_add_f32_e32 v11, v18, v7
	ds_read2_b64 v[6:9], v14 offset0:96 offset1:112
	v_add_f32_e32 v15, v15, v21
	s_waitcnt lgkmcnt(0)
	v_mul_f32_e32 v17, v5, v7
	v_fma_f32 v17, v4, v6, -v17
	v_add_f32_e32 v17, v19, v17
	v_mul_f32_e32 v19, v5, v9
	v_mul_f32_e32 v18, v4, v7
	v_fma_f32 v19, v4, v8, -v19
	v_mul_f32_e32 v4, v4, v9
	v_fmac_f32_e32 v18, v5, v6
	v_fmac_f32_e32 v4, v5, v8
	v_add_f32_e32 v18, v20, v18
	v_add_f32_e32 v19, v2, v19
	;; [unrolled: 1-line block ×3, first 2 shown]
	v_mul_f32_e32 v2, v13, v7
	v_mul_f32_e32 v3, v12, v7
	v_fma_f32 v2, v12, v6, -v2
	v_fmac_f32_e32 v3, v13, v6
	v_add_f32_e32 v21, v15, v2
	v_add_f32_e32 v26, v16, v3
	v_mul_f32_e32 v2, v13, v9
	v_mul_f32_e32 v3, v12, v9
	v_fma_f32 v2, v12, v8, -v2
	v_fmac_f32_e32 v3, v13, v8
	v_add_f32_e32 v10, v10, v2
	v_add_f32_e32 v11, v11, v3
	ds_read_b128 v[2:5], v55 offset:96
	ds_read2_b64 v[6:9], v14 offset0:128 offset1:144
	s_waitcnt lgkmcnt(0)
	v_mul_f32_e32 v12, v3, v7
	v_mul_f32_e32 v13, v2, v7
	v_mul_f32_e32 v15, v3, v9
	v_fma_f32 v12, v2, v6, -v12
	v_fmac_f32_e32 v13, v3, v6
	v_fma_f32 v15, v2, v8, -v15
	v_mul_f32_e32 v2, v2, v9
	v_add_f32_e32 v12, v17, v12
	v_add_f32_e32 v13, v18, v13
	v_fmac_f32_e32 v2, v3, v8
	v_add_f32_e32 v3, v19, v15
	ds_read_b128 v[15:18], v55 offset:4192
	v_add_f32_e32 v2, v20, v2
	s_waitcnt lgkmcnt(0)
	v_mul_f32_e32 v19, v16, v7
	v_mul_f32_e32 v7, v15, v7
	v_fmac_f32_e32 v7, v16, v6
	v_fma_f32 v19, v15, v6, -v19
	v_add_f32_e32 v20, v26, v7
	v_mul_f32_e32 v6, v16, v9
	v_mul_f32_e32 v7, v15, v9
	v_fma_f32 v6, v15, v8, -v6
	v_fmac_f32_e32 v7, v16, v8
	v_add_f32_e32 v19, v21, v19
	v_add_f32_e32 v21, v10, v6
	;; [unrolled: 1-line block ×3, first 2 shown]
	ds_read2_b64 v[6:9], v14 offset0:160 offset1:176
	s_waitcnt lgkmcnt(0)
	v_mul_f32_e32 v10, v5, v7
	v_fma_f32 v10, v4, v6, -v10
	v_add_f32_e32 v10, v12, v10
	v_mul_f32_e32 v12, v5, v9
	v_mul_f32_e32 v11, v4, v7
	v_fma_f32 v12, v4, v8, -v12
	v_mul_f32_e32 v4, v4, v9
	v_fmac_f32_e32 v11, v5, v6
	v_fmac_f32_e32 v4, v5, v8
	v_add_f32_e32 v11, v13, v11
	v_add_f32_e32 v12, v3, v12
	;; [unrolled: 1-line block ×3, first 2 shown]
	v_mul_f32_e32 v2, v18, v7
	v_mul_f32_e32 v3, v17, v7
	v_fma_f32 v2, v17, v6, -v2
	v_fmac_f32_e32 v3, v18, v6
	v_add_f32_e32 v15, v19, v2
	v_add_f32_e32 v16, v20, v3
	v_mul_f32_e32 v2, v18, v9
	v_mul_f32_e32 v3, v17, v9
	v_fma_f32 v2, v17, v8, -v2
	v_fmac_f32_e32 v3, v18, v8
	v_add_f32_e32 v17, v21, v2
	v_add_f32_e32 v18, v26, v3
	ds_read_b128 v[2:5], v55 offset:112
	ds_read2_b64 v[6:9], v14 offset0:192 offset1:208
	s_waitcnt lgkmcnt(0)
	v_mul_f32_e32 v19, v3, v7
	v_mul_f32_e32 v20, v2, v7
	v_fma_f32 v19, v2, v6, -v19
	v_fmac_f32_e32 v20, v3, v6
	v_add_f32_e32 v19, v10, v19
	v_add_f32_e32 v20, v11, v20
	v_mul_f32_e32 v10, v3, v9
	v_mul_f32_e32 v11, v2, v9
	v_fma_f32 v10, v2, v8, -v10
	v_fmac_f32_e32 v11, v3, v8
	v_add_f32_e32 v2, v12, v10
	v_add_f32_e32 v3, v13, v11
	ds_read_b128 v[10:13], v55 offset:4208
	s_waitcnt lgkmcnt(0)
	v_mul_f32_e32 v21, v11, v7
	v_mul_f32_e32 v7, v10, v7
	v_fmac_f32_e32 v7, v11, v6
	v_fma_f32 v21, v10, v6, -v21
	v_add_f32_e32 v16, v16, v7
	v_mul_f32_e32 v6, v11, v9
	v_mul_f32_e32 v7, v10, v9
	v_fma_f32 v6, v10, v8, -v6
	v_fmac_f32_e32 v7, v11, v8
	v_add_f32_e32 v10, v17, v6
	v_add_f32_e32 v11, v18, v7
	ds_read2_b64 v[6:9], v14 offset0:224 offset1:240
	v_add_f32_e32 v15, v15, v21
	s_waitcnt lgkmcnt(0)
	v_mul_f32_e32 v14, v5, v7
	v_fma_f32 v14, v4, v6, -v14
	v_add_f32_e32 v18, v19, v14
	v_mul_f32_e32 v14, v5, v9
	v_mul_f32_e32 v17, v4, v7
	v_fma_f32 v14, v4, v8, -v14
	v_mul_f32_e32 v4, v4, v9
	v_fmac_f32_e32 v17, v5, v6
	v_fmac_f32_e32 v4, v5, v8
	v_add_f32_e32 v17, v20, v17
	v_add_f32_e32 v19, v2, v14
	;; [unrolled: 1-line block ×3, first 2 shown]
	v_mul_f32_e32 v2, v13, v7
	v_mul_f32_e32 v3, v12, v7
	v_fma_f32 v2, v12, v6, -v2
	v_fmac_f32_e32 v3, v13, v6
	v_add_f32_e32 v21, v15, v2
	v_add_f32_e32 v26, v16, v3
	v_mul_f32_e32 v2, v13, v9
	v_mul_f32_e32 v3, v12, v9
	v_fma_f32 v2, v12, v8, -v2
	v_fmac_f32_e32 v3, v13, v8
	v_add_u32_e32 v14, 0x1000, v0
	v_add_f32_e32 v10, v10, v2
	v_add_f32_e32 v11, v11, v3
	ds_read_b128 v[2:5], v55 offset:128
	ds_read2_b64 v[6:9], v14 offset1:16
	s_waitcnt lgkmcnt(0)
	v_mul_f32_e32 v12, v3, v7
	v_mul_f32_e32 v13, v2, v7
	;; [unrolled: 1-line block ×3, first 2 shown]
	v_fma_f32 v12, v2, v6, -v12
	v_fmac_f32_e32 v13, v3, v6
	v_fma_f32 v15, v2, v8, -v15
	v_mul_f32_e32 v2, v2, v9
	v_add_f32_e32 v12, v18, v12
	v_add_f32_e32 v13, v17, v13
	v_fmac_f32_e32 v2, v3, v8
	v_add_f32_e32 v3, v19, v15
	ds_read_b128 v[15:18], v55 offset:4224
	v_add_f32_e32 v2, v20, v2
	s_waitcnt lgkmcnt(0)
	v_mul_f32_e32 v19, v16, v7
	v_mul_f32_e32 v7, v15, v7
	v_fmac_f32_e32 v7, v16, v6
	v_fma_f32 v19, v15, v6, -v19
	v_add_f32_e32 v20, v26, v7
	v_mul_f32_e32 v6, v16, v9
	v_mul_f32_e32 v7, v15, v9
	v_fma_f32 v6, v15, v8, -v6
	v_fmac_f32_e32 v7, v16, v8
	v_add_f32_e32 v19, v21, v19
	v_add_f32_e32 v21, v10, v6
	;; [unrolled: 1-line block ×3, first 2 shown]
	ds_read2_b64 v[6:9], v14 offset0:32 offset1:48
	s_waitcnt lgkmcnt(0)
	v_mul_f32_e32 v10, v5, v7
	v_fma_f32 v10, v4, v6, -v10
	v_add_f32_e32 v10, v12, v10
	v_mul_f32_e32 v12, v5, v9
	v_mul_f32_e32 v11, v4, v7
	v_fma_f32 v12, v4, v8, -v12
	v_mul_f32_e32 v4, v4, v9
	v_fmac_f32_e32 v11, v5, v6
	v_fmac_f32_e32 v4, v5, v8
	v_add_f32_e32 v11, v13, v11
	v_add_f32_e32 v12, v3, v12
	;; [unrolled: 1-line block ×3, first 2 shown]
	v_mul_f32_e32 v2, v18, v7
	v_mul_f32_e32 v3, v17, v7
	v_fma_f32 v2, v17, v6, -v2
	v_fmac_f32_e32 v3, v18, v6
	v_add_f32_e32 v15, v19, v2
	v_add_f32_e32 v16, v20, v3
	v_mul_f32_e32 v2, v18, v9
	v_mul_f32_e32 v3, v17, v9
	v_fma_f32 v2, v17, v8, -v2
	v_fmac_f32_e32 v3, v18, v8
	v_add_f32_e32 v17, v21, v2
	v_add_f32_e32 v18, v26, v3
	ds_read_b128 v[2:5], v55 offset:144
	ds_read2_b64 v[6:9], v14 offset0:64 offset1:80
	s_waitcnt lgkmcnt(0)
	v_mul_f32_e32 v19, v3, v7
	v_mul_f32_e32 v20, v2, v7
	v_fma_f32 v19, v2, v6, -v19
	v_fmac_f32_e32 v20, v3, v6
	v_add_f32_e32 v19, v10, v19
	v_add_f32_e32 v20, v11, v20
	v_mul_f32_e32 v10, v3, v9
	v_mul_f32_e32 v11, v2, v9
	v_fma_f32 v10, v2, v8, -v10
	v_fmac_f32_e32 v11, v3, v8
	v_add_f32_e32 v2, v12, v10
	v_add_f32_e32 v3, v13, v11
	ds_read_b128 v[10:13], v55 offset:4240
	s_waitcnt lgkmcnt(0)
	v_mul_f32_e32 v21, v11, v7
	v_mul_f32_e32 v7, v10, v7
	v_fmac_f32_e32 v7, v11, v6
	v_fma_f32 v21, v10, v6, -v21
	v_add_f32_e32 v16, v16, v7
	v_mul_f32_e32 v6, v11, v9
	v_mul_f32_e32 v7, v10, v9
	v_fma_f32 v6, v10, v8, -v6
	v_fmac_f32_e32 v7, v11, v8
	v_add_f32_e32 v10, v17, v6
	v_add_f32_e32 v11, v18, v7
	ds_read2_b64 v[6:9], v14 offset0:96 offset1:112
	v_add_f32_e32 v15, v15, v21
	s_waitcnt lgkmcnt(0)
	v_mul_f32_e32 v17, v5, v7
	v_fma_f32 v17, v4, v6, -v17
	v_add_f32_e32 v17, v19, v17
	v_mul_f32_e32 v19, v5, v9
	v_mul_f32_e32 v18, v4, v7
	v_fma_f32 v19, v4, v8, -v19
	v_mul_f32_e32 v4, v4, v9
	v_fmac_f32_e32 v18, v5, v6
	v_fmac_f32_e32 v4, v5, v8
	v_add_f32_e32 v18, v20, v18
	v_add_f32_e32 v19, v2, v19
	;; [unrolled: 1-line block ×3, first 2 shown]
	v_mul_f32_e32 v2, v13, v7
	v_mul_f32_e32 v3, v12, v7
	v_fma_f32 v2, v12, v6, -v2
	v_fmac_f32_e32 v3, v13, v6
	v_add_f32_e32 v21, v15, v2
	v_add_f32_e32 v26, v16, v3
	v_mul_f32_e32 v2, v13, v9
	v_mul_f32_e32 v3, v12, v9
	v_fma_f32 v2, v12, v8, -v2
	v_fmac_f32_e32 v3, v13, v8
	v_add_f32_e32 v10, v10, v2
	v_add_f32_e32 v11, v11, v3
	ds_read_b128 v[2:5], v55 offset:160
	ds_read2_b64 v[6:9], v14 offset0:128 offset1:144
	s_waitcnt lgkmcnt(0)
	v_mul_f32_e32 v12, v3, v7
	v_mul_f32_e32 v13, v2, v7
	;; [unrolled: 1-line block ×3, first 2 shown]
	v_fma_f32 v12, v2, v6, -v12
	v_fmac_f32_e32 v13, v3, v6
	v_fma_f32 v15, v2, v8, -v15
	v_mul_f32_e32 v2, v2, v9
	v_add_f32_e32 v12, v17, v12
	v_add_f32_e32 v13, v18, v13
	v_fmac_f32_e32 v2, v3, v8
	v_add_f32_e32 v3, v19, v15
	ds_read_b128 v[15:18], v55 offset:4256
	v_add_f32_e32 v2, v20, v2
	s_waitcnt lgkmcnt(0)
	v_mul_f32_e32 v19, v16, v7
	v_mul_f32_e32 v7, v15, v7
	v_fmac_f32_e32 v7, v16, v6
	v_fma_f32 v19, v15, v6, -v19
	v_add_f32_e32 v20, v26, v7
	v_mul_f32_e32 v6, v16, v9
	v_mul_f32_e32 v7, v15, v9
	v_fma_f32 v6, v15, v8, -v6
	v_fmac_f32_e32 v7, v16, v8
	v_add_f32_e32 v19, v21, v19
	v_add_f32_e32 v21, v10, v6
	v_add_f32_e32 v26, v11, v7
	ds_read2_b64 v[6:9], v14 offset0:160 offset1:176
	s_waitcnt lgkmcnt(0)
	v_mul_f32_e32 v10, v5, v7
	v_fma_f32 v10, v4, v6, -v10
	v_add_f32_e32 v10, v12, v10
	v_mul_f32_e32 v12, v5, v9
	v_mul_f32_e32 v11, v4, v7
	v_fma_f32 v12, v4, v8, -v12
	v_mul_f32_e32 v4, v4, v9
	v_fmac_f32_e32 v11, v5, v6
	v_fmac_f32_e32 v4, v5, v8
	v_add_f32_e32 v11, v13, v11
	v_add_f32_e32 v12, v3, v12
	;; [unrolled: 1-line block ×3, first 2 shown]
	v_mul_f32_e32 v2, v18, v7
	v_mul_f32_e32 v3, v17, v7
	v_fma_f32 v2, v17, v6, -v2
	v_fmac_f32_e32 v3, v18, v6
	v_add_f32_e32 v15, v19, v2
	v_add_f32_e32 v16, v20, v3
	v_mul_f32_e32 v2, v18, v9
	v_mul_f32_e32 v3, v17, v9
	v_fma_f32 v2, v17, v8, -v2
	v_fmac_f32_e32 v3, v18, v8
	v_add_f32_e32 v17, v21, v2
	v_add_f32_e32 v18, v26, v3
	ds_read_b128 v[2:5], v55 offset:176
	ds_read2_b64 v[6:9], v14 offset0:192 offset1:208
	s_waitcnt lgkmcnt(0)
	v_mul_f32_e32 v19, v3, v7
	v_mul_f32_e32 v20, v2, v7
	v_fma_f32 v19, v2, v6, -v19
	v_fmac_f32_e32 v20, v3, v6
	v_add_f32_e32 v19, v10, v19
	v_add_f32_e32 v20, v11, v20
	v_mul_f32_e32 v10, v3, v9
	v_mul_f32_e32 v11, v2, v9
	v_fma_f32 v10, v2, v8, -v10
	v_fmac_f32_e32 v11, v3, v8
	v_add_f32_e32 v2, v12, v10
	v_add_f32_e32 v3, v13, v11
	ds_read_b128 v[10:13], v55 offset:4272
	s_waitcnt lgkmcnt(0)
	v_mul_f32_e32 v21, v11, v7
	v_mul_f32_e32 v7, v10, v7
	v_fmac_f32_e32 v7, v11, v6
	v_fma_f32 v21, v10, v6, -v21
	v_add_f32_e32 v16, v16, v7
	v_mul_f32_e32 v6, v11, v9
	v_mul_f32_e32 v7, v10, v9
	v_fma_f32 v6, v10, v8, -v6
	v_fmac_f32_e32 v7, v11, v8
	v_add_f32_e32 v10, v17, v6
	v_add_f32_e32 v11, v18, v7
	ds_read2_b64 v[6:9], v14 offset0:224 offset1:240
	v_add_f32_e32 v15, v15, v21
	s_waitcnt lgkmcnt(0)
	v_mul_f32_e32 v14, v5, v7
	v_fma_f32 v14, v4, v6, -v14
	v_add_f32_e32 v18, v19, v14
	v_mul_f32_e32 v14, v5, v9
	v_mul_f32_e32 v17, v4, v7
	v_fma_f32 v14, v4, v8, -v14
	v_mul_f32_e32 v4, v4, v9
	v_fmac_f32_e32 v17, v5, v6
	v_fmac_f32_e32 v4, v5, v8
	v_add_f32_e32 v17, v20, v17
	v_add_f32_e32 v19, v2, v14
	;; [unrolled: 1-line block ×3, first 2 shown]
	v_mul_f32_e32 v2, v13, v7
	v_mul_f32_e32 v3, v12, v7
	v_fma_f32 v2, v12, v6, -v2
	v_fmac_f32_e32 v3, v13, v6
	v_add_f32_e32 v21, v15, v2
	v_add_f32_e32 v26, v16, v3
	v_mul_f32_e32 v2, v13, v9
	v_mul_f32_e32 v3, v12, v9
	v_fma_f32 v2, v12, v8, -v2
	v_fmac_f32_e32 v3, v13, v8
	v_add_u32_e32 v14, 0x1800, v0
	v_add_f32_e32 v10, v10, v2
	v_add_f32_e32 v11, v11, v3
	ds_read_b128 v[2:5], v55 offset:192
	ds_read2_b64 v[6:9], v14 offset1:16
	s_waitcnt lgkmcnt(0)
	v_mul_f32_e32 v12, v3, v7
	v_mul_f32_e32 v13, v2, v7
	;; [unrolled: 1-line block ×3, first 2 shown]
	v_fma_f32 v12, v2, v6, -v12
	v_fmac_f32_e32 v13, v3, v6
	v_fma_f32 v15, v2, v8, -v15
	v_mul_f32_e32 v2, v2, v9
	v_add_f32_e32 v12, v18, v12
	v_add_f32_e32 v13, v17, v13
	v_fmac_f32_e32 v2, v3, v8
	v_add_f32_e32 v3, v19, v15
	ds_read_b128 v[15:18], v55 offset:4288
	v_add_f32_e32 v2, v20, v2
	s_waitcnt lgkmcnt(0)
	v_mul_f32_e32 v19, v16, v7
	v_mul_f32_e32 v7, v15, v7
	v_fmac_f32_e32 v7, v16, v6
	v_fma_f32 v19, v15, v6, -v19
	v_add_f32_e32 v20, v26, v7
	v_mul_f32_e32 v6, v16, v9
	v_mul_f32_e32 v7, v15, v9
	v_fma_f32 v6, v15, v8, -v6
	v_fmac_f32_e32 v7, v16, v8
	v_add_f32_e32 v19, v21, v19
	v_add_f32_e32 v21, v10, v6
	;; [unrolled: 1-line block ×3, first 2 shown]
	ds_read2_b64 v[6:9], v14 offset0:32 offset1:48
	s_waitcnt lgkmcnt(0)
	v_mul_f32_e32 v10, v5, v7
	v_fma_f32 v10, v4, v6, -v10
	v_add_f32_e32 v10, v12, v10
	v_mul_f32_e32 v12, v5, v9
	v_mul_f32_e32 v11, v4, v7
	v_fma_f32 v12, v4, v8, -v12
	v_mul_f32_e32 v4, v4, v9
	v_fmac_f32_e32 v11, v5, v6
	v_fmac_f32_e32 v4, v5, v8
	v_add_f32_e32 v11, v13, v11
	v_add_f32_e32 v12, v3, v12
	;; [unrolled: 1-line block ×3, first 2 shown]
	v_mul_f32_e32 v2, v18, v7
	v_mul_f32_e32 v3, v17, v7
	v_fma_f32 v2, v17, v6, -v2
	v_fmac_f32_e32 v3, v18, v6
	v_add_f32_e32 v15, v19, v2
	v_add_f32_e32 v16, v20, v3
	v_mul_f32_e32 v2, v18, v9
	v_mul_f32_e32 v3, v17, v9
	v_fma_f32 v2, v17, v8, -v2
	v_fmac_f32_e32 v3, v18, v8
	v_add_f32_e32 v17, v21, v2
	v_add_f32_e32 v18, v26, v3
	ds_read_b128 v[2:5], v55 offset:208
	ds_read2_b64 v[6:9], v14 offset0:64 offset1:80
	s_waitcnt lgkmcnt(0)
	v_mul_f32_e32 v19, v3, v7
	v_mul_f32_e32 v20, v2, v7
	v_fma_f32 v19, v2, v6, -v19
	v_fmac_f32_e32 v20, v3, v6
	v_add_f32_e32 v19, v10, v19
	v_add_f32_e32 v20, v11, v20
	v_mul_f32_e32 v10, v3, v9
	v_mul_f32_e32 v11, v2, v9
	v_fma_f32 v10, v2, v8, -v10
	v_fmac_f32_e32 v11, v3, v8
	v_add_f32_e32 v2, v12, v10
	v_add_f32_e32 v3, v13, v11
	ds_read_b128 v[10:13], v55 offset:4304
	s_waitcnt lgkmcnt(0)
	v_mul_f32_e32 v21, v11, v7
	v_mul_f32_e32 v7, v10, v7
	v_fmac_f32_e32 v7, v11, v6
	v_fma_f32 v21, v10, v6, -v21
	v_add_f32_e32 v16, v16, v7
	v_mul_f32_e32 v6, v11, v9
	v_mul_f32_e32 v7, v10, v9
	v_fma_f32 v6, v10, v8, -v6
	v_fmac_f32_e32 v7, v11, v8
	v_add_f32_e32 v10, v17, v6
	v_add_f32_e32 v11, v18, v7
	ds_read2_b64 v[6:9], v14 offset0:96 offset1:112
	v_add_f32_e32 v15, v15, v21
	s_waitcnt lgkmcnt(0)
	v_mul_f32_e32 v17, v5, v7
	v_fma_f32 v17, v4, v6, -v17
	v_add_f32_e32 v17, v19, v17
	v_mul_f32_e32 v19, v5, v9
	v_mul_f32_e32 v18, v4, v7
	v_fma_f32 v19, v4, v8, -v19
	v_mul_f32_e32 v4, v4, v9
	v_fmac_f32_e32 v18, v5, v6
	v_fmac_f32_e32 v4, v5, v8
	v_add_f32_e32 v18, v20, v18
	v_add_f32_e32 v19, v2, v19
	;; [unrolled: 1-line block ×3, first 2 shown]
	v_mul_f32_e32 v2, v13, v7
	v_mul_f32_e32 v3, v12, v7
	v_fma_f32 v2, v12, v6, -v2
	v_fmac_f32_e32 v3, v13, v6
	v_add_f32_e32 v21, v15, v2
	v_add_f32_e32 v26, v16, v3
	v_mul_f32_e32 v2, v13, v9
	v_mul_f32_e32 v3, v12, v9
	v_fma_f32 v2, v12, v8, -v2
	v_fmac_f32_e32 v3, v13, v8
	v_add_f32_e32 v10, v10, v2
	v_add_f32_e32 v11, v11, v3
	ds_read_b128 v[2:5], v55 offset:224
	ds_read2_b64 v[6:9], v14 offset0:128 offset1:144
	s_waitcnt lgkmcnt(0)
	v_mul_f32_e32 v12, v3, v7
	v_mul_f32_e32 v13, v2, v7
	;; [unrolled: 1-line block ×3, first 2 shown]
	v_fma_f32 v12, v2, v6, -v12
	v_fmac_f32_e32 v13, v3, v6
	v_fma_f32 v15, v2, v8, -v15
	v_mul_f32_e32 v2, v2, v9
	v_add_f32_e32 v12, v17, v12
	v_add_f32_e32 v13, v18, v13
	v_fmac_f32_e32 v2, v3, v8
	v_add_f32_e32 v3, v19, v15
	ds_read_b128 v[15:18], v55 offset:4320
	v_add_f32_e32 v2, v20, v2
	s_waitcnt lgkmcnt(0)
	v_mul_f32_e32 v19, v16, v7
	v_mul_f32_e32 v7, v15, v7
	v_fmac_f32_e32 v7, v16, v6
	v_fma_f32 v19, v15, v6, -v19
	v_add_f32_e32 v20, v26, v7
	v_mul_f32_e32 v6, v16, v9
	v_mul_f32_e32 v7, v15, v9
	v_fma_f32 v6, v15, v8, -v6
	v_fmac_f32_e32 v7, v16, v8
	v_add_f32_e32 v19, v21, v19
	v_add_f32_e32 v21, v10, v6
	;; [unrolled: 1-line block ×3, first 2 shown]
	ds_read2_b64 v[6:9], v14 offset0:160 offset1:176
	s_waitcnt lgkmcnt(0)
	v_mul_f32_e32 v10, v5, v7
	v_fma_f32 v10, v4, v6, -v10
	v_add_f32_e32 v10, v12, v10
	v_mul_f32_e32 v12, v5, v9
	v_mul_f32_e32 v11, v4, v7
	v_fma_f32 v12, v4, v8, -v12
	v_mul_f32_e32 v4, v4, v9
	v_fmac_f32_e32 v11, v5, v6
	v_fmac_f32_e32 v4, v5, v8
	v_add_f32_e32 v11, v13, v11
	v_add_f32_e32 v12, v3, v12
	;; [unrolled: 1-line block ×3, first 2 shown]
	v_mul_f32_e32 v2, v18, v7
	v_mul_f32_e32 v3, v17, v7
	v_fma_f32 v2, v17, v6, -v2
	v_fmac_f32_e32 v3, v18, v6
	v_add_f32_e32 v15, v19, v2
	v_add_f32_e32 v16, v20, v3
	v_mul_f32_e32 v2, v18, v9
	v_mul_f32_e32 v3, v17, v9
	v_fma_f32 v2, v17, v8, -v2
	v_fmac_f32_e32 v3, v18, v8
	v_add_f32_e32 v17, v21, v2
	v_add_f32_e32 v18, v26, v3
	ds_read_b128 v[2:5], v55 offset:240
	ds_read2_b64 v[6:9], v14 offset0:192 offset1:208
	s_waitcnt lgkmcnt(0)
	v_mul_f32_e32 v19, v3, v7
	v_mul_f32_e32 v20, v2, v7
	v_fma_f32 v19, v2, v6, -v19
	v_fmac_f32_e32 v20, v3, v6
	v_add_f32_e32 v19, v10, v19
	v_add_f32_e32 v21, v11, v20
	v_mul_f32_e32 v10, v3, v9
	v_mul_f32_e32 v11, v2, v9
	v_fma_f32 v10, v2, v8, -v10
	v_fmac_f32_e32 v11, v3, v8
	v_add_f32_e32 v2, v12, v10
	v_add_f32_e32 v3, v13, v11
	ds_read_b128 v[10:13], v55 offset:4336
	s_waitcnt lgkmcnt(0)
	v_mul_f32_e32 v20, v11, v7
	v_mul_f32_e32 v7, v10, v7
	v_fmac_f32_e32 v7, v11, v6
	v_fma_f32 v20, v10, v6, -v20
	v_add_f32_e32 v26, v16, v7
	v_mul_f32_e32 v6, v11, v9
	v_mul_f32_e32 v7, v10, v9
	v_fma_f32 v6, v10, v8, -v6
	v_fmac_f32_e32 v7, v11, v8
	v_add_f32_e32 v10, v17, v6
	v_add_f32_e32 v11, v18, v7
	ds_read2_b64 v[6:9], v14 offset0:224 offset1:240
	v_add_f32_e32 v15, v15, v20
	s_waitcnt lgkmcnt(0)
	s_barrier
	v_mul_f32_e32 v14, v5, v7
	v_fma_f32 v14, v4, v6, -v14
	v_add_f32_e32 v20, v19, v14
	v_mul_f32_e32 v14, v5, v9
	v_fma_f32 v14, v4, v8, -v14
	v_mul_f32_e32 v16, v4, v7
	v_add_f32_e32 v18, v2, v14
	v_mul_f32_e32 v2, v13, v7
	v_fmac_f32_e32 v16, v5, v6
	v_fma_f32 v2, v12, v6, -v2
	v_add_f32_e32 v21, v21, v16
	v_add_f32_e32 v16, v15, v2
	v_mul_f32_e32 v2, v13, v9
	v_fma_f32 v2, v12, v8, -v2
	v_add_f32_e32 v15, v10, v2
	v_mov_b32_e32 v2, s43
	v_mul_f32_e32 v4, v4, v9
	v_addc_co_u32_e32 v53, vcc, v53, v2, vcc
	v_fmac_f32_e32 v4, v5, v8
	v_add_co_u32_e32 v46, vcc, s59, v46
	v_add_f32_e32 v19, v3, v4
	v_mul_f32_e32 v3, v12, v7
	v_addc_co_u32_e32 v47, vcc, 0, v47, vcc
	v_fmac_f32_e32 v3, v13, v6
	v_add_co_u32_e32 v50, vcc, s42, v50
	v_add_f32_e32 v17, v26, v3
	;; [unrolled: 5-line block ×3, first 2 shown]
	v_addc_co_u32_e32 v49, vcc, 0, v49, vcc
	s_cbranch_scc1 .LBB75_56
.LBB75_7:                               ;   Parent Loop BB75_4 Depth=1
                                        ; =>  This Inner Loop Header: Depth=2
	v_mov_b32_e32 v3, s29
	v_add_co_u32_e32 v2, vcc, s28, v22
	v_addc_co_u32_e32 v3, vcc, v23, v3, vcc
	s_waitcnt vmcnt(3)
	v_add_co_u32_e32 v4, vcc, v50, v40
	s_waitcnt vmcnt(2)
	v_addc_co_u32_e32 v5, vcc, v51, v41, vcc
	v_cmp_le_i64_e64 s[12:13], s[38:39], v[2:3]
	v_cmp_eq_u64_e64 s[16:17], s[28:29], v[32:33]
	v_cmp_lt_i64_e32 vcc, v[2:3], v[24:25]
	s_and_b64 s[48:49], s[36:37], s[16:17]
	s_or_b64 s[16:17], s[12:13], vcc
	s_or_b64 s[16:17], s[16:17], s[48:49]
	s_nor_b64 s[16:17], s[0:1], s[16:17]
	s_and_saveexec_b64 s[18:19], s[16:17]
	s_xor_b64 s[16:17], exec, s[18:19]
	s_cbranch_execz .LBB75_9
; %bb.8:                                ;   in Loop: Header=BB75_7 Depth=2
	global_load_dwordx2 v[6:7], v[4:5], off
	s_waitcnt vmcnt(0)
	ds_write_b64 v54, v[6:7]
.LBB75_9:                               ;   in Loop: Header=BB75_7 Depth=2
	s_or_saveexec_b64 s[16:17], s[16:17]
	s_xor_b64 s[46:47], s[48:49], -1
	s_xor_b64 exec, exec, s[16:17]
	s_cbranch_execz .LBB75_15
; %bb.10:                               ;   in Loop: Header=BB75_7 Depth=2
	s_and_saveexec_b64 s[18:19], s[46:47]
	s_xor_b64 s[18:19], exec, s[18:19]
; %bb.11:                               ;   in Loop: Header=BB75_7 Depth=2
	v_mov_b32_e32 v6, v43
	v_mov_b32_e32 v7, v43
	ds_write_b64 v54, v[6:7]
; %bb.12:                               ;   in Loop: Header=BB75_7 Depth=2
	s_andn2_saveexec_b64 s[18:19], s[18:19]
; %bb.13:                               ;   in Loop: Header=BB75_7 Depth=2
	ds_write_b64 v54, v[42:43]
; %bb.14:                               ;   in Loop: Header=BB75_7 Depth=2
	s_or_b64 exec, exec, s[18:19]
.LBB75_15:                              ;   in Loop: Header=BB75_7 Depth=2
	s_or_b64 exec, exec, s[16:17]
	v_cmp_eq_u64_e64 s[16:17], s[28:29], v[34:35]
	v_cmp_gt_i64_e64 s[18:19], v[36:37], v[2:3]
	s_and_b64 s[16:17], s[36:37], s[16:17]
	s_or_b64 s[12:13], s[12:13], s[18:19]
	s_or_b64 s[12:13], s[12:13], s[16:17]
	s_nor_b64 s[12:13], s[2:3], s[12:13]
	s_and_saveexec_b64 s[18:19], s[12:13]
	s_xor_b64 s[12:13], exec, s[18:19]
	s_cbranch_execz .LBB75_17
; %bb.16:                               ;   in Loop: Header=BB75_7 Depth=2
	global_load_dwordx2 v[4:5], v[4:5], off offset:128
	s_waitcnt vmcnt(0)
	ds_write_b64 v54, v[4:5] offset:128
.LBB75_17:                              ;   in Loop: Header=BB75_7 Depth=2
	s_andn2_saveexec_b64 s[12:13], s[12:13]
	s_cbranch_execz .LBB75_23
; %bb.18:                               ;   in Loop: Header=BB75_7 Depth=2
	s_xor_b64 s[16:17], s[16:17], -1
	s_and_saveexec_b64 s[18:19], s[16:17]
	s_xor_b64 s[16:17], exec, s[18:19]
; %bb.19:                               ;   in Loop: Header=BB75_7 Depth=2
	v_mov_b32_e32 v4, v43
	v_mov_b32_e32 v5, v43
	ds_write_b64 v54, v[4:5] offset:128
; %bb.20:                               ;   in Loop: Header=BB75_7 Depth=2
	s_andn2_saveexec_b64 s[16:17], s[16:17]
; %bb.21:                               ;   in Loop: Header=BB75_7 Depth=2
	ds_write_b64 v54, v[42:43] offset:128
; %bb.22:                               ;   in Loop: Header=BB75_7 Depth=2
	s_or_b64 exec, exec, s[16:17]
.LBB75_23:                              ;   in Loop: Header=BB75_7 Depth=2
	s_or_b64 exec, exec, s[12:13]
	v_add_co_u32_e64 v4, s[12:13], 16, v2
	s_waitcnt vmcnt(1)
	v_add_co_u32_e64 v2, s[16:17], v52, v40
	v_addc_co_u32_e64 v5, s[12:13], 0, v3, s[12:13]
	s_waitcnt vmcnt(0)
	v_addc_co_u32_e64 v3, s[16:17], v53, v41, s[16:17]
	v_cmp_le_i64_e64 s[12:13], s[38:39], v[4:5]
	v_cmp_eq_u64_e64 s[16:17], s[28:29], v[38:39]
	v_cmp_lt_i64_e64 s[18:19], v[4:5], v[24:25]
	s_and_b64 s[50:51], s[36:37], s[16:17]
	s_or_b64 s[16:17], s[12:13], s[18:19]
	s_or_b64 s[16:17], s[16:17], s[50:51]
	s_nor_b64 s[16:17], s[0:1], s[16:17]
	s_and_saveexec_b64 s[18:19], s[16:17]
	s_xor_b64 s[16:17], exec, s[18:19]
	s_cbranch_execz .LBB75_25
; %bb.24:                               ;   in Loop: Header=BB75_7 Depth=2
	global_load_dwordx2 v[4:5], v[2:3], off
	s_waitcnt vmcnt(0)
	ds_write_b64 v54, v[4:5] offset:4096
.LBB75_25:                              ;   in Loop: Header=BB75_7 Depth=2
	s_andn2_saveexec_b64 s[16:17], s[16:17]
	s_cbranch_execz .LBB75_31
; %bb.26:                               ;   in Loop: Header=BB75_7 Depth=2
	s_xor_b64 s[18:19], s[50:51], -1
	s_and_saveexec_b64 s[50:51], s[18:19]
	s_xor_b64 s[18:19], exec, s[50:51]
; %bb.27:                               ;   in Loop: Header=BB75_7 Depth=2
	v_mov_b32_e32 v4, v43
	v_mov_b32_e32 v5, v43
	ds_write_b64 v54, v[4:5] offset:4096
; %bb.28:                               ;   in Loop: Header=BB75_7 Depth=2
	s_andn2_saveexec_b64 s[18:19], s[18:19]
; %bb.29:                               ;   in Loop: Header=BB75_7 Depth=2
	ds_write_b64 v54, v[42:43] offset:4096
; %bb.30:                               ;   in Loop: Header=BB75_7 Depth=2
	s_or_b64 exec, exec, s[18:19]
.LBB75_31:                              ;   in Loop: Header=BB75_7 Depth=2
	s_or_b64 exec, exec, s[16:17]
	s_or_b64 s[12:13], s[12:13], vcc
	s_or_b64 s[12:13], s[12:13], s[48:49]
	s_nor_b64 s[12:13], s[2:3], s[12:13]
	s_and_saveexec_b64 s[16:17], s[12:13]
	s_xor_b64 s[12:13], exec, s[16:17]
	s_cbranch_execz .LBB75_33
; %bb.32:                               ;   in Loop: Header=BB75_7 Depth=2
	global_load_dwordx2 v[2:3], v[2:3], off offset:128
	s_waitcnt vmcnt(0)
	ds_write_b64 v54, v[2:3] offset:4224
.LBB75_33:                              ;   in Loop: Header=BB75_7 Depth=2
	s_andn2_saveexec_b64 s[12:13], s[12:13]
	s_cbranch_execz .LBB75_39
; %bb.34:                               ;   in Loop: Header=BB75_7 Depth=2
	s_and_saveexec_b64 s[16:17], s[46:47]
	s_xor_b64 s[16:17], exec, s[16:17]
; %bb.35:                               ;   in Loop: Header=BB75_7 Depth=2
	v_mov_b32_e32 v2, v43
	v_mov_b32_e32 v3, v43
	ds_write_b64 v54, v[2:3] offset:4224
; %bb.36:                               ;   in Loop: Header=BB75_7 Depth=2
	s_andn2_saveexec_b64 s[16:17], s[16:17]
; %bb.37:                               ;   in Loop: Header=BB75_7 Depth=2
	ds_write_b64 v54, v[42:43] offset:4224
; %bb.38:                               ;   in Loop: Header=BB75_7 Depth=2
	s_or_b64 exec, exec, s[16:17]
.LBB75_39:                              ;   in Loop: Header=BB75_7 Depth=2
	s_or_b64 exec, exec, s[12:13]
	v_mov_b32_e32 v3, s29
	v_add_co_u32_e32 v2, vcc, s28, v24
	v_addc_co_u32_e32 v3, vcc, v25, v3, vcc
	v_cmp_gt_i64_e32 vcc, s[38:39], v[2:3]
	s_and_b64 s[12:13], s[8:9], vcc
	s_xor_b64 s[12:13], s[12:13], -1
	s_and_saveexec_b64 s[16:17], s[12:13]
	s_xor_b64 s[12:13], exec, s[16:17]
; %bb.40:                               ;   in Loop: Header=BB75_7 Depth=2
	v_mov_b32_e32 v4, v43
	v_mov_b32_e32 v5, v43
	ds_write_b64 v56, v[4:5]
; %bb.41:                               ;   in Loop: Header=BB75_7 Depth=2
	s_or_saveexec_b64 s[16:17], s[12:13]
	v_add_co_u32_e64 v4, s[12:13], v46, v40
	v_addc_co_u32_e64 v5, s[12:13], v47, v41, s[12:13]
	s_xor_b64 exec, exec, s[16:17]
	s_cbranch_execz .LBB75_43
; %bb.42:                               ;   in Loop: Header=BB75_7 Depth=2
	global_load_dwordx2 v[6:7], v[4:5], off offset:-128
	s_waitcnt vmcnt(0)
	ds_write_b64 v56, v[6:7]
.LBB75_43:                              ;   in Loop: Header=BB75_7 Depth=2
	s_or_b64 exec, exec, s[16:17]
	v_cmp_gt_i64_e64 s[12:13], s[44:45], v[2:3]
	s_and_b64 s[16:17], s[8:9], s[12:13]
	s_xor_b64 s[16:17], s[16:17], -1
	s_and_saveexec_b64 s[18:19], s[16:17]
	s_xor_b64 s[16:17], exec, s[18:19]
; %bb.44:                               ;   in Loop: Header=BB75_7 Depth=2
	v_mov_b32_e32 v2, v43
	v_mov_b32_e32 v3, v43
	ds_write_b64 v56, v[2:3] offset:128
                                        ; implicit-def: $vgpr4_vgpr5
; %bb.45:                               ;   in Loop: Header=BB75_7 Depth=2
	s_andn2_saveexec_b64 s[16:17], s[16:17]
	s_cbranch_execz .LBB75_47
; %bb.46:                               ;   in Loop: Header=BB75_7 Depth=2
	global_load_dwordx2 v[2:3], v[4:5], off
	s_waitcnt vmcnt(0)
	ds_write_b64 v56, v[2:3] offset:128
.LBB75_47:                              ;   in Loop: Header=BB75_7 Depth=2
	s_or_b64 exec, exec, s[16:17]
	s_and_b64 s[16:17], s[10:11], vcc
	s_xor_b64 s[16:17], s[16:17], -1
	s_and_saveexec_b64 s[18:19], s[16:17]
	s_xor_b64 s[16:17], exec, s[18:19]
; %bb.48:                               ;   in Loop: Header=BB75_7 Depth=2
	v_mov_b32_e32 v2, v43
	v_mov_b32_e32 v3, v43
	ds_write_b64 v56, v[2:3] offset:4096
; %bb.49:                               ;   in Loop: Header=BB75_7 Depth=2
	s_or_saveexec_b64 s[16:17], s[16:17]
	v_add_co_u32_e32 v2, vcc, v48, v40
	v_addc_co_u32_e32 v3, vcc, v49, v41, vcc
	s_xor_b64 exec, exec, s[16:17]
	s_cbranch_execz .LBB75_51
; %bb.50:                               ;   in Loop: Header=BB75_7 Depth=2
	global_load_dwordx2 v[4:5], v[2:3], off
	s_waitcnt vmcnt(0)
	ds_write_b64 v56, v[4:5] offset:4096
.LBB75_51:                              ;   in Loop: Header=BB75_7 Depth=2
	s_or_b64 exec, exec, s[16:17]
	s_and_b64 s[12:13], s[10:11], s[12:13]
	s_xor_b64 s[12:13], s[12:13], -1
	s_and_saveexec_b64 s[16:17], s[12:13]
	s_xor_b64 s[12:13], exec, s[16:17]
; %bb.52:                               ;   in Loop: Header=BB75_7 Depth=2
	v_mov_b32_e32 v2, v43
	v_mov_b32_e32 v3, v43
	ds_write_b64 v56, v[2:3] offset:4224
                                        ; implicit-def: $vgpr2_vgpr3
; %bb.53:                               ;   in Loop: Header=BB75_7 Depth=2
	s_andn2_saveexec_b64 s[12:13], s[12:13]
	s_cbranch_execz .LBB75_6
; %bb.54:                               ;   in Loop: Header=BB75_7 Depth=2
	global_load_dwordx2 v[2:3], v[2:3], off offset:128
	s_waitcnt vmcnt(0)
	ds_write_b64 v56, v[2:3] offset:4224
	s_branch .LBB75_6
.LBB75_55:                              ;   in Loop: Header=BB75_4 Depth=1
	v_mov_b32_e32 v20, 0
	v_mov_b32_e32 v21, 0
	;; [unrolled: 1-line block ×8, first 2 shown]
.LBB75_56:                              ;   in Loop: Header=BB75_4 Depth=1
	v_mul_lo_u32 v4, s41, v57
	v_mul_lo_u32 v5, s40, v58
	v_mad_u64_u32 v[2:3], s[8:9], s40, v57, 0
	v_cmp_gt_i32_e32 vcc, s30, v57
	v_add3_u32 v3, v3, v5, v4
	v_lshlrev_b64 v[2:3], 3, v[2:3]
	v_mov_b32_e32 v4, s54
	v_add_co_u32_e64 v2, s[8:9], s53, v2
	v_addc_co_u32_e64 v3, s[8:9], v4, v3, s[8:9]
	s_and_b64 s[8:9], s[4:5], vcc
	s_and_saveexec_b64 s[10:11], s[8:9]
	s_cbranch_execz .LBB75_58
; %bb.57:                               ;   in Loop: Header=BB75_4 Depth=1
	v_add_co_u32_e64 v4, s[8:9], v2, v40
	v_addc_co_u32_e64 v5, s[8:9], v3, v41, s[8:9]
	global_load_dwordx2 v[6:7], v[4:5], off
	v_mul_f32_e32 v8, s33, v21
	v_mul_f32_e32 v9, s31, v21
	v_fma_f32 v8, v20, s31, -v8
	v_fmac_f32_e32 v9, s33, v20
	s_waitcnt vmcnt(0)
	v_add_f32_e32 v6, v6, v8
	v_add_f32_e32 v7, v9, v7
	global_store_dwordx2 v[4:5], v[6:7], off
.LBB75_58:                              ;   in Loop: Header=BB75_4 Depth=1
	s_or_b64 exec, exec, s[10:11]
	s_and_b64 s[10:11], s[14:15], vcc
	s_and_saveexec_b64 s[8:9], s[10:11]
	s_cbranch_execz .LBB75_60
; %bb.59:                               ;   in Loop: Header=BB75_4 Depth=1
	buffer_load_dword v4, off, s[60:63], 0  ; 4-byte Folded Reload
	buffer_load_dword v5, off, s[60:63], 0 offset:4 ; 4-byte Folded Reload
	v_mul_f32_e32 v6, s33, v19
	v_mul_f32_e32 v7, s31, v19
	v_fma_f32 v6, v18, s31, -v6
	v_fmac_f32_e32 v7, s33, v18
	s_waitcnt vmcnt(0)
	v_lshlrev_b64 v[4:5], 3, v[4:5]
	v_add_co_u32_e32 v2, vcc, v2, v4
	v_addc_co_u32_e32 v3, vcc, v3, v5, vcc
	global_load_dwordx2 v[4:5], v[2:3], off
	s_waitcnt vmcnt(0)
	v_add_f32_e32 v4, v4, v6
	v_add_f32_e32 v5, v7, v5
	global_store_dwordx2 v[2:3], v[4:5], off
.LBB75_60:                              ;   in Loop: Header=BB75_4 Depth=1
	s_or_b64 exec, exec, s[8:9]
	v_add_u32_e32 v4, 16, v57
	v_ashrrev_i32_e32 v2, 31, v4
	v_mul_lo_u32 v5, s40, v2
	v_mul_lo_u32 v6, s41, v4
	v_mad_u64_u32 v[2:3], s[8:9], s40, v4, 0
	v_cmp_gt_i32_e32 vcc, s30, v4
	v_mov_b32_e32 v4, s54
	v_add3_u32 v3, v3, v5, v6
	v_lshlrev_b64 v[2:3], 3, v[2:3]
	v_add_co_u32_e64 v2, s[8:9], s53, v2
	v_addc_co_u32_e64 v3, s[8:9], v4, v3, s[8:9]
	s_and_b64 s[8:9], s[4:5], vcc
	s_and_saveexec_b64 s[10:11], s[8:9]
	s_cbranch_execz .LBB75_62
; %bb.61:                               ;   in Loop: Header=BB75_4 Depth=1
	v_add_co_u32_e64 v4, s[8:9], v2, v40
	v_addc_co_u32_e64 v5, s[8:9], v3, v41, s[8:9]
	global_load_dwordx2 v[6:7], v[4:5], off
	v_mul_f32_e32 v8, s33, v17
	v_mul_f32_e32 v9, s31, v17
	v_fma_f32 v8, v16, s31, -v8
	v_fmac_f32_e32 v9, s33, v16
	s_waitcnt vmcnt(0)
	v_add_f32_e32 v6, v6, v8
	v_add_f32_e32 v7, v9, v7
	global_store_dwordx2 v[4:5], v[6:7], off
.LBB75_62:                              ;   in Loop: Header=BB75_4 Depth=1
	s_or_b64 exec, exec, s[10:11]
	s_and_b64 s[10:11], s[14:15], vcc
	s_and_saveexec_b64 s[8:9], s[10:11]
	s_cbranch_execz .LBB75_3
; %bb.63:                               ;   in Loop: Header=BB75_4 Depth=1
	buffer_load_dword v4, off, s[60:63], 0  ; 4-byte Folded Reload
	buffer_load_dword v5, off, s[60:63], 0 offset:4 ; 4-byte Folded Reload
	v_mul_f32_e32 v6, s33, v14
	v_mul_f32_e32 v7, s31, v14
	v_fma_f32 v6, v15, s31, -v6
	v_fmac_f32_e32 v7, s33, v15
	s_waitcnt vmcnt(0)
	v_lshlrev_b64 v[4:5], 3, v[4:5]
	v_add_co_u32_e32 v2, vcc, v2, v4
	v_addc_co_u32_e32 v3, vcc, v3, v5, vcc
	global_load_dwordx2 v[4:5], v[2:3], off
	s_waitcnt vmcnt(0)
	v_add_f32_e32 v4, v4, v6
	v_add_f32_e32 v5, v7, v5
	global_store_dwordx2 v[2:3], v[4:5], off
	s_branch .LBB75_3
.LBB75_64:
	s_endpgm
	.section	.rodata,"a",@progbits
	.p2align	6, 0x0
	.amdhsa_kernel _ZL30rocblas_trmm_outofplace_kernelI19rocblas_complex_numIfELi32ELi2ELb1ELb1ELb0ELb0ES1_KS1_S1_Ev17rocblas_diagonal_iiT6_lPT7_lllS6_lllPT8_llli
		.amdhsa_group_segment_fixed_size 16384
		.amdhsa_private_segment_fixed_size 28
		.amdhsa_kernarg_size 392
		.amdhsa_user_sgpr_count 6
		.amdhsa_user_sgpr_private_segment_buffer 1
		.amdhsa_user_sgpr_dispatch_ptr 0
		.amdhsa_user_sgpr_queue_ptr 0
		.amdhsa_user_sgpr_kernarg_segment_ptr 1
		.amdhsa_user_sgpr_dispatch_id 0
		.amdhsa_user_sgpr_flat_scratch_init 0
		.amdhsa_user_sgpr_private_segment_size 0
		.amdhsa_uses_dynamic_stack 0
		.amdhsa_system_sgpr_private_segment_wavefront_offset 1
		.amdhsa_system_sgpr_workgroup_id_x 1
		.amdhsa_system_sgpr_workgroup_id_y 1
		.amdhsa_system_sgpr_workgroup_id_z 1
		.amdhsa_system_sgpr_workgroup_info 0
		.amdhsa_system_vgpr_workitem_id 1
		.amdhsa_next_free_vgpr 64
		.amdhsa_next_free_sgpr 64
		.amdhsa_reserve_vcc 1
		.amdhsa_reserve_flat_scratch 0
		.amdhsa_float_round_mode_32 0
		.amdhsa_float_round_mode_16_64 0
		.amdhsa_float_denorm_mode_32 3
		.amdhsa_float_denorm_mode_16_64 3
		.amdhsa_dx10_clamp 1
		.amdhsa_ieee_mode 1
		.amdhsa_fp16_overflow 0
		.amdhsa_exception_fp_ieee_invalid_op 0
		.amdhsa_exception_fp_denorm_src 0
		.amdhsa_exception_fp_ieee_div_zero 0
		.amdhsa_exception_fp_ieee_overflow 0
		.amdhsa_exception_fp_ieee_underflow 0
		.amdhsa_exception_fp_ieee_inexact 0
		.amdhsa_exception_int_div_zero 0
	.end_amdhsa_kernel
	.section	.text._ZL30rocblas_trmm_outofplace_kernelI19rocblas_complex_numIfELi32ELi2ELb1ELb1ELb0ELb0ES1_KS1_S1_Ev17rocblas_diagonal_iiT6_lPT7_lllS6_lllPT8_llli,"axG",@progbits,_ZL30rocblas_trmm_outofplace_kernelI19rocblas_complex_numIfELi32ELi2ELb1ELb1ELb0ELb0ES1_KS1_S1_Ev17rocblas_diagonal_iiT6_lPT7_lllS6_lllPT8_llli,comdat
.Lfunc_end75:
	.size	_ZL30rocblas_trmm_outofplace_kernelI19rocblas_complex_numIfELi32ELi2ELb1ELb1ELb0ELb0ES1_KS1_S1_Ev17rocblas_diagonal_iiT6_lPT7_lllS6_lllPT8_llli, .Lfunc_end75-_ZL30rocblas_trmm_outofplace_kernelI19rocblas_complex_numIfELi32ELi2ELb1ELb1ELb0ELb0ES1_KS1_S1_Ev17rocblas_diagonal_iiT6_lPT7_lllS6_lllPT8_llli
                                        ; -- End function
	.set _ZL30rocblas_trmm_outofplace_kernelI19rocblas_complex_numIfELi32ELi2ELb1ELb1ELb0ELb0ES1_KS1_S1_Ev17rocblas_diagonal_iiT6_lPT7_lllS6_lllPT8_llli.num_vgpr, 64
	.set _ZL30rocblas_trmm_outofplace_kernelI19rocblas_complex_numIfELi32ELi2ELb1ELb1ELb0ELb0ES1_KS1_S1_Ev17rocblas_diagonal_iiT6_lPT7_lllS6_lllPT8_llli.num_agpr, 0
	.set _ZL30rocblas_trmm_outofplace_kernelI19rocblas_complex_numIfELi32ELi2ELb1ELb1ELb0ELb0ES1_KS1_S1_Ev17rocblas_diagonal_iiT6_lPT7_lllS6_lllPT8_llli.numbered_sgpr, 64
	.set _ZL30rocblas_trmm_outofplace_kernelI19rocblas_complex_numIfELi32ELi2ELb1ELb1ELb0ELb0ES1_KS1_S1_Ev17rocblas_diagonal_iiT6_lPT7_lllS6_lllPT8_llli.num_named_barrier, 0
	.set _ZL30rocblas_trmm_outofplace_kernelI19rocblas_complex_numIfELi32ELi2ELb1ELb1ELb0ELb0ES1_KS1_S1_Ev17rocblas_diagonal_iiT6_lPT7_lllS6_lllPT8_llli.private_seg_size, 28
	.set _ZL30rocblas_trmm_outofplace_kernelI19rocblas_complex_numIfELi32ELi2ELb1ELb1ELb0ELb0ES1_KS1_S1_Ev17rocblas_diagonal_iiT6_lPT7_lllS6_lllPT8_llli.uses_vcc, 1
	.set _ZL30rocblas_trmm_outofplace_kernelI19rocblas_complex_numIfELi32ELi2ELb1ELb1ELb0ELb0ES1_KS1_S1_Ev17rocblas_diagonal_iiT6_lPT7_lllS6_lllPT8_llli.uses_flat_scratch, 0
	.set _ZL30rocblas_trmm_outofplace_kernelI19rocblas_complex_numIfELi32ELi2ELb1ELb1ELb0ELb0ES1_KS1_S1_Ev17rocblas_diagonal_iiT6_lPT7_lllS6_lllPT8_llli.has_dyn_sized_stack, 0
	.set _ZL30rocblas_trmm_outofplace_kernelI19rocblas_complex_numIfELi32ELi2ELb1ELb1ELb0ELb0ES1_KS1_S1_Ev17rocblas_diagonal_iiT6_lPT7_lllS6_lllPT8_llli.has_recursion, 0
	.set _ZL30rocblas_trmm_outofplace_kernelI19rocblas_complex_numIfELi32ELi2ELb1ELb1ELb0ELb0ES1_KS1_S1_Ev17rocblas_diagonal_iiT6_lPT7_lllS6_lllPT8_llli.has_indirect_call, 0
	.section	.AMDGPU.csdata,"",@progbits
; Kernel info:
; codeLenInByte = 6648
; TotalNumSgprs: 68
; NumVgprs: 64
; ScratchSize: 28
; MemoryBound: 1
; FloatMode: 240
; IeeeMode: 1
; LDSByteSize: 16384 bytes/workgroup (compile time only)
; SGPRBlocks: 8
; VGPRBlocks: 15
; NumSGPRsForWavesPerEU: 68
; NumVGPRsForWavesPerEU: 64
; Occupancy: 4
; WaveLimiterHint : 0
; COMPUTE_PGM_RSRC2:SCRATCH_EN: 1
; COMPUTE_PGM_RSRC2:USER_SGPR: 6
; COMPUTE_PGM_RSRC2:TRAP_HANDLER: 0
; COMPUTE_PGM_RSRC2:TGID_X_EN: 1
; COMPUTE_PGM_RSRC2:TGID_Y_EN: 1
; COMPUTE_PGM_RSRC2:TGID_Z_EN: 1
; COMPUTE_PGM_RSRC2:TIDIG_COMP_CNT: 1
	.section	.text._ZL30rocblas_trmm_outofplace_kernelI19rocblas_complex_numIfELi32ELi2ELb1ELb0ELb1ELb0EPKS1_S2_S1_Ev17rocblas_diagonal_iiT6_lPT7_lllS7_lllPT8_llli,"axG",@progbits,_ZL30rocblas_trmm_outofplace_kernelI19rocblas_complex_numIfELi32ELi2ELb1ELb0ELb1ELb0EPKS1_S2_S1_Ev17rocblas_diagonal_iiT6_lPT7_lllS7_lllPT8_llli,comdat
	.globl	_ZL30rocblas_trmm_outofplace_kernelI19rocblas_complex_numIfELi32ELi2ELb1ELb0ELb1ELb0EPKS1_S2_S1_Ev17rocblas_diagonal_iiT6_lPT7_lllS7_lllPT8_llli ; -- Begin function _ZL30rocblas_trmm_outofplace_kernelI19rocblas_complex_numIfELi32ELi2ELb1ELb0ELb1ELb0EPKS1_S2_S1_Ev17rocblas_diagonal_iiT6_lPT7_lllS7_lllPT8_llli
	.p2align	8
	.type	_ZL30rocblas_trmm_outofplace_kernelI19rocblas_complex_numIfELi32ELi2ELb1ELb0ELb1ELb0EPKS1_S2_S1_Ev17rocblas_diagonal_iiT6_lPT7_lllS7_lllPT8_llli,@function
_ZL30rocblas_trmm_outofplace_kernelI19rocblas_complex_numIfELi32ELi2ELb1ELb0ELb1ELb0EPKS1_S2_S1_Ev17rocblas_diagonal_iiT6_lPT7_lllS7_lllPT8_llli: ; @_ZL30rocblas_trmm_outofplace_kernelI19rocblas_complex_numIfELi32ELi2ELb1ELb0ELb1ELb0EPKS1_S2_S1_Ev17rocblas_diagonal_iiT6_lPT7_lllS7_lllPT8_llli
; %bb.0:
	s_load_dwordx16 s[12:27], s[4:5], 0x10
	s_mov_b64 s[58:59], s[2:3]
	s_mov_b64 s[56:57], s[0:1]
	s_add_u32 s56, s56, s9
	s_addc_u32 s57, s57, 0
	s_waitcnt lgkmcnt(0)
	s_mul_i32 s0, s15, s8
	s_mul_hi_u32 s1, s14, s8
	s_add_i32 s1, s1, s0
	s_mul_i32 s0, s14, s8
	s_lshl_b64 s[0:1], s[0:1], 3
	s_add_u32 s0, s12, s0
	s_addc_u32 s1, s13, s1
	s_load_dwordx2 s[34:35], s[0:1], 0x0
	s_waitcnt lgkmcnt(0)
	s_or_b32 s0, s34, s35
	s_bitset0_b32 s0, 31
	s_cmp_eq_u32 s0, 0
	s_cbranch_scc1 .LBB76_64
; %bb.1:
	s_load_dwordx4 s[28:31], s[4:5], 0x0
	s_waitcnt lgkmcnt(0)
	s_add_i32 s0, s30, -1
	s_ashr_i32 s1, s0, 31
	s_lshr_b32 s1, s1, 27
	s_add_i32 s0, s0, s1
	s_ashr_i32 s31, s0, 5
	s_cmp_gt_i32 s7, s31
	s_cbranch_scc1 .LBB76_64
; %bb.2:
	s_mul_i32 s0, s23, s8
	s_mul_hi_u32 s1, s22, s8
	s_load_dwordx8 s[36:43], s[4:5], 0x50
	s_load_dwordx4 s[44:47], s[4:5], 0x70
	s_add_i32 s1, s1, s0
	s_mul_i32 s0, s22, s8
	s_lshl_b64 s[10:11], s[0:1], 3
	s_add_u32 s0, s16, s10
	s_addc_u32 s1, s17, s11
	s_lshl_b64 s[12:13], s[18:19], 3
	s_add_u32 s2, s0, s12
	s_addc_u32 s3, s1, s13
	s_waitcnt lgkmcnt(0)
	s_mul_i32 s0, s47, s8
	s_mul_hi_u32 s1, s46, s8
	s_add_i32 s1, s1, s0
	s_mul_i32 s0, s46, s8
	s_lshl_b64 s[0:1], s[0:1], 3
	s_load_dword s33, s[4:5], 0x8c
	s_add_u32 s4, s40, s0
	s_addc_u32 s5, s41, s1
	s_lshl_b64 s[0:1], s[42:43], 3
	s_add_u32 s50, s4, s0
	s_addc_u32 s51, s5, s1
	s_lshl_b32 s4, s6, 5
	v_add_u32_e32 v22, s4, v0
	v_ashrrev_i32_e32 v23, 31, v22
	v_mul_lo_u32 v4, s20, v23
	v_mul_lo_u32 v5, s21, v22
	v_mad_u64_u32 v[2:3], s[0:1], s20, v22, 0
	s_sub_i32 s6, s29, s4
	v_add_u32_e32 v24, s4, v1
	v_add3_u32 v3, v3, v4, v5
	v_lshlrev_b64 v[2:3], 3, v[2:3]
	s_cmp_gt_i32 s6, 0
	v_ashrrev_i32_e32 v25, 31, v24
	v_mov_b32_e32 v4, s3
	v_add_co_u32_e32 v5, vcc, s2, v2
	s_cselect_b64 s[22:23], -1, 0
	s_cmpk_eq_i32 s28, 0x84
	v_addc_co_u32_e32 v4, vcc, v4, v3, vcc
	v_lshlrev_b64 v[2:3], 3, v[24:25]
	s_cselect_b64 s[40:41], -1, 0
	s_ashr_i32 s43, s29, 31
	s_ashr_i32 s52, s30, 31
	s_add_u32 s46, s29, -16
	s_mul_i32 s9, s39, s8
	s_mul_hi_u32 s18, s38, s8
	v_add_co_u32_e32 v50, vcc, v5, v2
	s_addc_u32 s47, s43, -1
	s_add_i32 s9, s18, s9
	s_mul_i32 s8, s38, s8
	v_addc_co_u32_e32 v51, vcc, v4, v3, vcc
	s_lshl_b64 s[8:9], s[8:9], 3
	s_lshl_b64 s[18:19], s[26:27], 3
	v_add_co_u32_e32 v26, vcc, 16, v22
	s_add_u32 s8, s8, s18
	v_addc_co_u32_e32 v27, vcc, 0, v23, vcc
	s_addc_u32 s9, s9, s19
	v_sub_co_u32_e32 v30, vcc, v22, v24
	v_lshlrev_b64 v[6:7], 3, v[22:23]
	s_add_u32 s8, s24, s8
	v_lshlrev_b32_e32 v4, 8, v1
	v_lshlrev_b32_e32 v0, 3, v0
	v_subb_co_u32_e32 v31, vcc, v23, v25, vcc
	s_addc_u32 s9, s25, s9
	v_add_u32_e32 v52, v0, v4
	v_add_u32_e32 v53, 0x2000, v4
	v_mov_b32_e32 v4, s9
	v_add_co_u32_e32 v8, vcc, s8, v6
	s_lshl_b64 s[24:25], s[36:37], 3
	s_waitcnt lgkmcnt(0)
	s_lshl_b32 s53, s33, 5
	v_addc_co_u32_e32 v9, vcc, v4, v7, vcc
	s_movk_i32 s18, 0x80
	s_add_u32 s8, s12, s10
	v_add_co_u32_e32 v6, vcc, s18, v6
	s_addc_u32 s9, s13, s11
	v_mov_b32_e32 v4, s8
	v_addc_co_u32_e32 v7, vcc, 0, v7, vcc
	v_mov_b32_e32 v5, s9
	v_mad_u64_u32 v[4:5], s[8:9], s20, v6, v[4:5]
	v_mul_lo_u32 v7, s20, v7
	v_mul_lo_u32 v6, s21, v6
	v_add_co_u32_e32 v36, vcc, 16, v30
	v_addc_co_u32_e32 v37, vcc, 0, v31, vcc
	v_add_co_u32_e32 v38, vcc, -16, v30
	v_addc_co_u32_e32 v39, vcc, -1, v31, vcc
	v_add3_u32 v5, v6, v5, v7
	v_add_co_u32_e32 v2, vcc, v4, v2
	v_addc_co_u32_e32 v3, vcc, v5, v3, vcc
	v_mov_b32_e32 v4, s17
	v_add_co_u32_e32 v54, vcc, s16, v2
	v_addc_co_u32_e32 v55, vcc, v4, v3, vcc
	v_add_co_u32_e32 v2, vcc, s18, v8
	buffer_store_dword v8, off, s[56:59], 0 ; 4-byte Folded Spill
	s_nop 0
	buffer_store_dword v9, off, s[56:59], 0 offset:4 ; 4-byte Folded Spill
	s_mov_b32 s42, s29
	v_cmp_le_i64_e64 s[2:3], s[42:43], v[26:27]
	v_add_u32_e32 v28, 16, v22
	v_cmp_le_i32_e64 s[0:1], s29, v22
	v_cmp_gt_i32_e64 s[4:5], s29, v22
	v_cmp_gt_i32_e64 s[14:15], s29, v28
	v_ashrrev_i32_e32 v29, 31, v28
	v_mov_b32_e32 v43, 0
	v_mov_b32_e32 v42, 1.0
	v_add_u32_e32 v56, v53, v0
	v_lshl_add_u32 v44, s7, 5, v1
	v_addc_co_u32_e32 v3, vcc, 0, v9, vcc
	buffer_store_dword v2, off, s[56:59], 0 offset:8 ; 4-byte Folded Spill
	s_nop 0
	buffer_store_dword v3, off, s[56:59], 0 offset:12 ; 4-byte Folded Spill
	s_branch .LBB76_4
.LBB76_3:                               ;   in Loop: Header=BB76_4 Depth=1
	s_or_b64 exec, exec, s[8:9]
	s_add_i32 s7, s33, s7
	s_cmp_le_i32 s7, s31
	v_add_u32_e32 v44, s53, v44
	s_cbranch_scc0 .LBB76_64
.LBB76_4:                               ; =>This Loop Header: Depth=1
                                        ;     Child Loop BB76_7 Depth 2
	v_lshl_add_u32 v57, s7, 5, v1
	s_andn2_b64 vcc, exec, s[22:23]
	v_ashrrev_i32_e32 v58, 31, v57
	s_cbranch_vccnz .LBB76_55
; %bb.5:                                ;   in Loop: Header=BB76_4 Depth=1
	buffer_load_dword v2, off, s[56:59], 0 offset:8 ; 4-byte Folded Reload
	buffer_load_dword v3, off, s[56:59], 0 offset:12 ; 4-byte Folded Reload
	buffer_load_dword v7, off, s[56:59], 0  ; 4-byte Folded Reload
	buffer_load_dword v8, off, s[56:59], 0 offset:4 ; 4-byte Folded Reload
	v_ashrrev_i32_e32 v45, 31, v44
	v_mul_lo_u32 v4, s25, v44
	v_mul_lo_u32 v5, s24, v45
	s_mov_b64 s[20:21], 0
	v_mov_b32_e32 v14, 0
	s_mov_b64 s[26:27], 0
	v_mov_b32_e32 v15, 0
	v_mov_b32_e32 v17, 0
	;; [unrolled: 1-line block ×7, first 2 shown]
	s_waitcnt vmcnt(2)
	v_mad_u64_u32 v[46:47], s[8:9], s24, v44, v[2:3]
	v_lshlrev_b64 v[2:3], 3, v[44:45]
	v_add_co_u32_e32 v2, vcc, 0x80, v2
	v_addc_co_u32_e32 v3, vcc, 0, v3, vcc
	v_mul_lo_u32 v3, s36, v3
	v_mul_lo_u32 v6, s37, v2
	s_waitcnt vmcnt(0)
	v_mad_u64_u32 v[48:49], s[8:9], s36, v2, v[7:8]
	v_sub_co_u32_e32 v2, vcc, s30, v57
	v_add3_u32 v49, v6, v49, v3
	v_mov_b32_e32 v3, s52
	v_subb_co_u32_e32 v3, vcc, v3, v58, vcc
	v_cmp_lt_i64_e32 vcc, 0, v[2:3]
	v_cmp_lt_i64_e64 s[8:9], 16, v[2:3]
	v_add3_u32 v47, v4, v47, v5
	s_branch .LBB76_7
.LBB76_6:                               ;   in Loop: Header=BB76_7 Depth=2
	s_or_b64 exec, exec, s[10:11]
	s_waitcnt lgkmcnt(0)
	s_barrier
	ds_read_b128 v[59:62], v53
	ds_read_b128 v[10:13], v53 offset:16
	ds_read_b128 v[6:9], v53 offset:32
	;; [unrolled: 1-line block ×3, first 2 shown]
	ds_read2_b64 v[32:35], v0 offset1:16
	s_add_u32 s26, s26, 32
	s_addc_u32 s27, s27, 0
	s_add_u32 s20, s20, 0x100
	s_addc_u32 s21, s21, 0
	s_waitcnt lgkmcnt(0)
	v_mul_f32_e32 v45, v60, v33
	v_mul_f32_e32 v63, v59, v33
	v_fma_f32 v45, v59, v32, -v45
	v_fmac_f32_e32 v63, v60, v32
	v_add_f32_e32 v45, v20, v45
	v_add_f32_e32 v63, v21, v63
	v_mul_f32_e32 v20, v60, v35
	v_mul_f32_e32 v21, v59, v35
	v_fma_f32 v20, v59, v34, -v20
	v_fmac_f32_e32 v21, v60, v34
	v_add_f32_e32 v59, v18, v20
	v_add_f32_e32 v60, v19, v21
	ds_read_b128 v[18:21], v53 offset:4096
	s_cmp_ge_i32 s26, s6
	s_waitcnt lgkmcnt(0)
	v_mul_f32_e32 v40, v19, v33
	v_mul_f32_e32 v33, v18, v33
	v_fma_f32 v40, v18, v32, -v40
	v_fmac_f32_e32 v33, v19, v32
	v_add_f32_e32 v32, v16, v40
	v_add_f32_e32 v33, v17, v33
	v_mul_f32_e32 v16, v19, v35
	v_mul_f32_e32 v17, v18, v35
	v_fma_f32 v16, v18, v34, -v16
	v_fmac_f32_e32 v17, v19, v34
	v_add_f32_e32 v18, v15, v16
	v_add_f32_e32 v19, v14, v17
	ds_read2_b64 v[14:17], v0 offset0:32 offset1:48
	s_waitcnt lgkmcnt(0)
	v_mul_f32_e32 v34, v62, v15
	v_fma_f32 v34, v61, v14, -v34
	v_mul_f32_e32 v35, v61, v15
	v_add_f32_e32 v34, v45, v34
	v_mul_f32_e32 v45, v21, v15
	v_mul_f32_e32 v15, v20, v15
	;; [unrolled: 1-line block ×3, first 2 shown]
	v_fmac_f32_e32 v15, v21, v14
	v_fmac_f32_e32 v35, v62, v14
	v_fma_f32 v40, v61, v16, -v40
	v_mul_f32_e32 v41, v61, v17
	v_fma_f32 v45, v20, v14, -v45
	v_add_f32_e32 v61, v33, v15
	v_mul_f32_e32 v14, v21, v17
	v_mul_f32_e32 v15, v20, v17
	v_fma_f32 v14, v20, v16, -v14
	v_fmac_f32_e32 v15, v21, v16
	v_add_f32_e32 v35, v63, v35
	v_fmac_f32_e32 v41, v62, v16
	v_add_f32_e32 v62, v18, v14
	v_add_f32_e32 v63, v19, v15
	ds_read2_b64 v[14:17], v0 offset0:64 offset1:80
	v_add_f32_e32 v40, v59, v40
	v_add_f32_e32 v41, v60, v41
	;; [unrolled: 1-line block ×3, first 2 shown]
	s_waitcnt lgkmcnt(0)
	v_mul_f32_e32 v18, v11, v15
	v_mul_f32_e32 v19, v10, v15
	v_fma_f32 v18, v10, v14, -v18
	v_fmac_f32_e32 v19, v11, v14
	v_add_f32_e32 v45, v34, v18
	v_add_f32_e32 v59, v35, v19
	v_mul_f32_e32 v18, v11, v17
	v_mul_f32_e32 v19, v10, v17
	v_fma_f32 v18, v10, v16, -v18
	v_fmac_f32_e32 v19, v11, v16
	v_add_f32_e32 v10, v40, v18
	v_add_f32_e32 v11, v41, v19
	ds_read_b128 v[18:21], v53 offset:4112
	s_waitcnt lgkmcnt(0)
	v_mul_f32_e32 v32, v19, v15
	v_mul_f32_e32 v15, v18, v15
	v_fmac_f32_e32 v15, v19, v14
	v_fma_f32 v32, v18, v14, -v32
	v_add_f32_e32 v33, v61, v15
	v_mul_f32_e32 v14, v19, v17
	v_mul_f32_e32 v15, v18, v17
	v_fma_f32 v14, v18, v16, -v14
	v_fmac_f32_e32 v15, v19, v16
	v_add_f32_e32 v18, v62, v14
	v_add_f32_e32 v19, v63, v15
	ds_read2_b64 v[14:17], v0 offset0:96 offset1:112
	v_add_f32_e32 v32, v60, v32
	s_waitcnt lgkmcnt(0)
	v_mul_f32_e32 v34, v13, v15
	v_mul_f32_e32 v40, v13, v17
	v_fma_f32 v34, v12, v14, -v34
	v_mul_f32_e32 v35, v12, v15
	v_fma_f32 v40, v12, v16, -v40
	v_mul_f32_e32 v12, v12, v17
	v_fmac_f32_e32 v12, v13, v16
	v_add_f32_e32 v40, v10, v40
	v_add_f32_e32 v41, v11, v12
	v_mul_f32_e32 v10, v21, v15
	v_mul_f32_e32 v11, v20, v15
	v_fma_f32 v10, v20, v14, -v10
	v_fmac_f32_e32 v11, v21, v14
	v_fmac_f32_e32 v35, v13, v14
	v_add_f32_e32 v14, v32, v10
	v_add_f32_e32 v15, v33, v11
	v_mul_f32_e32 v10, v21, v17
	v_mul_f32_e32 v11, v20, v17
	v_fma_f32 v10, v20, v16, -v10
	v_fmac_f32_e32 v11, v21, v16
	v_add_f32_e32 v20, v18, v10
	v_add_f32_e32 v21, v19, v11
	ds_read2_b64 v[10:13], v0 offset0:128 offset1:144
	v_add_f32_e32 v34, v45, v34
	v_add_f32_e32 v35, v59, v35
	s_waitcnt lgkmcnt(0)
	v_mul_f32_e32 v16, v7, v11
	v_fma_f32 v16, v6, v10, -v16
	v_mul_f32_e32 v17, v6, v11
	v_add_f32_e32 v32, v34, v16
	v_mul_f32_e32 v16, v7, v13
	v_fmac_f32_e32 v17, v7, v10
	v_fma_f32 v16, v6, v12, -v16
	v_mul_f32_e32 v6, v6, v13
	v_add_f32_e32 v33, v35, v17
	v_fmac_f32_e32 v6, v7, v12
	v_add_f32_e32 v7, v40, v16
	ds_read_b128 v[16:19], v53 offset:4128
	v_add_f32_e32 v6, v41, v6
	s_waitcnt lgkmcnt(0)
	v_mul_f32_e32 v34, v17, v11
	v_mul_f32_e32 v11, v16, v11
	v_fmac_f32_e32 v11, v17, v10
	v_fma_f32 v34, v16, v10, -v34
	v_add_f32_e32 v15, v15, v11
	v_mul_f32_e32 v10, v17, v13
	v_mul_f32_e32 v11, v16, v13
	v_fma_f32 v10, v16, v12, -v10
	v_fmac_f32_e32 v11, v17, v12
	v_add_f32_e32 v20, v20, v10
	v_add_f32_e32 v21, v21, v11
	ds_read2_b64 v[10:13], v0 offset0:160 offset1:176
	v_add_f32_e32 v14, v14, v34
	s_waitcnt lgkmcnt(0)
	v_mul_f32_e32 v16, v9, v11
	v_fma_f32 v16, v8, v10, -v16
	v_add_f32_e32 v32, v32, v16
	v_mul_f32_e32 v16, v9, v13
	v_mul_f32_e32 v17, v8, v11
	v_fma_f32 v16, v8, v12, -v16
	v_mul_f32_e32 v8, v8, v13
	v_fmac_f32_e32 v8, v9, v12
	v_add_f32_e32 v34, v7, v16
	v_add_f32_e32 v35, v6, v8
	v_mul_f32_e32 v6, v19, v11
	v_mul_f32_e32 v7, v18, v11
	v_fmac_f32_e32 v17, v9, v10
	v_fma_f32 v6, v18, v10, -v6
	v_fmac_f32_e32 v7, v19, v10
	v_add_f32_e32 v33, v33, v17
	v_add_f32_e32 v16, v14, v6
	;; [unrolled: 1-line block ×3, first 2 shown]
	v_mul_f32_e32 v6, v19, v13
	v_mul_f32_e32 v7, v18, v13
	v_fma_f32 v6, v18, v12, -v6
	v_fmac_f32_e32 v7, v19, v12
	v_add_f32_e32 v18, v20, v6
	v_add_f32_e32 v19, v21, v7
	ds_read2_b64 v[6:9], v0 offset0:192 offset1:208
	s_waitcnt lgkmcnt(0)
	v_mul_f32_e32 v10, v3, v7
	v_mul_f32_e32 v11, v2, v7
	v_fma_f32 v10, v2, v6, -v10
	v_fmac_f32_e32 v11, v3, v6
	v_add_f32_e32 v14, v32, v10
	v_add_f32_e32 v15, v33, v11
	v_mul_f32_e32 v10, v3, v9
	v_mul_f32_e32 v11, v2, v9
	v_fma_f32 v10, v2, v8, -v10
	v_fmac_f32_e32 v11, v3, v8
	v_add_f32_e32 v2, v34, v10
	v_add_f32_e32 v3, v35, v11
	ds_read_b128 v[10:13], v53 offset:4144
	s_waitcnt lgkmcnt(0)
	v_mul_f32_e32 v20, v11, v7
	v_mul_f32_e32 v7, v10, v7
	v_fmac_f32_e32 v7, v11, v6
	v_fma_f32 v20, v10, v6, -v20
	v_add_f32_e32 v17, v17, v7
	v_mul_f32_e32 v6, v11, v9
	v_mul_f32_e32 v7, v10, v9
	v_fma_f32 v6, v10, v8, -v6
	v_fmac_f32_e32 v7, v11, v8
	v_add_f32_e32 v10, v18, v6
	v_add_f32_e32 v11, v19, v7
	ds_read2_b64 v[6:9], v0 offset0:224 offset1:240
	v_add_f32_e32 v16, v16, v20
	s_waitcnt lgkmcnt(0)
	v_mul_f32_e32 v18, v5, v7
	v_fma_f32 v18, v4, v6, -v18
	v_add_f32_e32 v18, v14, v18
	v_mul_f32_e32 v14, v5, v9
	v_mul_f32_e32 v19, v4, v7
	v_fma_f32 v14, v4, v8, -v14
	v_mul_f32_e32 v4, v4, v9
	v_fmac_f32_e32 v19, v5, v6
	v_fmac_f32_e32 v4, v5, v8
	v_add_f32_e32 v15, v15, v19
	v_add_f32_e32 v19, v2, v14
	;; [unrolled: 1-line block ×3, first 2 shown]
	v_mul_f32_e32 v2, v13, v7
	v_mul_f32_e32 v3, v12, v7
	v_fma_f32 v2, v12, v6, -v2
	v_fmac_f32_e32 v3, v13, v6
	v_add_f32_e32 v21, v16, v2
	v_add_f32_e32 v32, v17, v3
	v_mul_f32_e32 v2, v13, v9
	v_mul_f32_e32 v3, v12, v9
	v_fma_f32 v2, v12, v8, -v2
	v_fmac_f32_e32 v3, v13, v8
	v_add_u32_e32 v14, 0x800, v0
	v_add_f32_e32 v10, v10, v2
	v_add_f32_e32 v11, v11, v3
	ds_read_b128 v[2:5], v53 offset:64
	ds_read2_b64 v[6:9], v14 offset1:16
	s_waitcnt lgkmcnt(0)
	v_mul_f32_e32 v13, v2, v7
	v_fmac_f32_e32 v13, v3, v6
	v_mul_f32_e32 v12, v3, v7
	v_add_f32_e32 v13, v15, v13
	v_mul_f32_e32 v15, v3, v9
	v_fma_f32 v12, v2, v6, -v12
	v_fma_f32 v15, v2, v8, -v15
	v_mul_f32_e32 v2, v2, v9
	v_add_f32_e32 v12, v18, v12
	v_fmac_f32_e32 v2, v3, v8
	v_add_f32_e32 v3, v19, v15
	ds_read_b128 v[15:18], v53 offset:4160
	v_add_f32_e32 v2, v20, v2
	s_waitcnt lgkmcnt(0)
	v_mul_f32_e32 v19, v16, v7
	v_mul_f32_e32 v7, v15, v7
	v_fmac_f32_e32 v7, v16, v6
	v_fma_f32 v19, v15, v6, -v19
	v_add_f32_e32 v20, v32, v7
	v_mul_f32_e32 v6, v16, v9
	v_mul_f32_e32 v7, v15, v9
	v_fma_f32 v6, v15, v8, -v6
	v_fmac_f32_e32 v7, v16, v8
	v_add_f32_e32 v19, v21, v19
	v_add_f32_e32 v21, v10, v6
	v_add_f32_e32 v32, v11, v7
	ds_read2_b64 v[6:9], v14 offset0:32 offset1:48
	s_waitcnt lgkmcnt(0)
	v_mul_f32_e32 v10, v5, v7
	v_fma_f32 v10, v4, v6, -v10
	v_add_f32_e32 v10, v12, v10
	v_mul_f32_e32 v12, v5, v9
	v_mul_f32_e32 v11, v4, v7
	v_fma_f32 v12, v4, v8, -v12
	v_mul_f32_e32 v4, v4, v9
	v_fmac_f32_e32 v11, v5, v6
	v_fmac_f32_e32 v4, v5, v8
	v_add_f32_e32 v11, v13, v11
	v_add_f32_e32 v12, v3, v12
	;; [unrolled: 1-line block ×3, first 2 shown]
	v_mul_f32_e32 v2, v18, v7
	v_mul_f32_e32 v3, v17, v7
	v_fma_f32 v2, v17, v6, -v2
	v_fmac_f32_e32 v3, v18, v6
	v_add_f32_e32 v15, v19, v2
	v_add_f32_e32 v16, v20, v3
	v_mul_f32_e32 v2, v18, v9
	v_mul_f32_e32 v3, v17, v9
	v_fma_f32 v2, v17, v8, -v2
	v_fmac_f32_e32 v3, v18, v8
	v_add_f32_e32 v17, v21, v2
	v_add_f32_e32 v18, v32, v3
	ds_read_b128 v[2:5], v53 offset:80
	ds_read2_b64 v[6:9], v14 offset0:64 offset1:80
	s_waitcnt lgkmcnt(0)
	v_mul_f32_e32 v19, v3, v7
	v_mul_f32_e32 v20, v2, v7
	v_fma_f32 v19, v2, v6, -v19
	v_fmac_f32_e32 v20, v3, v6
	v_add_f32_e32 v19, v10, v19
	v_add_f32_e32 v20, v11, v20
	v_mul_f32_e32 v10, v3, v9
	v_mul_f32_e32 v11, v2, v9
	v_fma_f32 v10, v2, v8, -v10
	v_fmac_f32_e32 v11, v3, v8
	v_add_f32_e32 v2, v12, v10
	v_add_f32_e32 v3, v13, v11
	ds_read_b128 v[10:13], v53 offset:4176
	s_waitcnt lgkmcnt(0)
	v_mul_f32_e32 v21, v11, v7
	v_mul_f32_e32 v7, v10, v7
	v_fmac_f32_e32 v7, v11, v6
	v_fma_f32 v21, v10, v6, -v21
	v_add_f32_e32 v16, v16, v7
	v_mul_f32_e32 v6, v11, v9
	v_mul_f32_e32 v7, v10, v9
	v_fma_f32 v6, v10, v8, -v6
	v_fmac_f32_e32 v7, v11, v8
	v_add_f32_e32 v10, v17, v6
	v_add_f32_e32 v11, v18, v7
	ds_read2_b64 v[6:9], v14 offset0:96 offset1:112
	v_add_f32_e32 v15, v15, v21
	s_waitcnt lgkmcnt(0)
	v_mul_f32_e32 v17, v5, v7
	v_fma_f32 v17, v4, v6, -v17
	v_add_f32_e32 v17, v19, v17
	v_mul_f32_e32 v19, v5, v9
	v_mul_f32_e32 v18, v4, v7
	v_fma_f32 v19, v4, v8, -v19
	v_mul_f32_e32 v4, v4, v9
	v_fmac_f32_e32 v18, v5, v6
	v_fmac_f32_e32 v4, v5, v8
	v_add_f32_e32 v18, v20, v18
	v_add_f32_e32 v19, v2, v19
	;; [unrolled: 1-line block ×3, first 2 shown]
	v_mul_f32_e32 v2, v13, v7
	v_mul_f32_e32 v3, v12, v7
	v_fma_f32 v2, v12, v6, -v2
	v_fmac_f32_e32 v3, v13, v6
	v_add_f32_e32 v21, v15, v2
	v_add_f32_e32 v32, v16, v3
	v_mul_f32_e32 v2, v13, v9
	v_mul_f32_e32 v3, v12, v9
	v_fma_f32 v2, v12, v8, -v2
	v_fmac_f32_e32 v3, v13, v8
	v_add_f32_e32 v10, v10, v2
	v_add_f32_e32 v11, v11, v3
	ds_read_b128 v[2:5], v53 offset:96
	ds_read2_b64 v[6:9], v14 offset0:128 offset1:144
	s_waitcnt lgkmcnt(0)
	v_mul_f32_e32 v12, v3, v7
	v_mul_f32_e32 v13, v2, v7
	;; [unrolled: 1-line block ×3, first 2 shown]
	v_fma_f32 v12, v2, v6, -v12
	v_fmac_f32_e32 v13, v3, v6
	v_fma_f32 v15, v2, v8, -v15
	v_mul_f32_e32 v2, v2, v9
	v_add_f32_e32 v12, v17, v12
	v_add_f32_e32 v13, v18, v13
	v_fmac_f32_e32 v2, v3, v8
	v_add_f32_e32 v3, v19, v15
	ds_read_b128 v[15:18], v53 offset:4192
	v_add_f32_e32 v2, v20, v2
	s_waitcnt lgkmcnt(0)
	v_mul_f32_e32 v19, v16, v7
	v_mul_f32_e32 v7, v15, v7
	v_fmac_f32_e32 v7, v16, v6
	v_fma_f32 v19, v15, v6, -v19
	v_add_f32_e32 v20, v32, v7
	v_mul_f32_e32 v6, v16, v9
	v_mul_f32_e32 v7, v15, v9
	v_fma_f32 v6, v15, v8, -v6
	v_fmac_f32_e32 v7, v16, v8
	v_add_f32_e32 v19, v21, v19
	v_add_f32_e32 v21, v10, v6
	;; [unrolled: 1-line block ×3, first 2 shown]
	ds_read2_b64 v[6:9], v14 offset0:160 offset1:176
	s_waitcnt lgkmcnt(0)
	v_mul_f32_e32 v10, v5, v7
	v_fma_f32 v10, v4, v6, -v10
	v_add_f32_e32 v10, v12, v10
	v_mul_f32_e32 v12, v5, v9
	v_mul_f32_e32 v11, v4, v7
	v_fma_f32 v12, v4, v8, -v12
	v_mul_f32_e32 v4, v4, v9
	v_fmac_f32_e32 v11, v5, v6
	v_fmac_f32_e32 v4, v5, v8
	v_add_f32_e32 v11, v13, v11
	v_add_f32_e32 v12, v3, v12
	;; [unrolled: 1-line block ×3, first 2 shown]
	v_mul_f32_e32 v2, v18, v7
	v_mul_f32_e32 v3, v17, v7
	v_fma_f32 v2, v17, v6, -v2
	v_fmac_f32_e32 v3, v18, v6
	v_add_f32_e32 v15, v19, v2
	v_add_f32_e32 v16, v20, v3
	v_mul_f32_e32 v2, v18, v9
	v_mul_f32_e32 v3, v17, v9
	v_fma_f32 v2, v17, v8, -v2
	v_fmac_f32_e32 v3, v18, v8
	v_add_f32_e32 v17, v21, v2
	v_add_f32_e32 v18, v32, v3
	ds_read_b128 v[2:5], v53 offset:112
	ds_read2_b64 v[6:9], v14 offset0:192 offset1:208
	s_waitcnt lgkmcnt(0)
	v_mul_f32_e32 v19, v3, v7
	v_mul_f32_e32 v20, v2, v7
	v_fma_f32 v19, v2, v6, -v19
	v_fmac_f32_e32 v20, v3, v6
	v_add_f32_e32 v19, v10, v19
	v_add_f32_e32 v20, v11, v20
	v_mul_f32_e32 v10, v3, v9
	v_mul_f32_e32 v11, v2, v9
	v_fma_f32 v10, v2, v8, -v10
	v_fmac_f32_e32 v11, v3, v8
	v_add_f32_e32 v2, v12, v10
	v_add_f32_e32 v3, v13, v11
	ds_read_b128 v[10:13], v53 offset:4208
	s_waitcnt lgkmcnt(0)
	v_mul_f32_e32 v21, v11, v7
	v_mul_f32_e32 v7, v10, v7
	v_fmac_f32_e32 v7, v11, v6
	v_fma_f32 v21, v10, v6, -v21
	v_add_f32_e32 v16, v16, v7
	v_mul_f32_e32 v6, v11, v9
	v_mul_f32_e32 v7, v10, v9
	v_fma_f32 v6, v10, v8, -v6
	v_fmac_f32_e32 v7, v11, v8
	v_add_f32_e32 v10, v17, v6
	v_add_f32_e32 v11, v18, v7
	ds_read2_b64 v[6:9], v14 offset0:224 offset1:240
	v_add_f32_e32 v15, v15, v21
	s_waitcnt lgkmcnt(0)
	v_mul_f32_e32 v14, v5, v7
	v_fma_f32 v14, v4, v6, -v14
	v_add_f32_e32 v18, v19, v14
	v_mul_f32_e32 v14, v5, v9
	v_mul_f32_e32 v17, v4, v7
	v_fma_f32 v14, v4, v8, -v14
	v_mul_f32_e32 v4, v4, v9
	v_fmac_f32_e32 v17, v5, v6
	v_fmac_f32_e32 v4, v5, v8
	v_add_f32_e32 v17, v20, v17
	v_add_f32_e32 v19, v2, v14
	;; [unrolled: 1-line block ×3, first 2 shown]
	v_mul_f32_e32 v2, v13, v7
	v_mul_f32_e32 v3, v12, v7
	v_fma_f32 v2, v12, v6, -v2
	v_fmac_f32_e32 v3, v13, v6
	v_add_f32_e32 v21, v15, v2
	v_add_f32_e32 v32, v16, v3
	v_mul_f32_e32 v2, v13, v9
	v_mul_f32_e32 v3, v12, v9
	v_fma_f32 v2, v12, v8, -v2
	v_fmac_f32_e32 v3, v13, v8
	v_add_u32_e32 v14, 0x1000, v0
	v_add_f32_e32 v10, v10, v2
	v_add_f32_e32 v11, v11, v3
	ds_read_b128 v[2:5], v53 offset:128
	ds_read2_b64 v[6:9], v14 offset1:16
	s_waitcnt lgkmcnt(0)
	v_mul_f32_e32 v12, v3, v7
	v_mul_f32_e32 v13, v2, v7
	;; [unrolled: 1-line block ×3, first 2 shown]
	v_fma_f32 v12, v2, v6, -v12
	v_fmac_f32_e32 v13, v3, v6
	v_fma_f32 v15, v2, v8, -v15
	v_mul_f32_e32 v2, v2, v9
	v_add_f32_e32 v12, v18, v12
	v_add_f32_e32 v13, v17, v13
	v_fmac_f32_e32 v2, v3, v8
	v_add_f32_e32 v3, v19, v15
	ds_read_b128 v[15:18], v53 offset:4224
	v_add_f32_e32 v2, v20, v2
	s_waitcnt lgkmcnt(0)
	v_mul_f32_e32 v19, v16, v7
	v_mul_f32_e32 v7, v15, v7
	v_fmac_f32_e32 v7, v16, v6
	v_fma_f32 v19, v15, v6, -v19
	v_add_f32_e32 v20, v32, v7
	v_mul_f32_e32 v6, v16, v9
	v_mul_f32_e32 v7, v15, v9
	v_fma_f32 v6, v15, v8, -v6
	v_fmac_f32_e32 v7, v16, v8
	v_add_f32_e32 v19, v21, v19
	v_add_f32_e32 v21, v10, v6
	;; [unrolled: 1-line block ×3, first 2 shown]
	ds_read2_b64 v[6:9], v14 offset0:32 offset1:48
	s_waitcnt lgkmcnt(0)
	v_mul_f32_e32 v10, v5, v7
	v_fma_f32 v10, v4, v6, -v10
	v_add_f32_e32 v10, v12, v10
	v_mul_f32_e32 v12, v5, v9
	v_mul_f32_e32 v11, v4, v7
	v_fma_f32 v12, v4, v8, -v12
	v_mul_f32_e32 v4, v4, v9
	v_fmac_f32_e32 v11, v5, v6
	v_fmac_f32_e32 v4, v5, v8
	v_add_f32_e32 v11, v13, v11
	v_add_f32_e32 v12, v3, v12
	;; [unrolled: 1-line block ×3, first 2 shown]
	v_mul_f32_e32 v2, v18, v7
	v_mul_f32_e32 v3, v17, v7
	v_fma_f32 v2, v17, v6, -v2
	v_fmac_f32_e32 v3, v18, v6
	v_add_f32_e32 v15, v19, v2
	v_add_f32_e32 v16, v20, v3
	v_mul_f32_e32 v2, v18, v9
	v_mul_f32_e32 v3, v17, v9
	v_fma_f32 v2, v17, v8, -v2
	v_fmac_f32_e32 v3, v18, v8
	v_add_f32_e32 v17, v21, v2
	v_add_f32_e32 v18, v32, v3
	ds_read_b128 v[2:5], v53 offset:144
	ds_read2_b64 v[6:9], v14 offset0:64 offset1:80
	s_waitcnt lgkmcnt(0)
	v_mul_f32_e32 v19, v3, v7
	v_mul_f32_e32 v20, v2, v7
	v_fma_f32 v19, v2, v6, -v19
	v_fmac_f32_e32 v20, v3, v6
	v_add_f32_e32 v19, v10, v19
	v_add_f32_e32 v20, v11, v20
	v_mul_f32_e32 v10, v3, v9
	v_mul_f32_e32 v11, v2, v9
	v_fma_f32 v10, v2, v8, -v10
	v_fmac_f32_e32 v11, v3, v8
	v_add_f32_e32 v2, v12, v10
	v_add_f32_e32 v3, v13, v11
	ds_read_b128 v[10:13], v53 offset:4240
	s_waitcnt lgkmcnt(0)
	v_mul_f32_e32 v21, v11, v7
	v_mul_f32_e32 v7, v10, v7
	v_fmac_f32_e32 v7, v11, v6
	v_fma_f32 v21, v10, v6, -v21
	v_add_f32_e32 v16, v16, v7
	v_mul_f32_e32 v6, v11, v9
	v_mul_f32_e32 v7, v10, v9
	v_fma_f32 v6, v10, v8, -v6
	v_fmac_f32_e32 v7, v11, v8
	v_add_f32_e32 v10, v17, v6
	v_add_f32_e32 v11, v18, v7
	ds_read2_b64 v[6:9], v14 offset0:96 offset1:112
	v_add_f32_e32 v15, v15, v21
	s_waitcnt lgkmcnt(0)
	v_mul_f32_e32 v17, v5, v7
	v_fma_f32 v17, v4, v6, -v17
	v_add_f32_e32 v17, v19, v17
	v_mul_f32_e32 v19, v5, v9
	v_mul_f32_e32 v18, v4, v7
	v_fma_f32 v19, v4, v8, -v19
	v_mul_f32_e32 v4, v4, v9
	v_fmac_f32_e32 v18, v5, v6
	v_fmac_f32_e32 v4, v5, v8
	v_add_f32_e32 v18, v20, v18
	v_add_f32_e32 v19, v2, v19
	;; [unrolled: 1-line block ×3, first 2 shown]
	v_mul_f32_e32 v2, v13, v7
	v_mul_f32_e32 v3, v12, v7
	v_fma_f32 v2, v12, v6, -v2
	v_fmac_f32_e32 v3, v13, v6
	v_add_f32_e32 v21, v15, v2
	v_add_f32_e32 v32, v16, v3
	v_mul_f32_e32 v2, v13, v9
	v_mul_f32_e32 v3, v12, v9
	v_fma_f32 v2, v12, v8, -v2
	v_fmac_f32_e32 v3, v13, v8
	v_add_f32_e32 v10, v10, v2
	v_add_f32_e32 v11, v11, v3
	ds_read_b128 v[2:5], v53 offset:160
	ds_read2_b64 v[6:9], v14 offset0:128 offset1:144
	s_waitcnt lgkmcnt(0)
	v_mul_f32_e32 v12, v3, v7
	v_mul_f32_e32 v13, v2, v7
	;; [unrolled: 1-line block ×3, first 2 shown]
	v_fma_f32 v12, v2, v6, -v12
	v_fmac_f32_e32 v13, v3, v6
	v_fma_f32 v15, v2, v8, -v15
	v_mul_f32_e32 v2, v2, v9
	v_add_f32_e32 v12, v17, v12
	v_add_f32_e32 v13, v18, v13
	v_fmac_f32_e32 v2, v3, v8
	v_add_f32_e32 v3, v19, v15
	ds_read_b128 v[15:18], v53 offset:4256
	v_add_f32_e32 v2, v20, v2
	s_waitcnt lgkmcnt(0)
	v_mul_f32_e32 v19, v16, v7
	v_mul_f32_e32 v7, v15, v7
	v_fmac_f32_e32 v7, v16, v6
	v_fma_f32 v19, v15, v6, -v19
	v_add_f32_e32 v20, v32, v7
	v_mul_f32_e32 v6, v16, v9
	v_mul_f32_e32 v7, v15, v9
	v_fma_f32 v6, v15, v8, -v6
	v_fmac_f32_e32 v7, v16, v8
	v_add_f32_e32 v19, v21, v19
	v_add_f32_e32 v21, v10, v6
	;; [unrolled: 1-line block ×3, first 2 shown]
	ds_read2_b64 v[6:9], v14 offset0:160 offset1:176
	s_waitcnt lgkmcnt(0)
	v_mul_f32_e32 v10, v5, v7
	v_fma_f32 v10, v4, v6, -v10
	v_add_f32_e32 v10, v12, v10
	v_mul_f32_e32 v12, v5, v9
	v_mul_f32_e32 v11, v4, v7
	v_fma_f32 v12, v4, v8, -v12
	v_mul_f32_e32 v4, v4, v9
	v_fmac_f32_e32 v11, v5, v6
	v_fmac_f32_e32 v4, v5, v8
	v_add_f32_e32 v11, v13, v11
	v_add_f32_e32 v12, v3, v12
	;; [unrolled: 1-line block ×3, first 2 shown]
	v_mul_f32_e32 v2, v18, v7
	v_mul_f32_e32 v3, v17, v7
	v_fma_f32 v2, v17, v6, -v2
	v_fmac_f32_e32 v3, v18, v6
	v_add_f32_e32 v15, v19, v2
	v_add_f32_e32 v16, v20, v3
	v_mul_f32_e32 v2, v18, v9
	v_mul_f32_e32 v3, v17, v9
	v_fma_f32 v2, v17, v8, -v2
	v_fmac_f32_e32 v3, v18, v8
	v_add_f32_e32 v17, v21, v2
	v_add_f32_e32 v18, v32, v3
	ds_read_b128 v[2:5], v53 offset:176
	ds_read2_b64 v[6:9], v14 offset0:192 offset1:208
	s_waitcnt lgkmcnt(0)
	v_mul_f32_e32 v19, v3, v7
	v_mul_f32_e32 v20, v2, v7
	v_fma_f32 v19, v2, v6, -v19
	v_fmac_f32_e32 v20, v3, v6
	v_add_f32_e32 v19, v10, v19
	v_add_f32_e32 v20, v11, v20
	v_mul_f32_e32 v10, v3, v9
	v_mul_f32_e32 v11, v2, v9
	v_fma_f32 v10, v2, v8, -v10
	v_fmac_f32_e32 v11, v3, v8
	v_add_f32_e32 v2, v12, v10
	v_add_f32_e32 v3, v13, v11
	ds_read_b128 v[10:13], v53 offset:4272
	s_waitcnt lgkmcnt(0)
	v_mul_f32_e32 v21, v11, v7
	v_mul_f32_e32 v7, v10, v7
	v_fmac_f32_e32 v7, v11, v6
	v_fma_f32 v21, v10, v6, -v21
	v_add_f32_e32 v16, v16, v7
	v_mul_f32_e32 v6, v11, v9
	v_mul_f32_e32 v7, v10, v9
	v_fma_f32 v6, v10, v8, -v6
	v_fmac_f32_e32 v7, v11, v8
	v_add_f32_e32 v10, v17, v6
	v_add_f32_e32 v11, v18, v7
	ds_read2_b64 v[6:9], v14 offset0:224 offset1:240
	v_add_f32_e32 v15, v15, v21
	s_waitcnt lgkmcnt(0)
	v_mul_f32_e32 v14, v5, v7
	v_fma_f32 v14, v4, v6, -v14
	v_add_f32_e32 v18, v19, v14
	v_mul_f32_e32 v14, v5, v9
	v_mul_f32_e32 v17, v4, v7
	v_fma_f32 v14, v4, v8, -v14
	v_mul_f32_e32 v4, v4, v9
	v_fmac_f32_e32 v17, v5, v6
	v_fmac_f32_e32 v4, v5, v8
	v_add_f32_e32 v17, v20, v17
	v_add_f32_e32 v19, v2, v14
	;; [unrolled: 1-line block ×3, first 2 shown]
	v_mul_f32_e32 v2, v13, v7
	v_mul_f32_e32 v3, v12, v7
	v_fma_f32 v2, v12, v6, -v2
	v_fmac_f32_e32 v3, v13, v6
	v_add_f32_e32 v21, v15, v2
	v_add_f32_e32 v32, v16, v3
	v_mul_f32_e32 v2, v13, v9
	v_mul_f32_e32 v3, v12, v9
	v_fma_f32 v2, v12, v8, -v2
	v_fmac_f32_e32 v3, v13, v8
	v_add_u32_e32 v14, 0x1800, v0
	v_add_f32_e32 v10, v10, v2
	v_add_f32_e32 v11, v11, v3
	ds_read_b128 v[2:5], v53 offset:192
	ds_read2_b64 v[6:9], v14 offset1:16
	s_waitcnt lgkmcnt(0)
	v_mul_f32_e32 v12, v3, v7
	v_mul_f32_e32 v13, v2, v7
	;; [unrolled: 1-line block ×3, first 2 shown]
	v_fma_f32 v12, v2, v6, -v12
	v_fmac_f32_e32 v13, v3, v6
	v_fma_f32 v15, v2, v8, -v15
	v_mul_f32_e32 v2, v2, v9
	v_add_f32_e32 v12, v18, v12
	v_add_f32_e32 v13, v17, v13
	v_fmac_f32_e32 v2, v3, v8
	v_add_f32_e32 v3, v19, v15
	ds_read_b128 v[15:18], v53 offset:4288
	v_add_f32_e32 v2, v20, v2
	s_waitcnt lgkmcnt(0)
	v_mul_f32_e32 v19, v16, v7
	v_mul_f32_e32 v7, v15, v7
	v_fmac_f32_e32 v7, v16, v6
	v_fma_f32 v19, v15, v6, -v19
	v_add_f32_e32 v20, v32, v7
	v_mul_f32_e32 v6, v16, v9
	v_mul_f32_e32 v7, v15, v9
	v_fma_f32 v6, v15, v8, -v6
	v_fmac_f32_e32 v7, v16, v8
	v_add_f32_e32 v19, v21, v19
	v_add_f32_e32 v21, v10, v6
	;; [unrolled: 1-line block ×3, first 2 shown]
	ds_read2_b64 v[6:9], v14 offset0:32 offset1:48
	s_waitcnt lgkmcnt(0)
	v_mul_f32_e32 v10, v5, v7
	v_fma_f32 v10, v4, v6, -v10
	v_add_f32_e32 v10, v12, v10
	v_mul_f32_e32 v12, v5, v9
	v_mul_f32_e32 v11, v4, v7
	v_fma_f32 v12, v4, v8, -v12
	v_mul_f32_e32 v4, v4, v9
	v_fmac_f32_e32 v11, v5, v6
	v_fmac_f32_e32 v4, v5, v8
	v_add_f32_e32 v11, v13, v11
	v_add_f32_e32 v12, v3, v12
	;; [unrolled: 1-line block ×3, first 2 shown]
	v_mul_f32_e32 v2, v18, v7
	v_mul_f32_e32 v3, v17, v7
	v_fma_f32 v2, v17, v6, -v2
	v_fmac_f32_e32 v3, v18, v6
	v_add_f32_e32 v15, v19, v2
	v_add_f32_e32 v16, v20, v3
	v_mul_f32_e32 v2, v18, v9
	v_mul_f32_e32 v3, v17, v9
	v_fma_f32 v2, v17, v8, -v2
	v_fmac_f32_e32 v3, v18, v8
	v_add_f32_e32 v17, v21, v2
	v_add_f32_e32 v18, v32, v3
	ds_read_b128 v[2:5], v53 offset:208
	ds_read2_b64 v[6:9], v14 offset0:64 offset1:80
	s_waitcnt lgkmcnt(0)
	v_mul_f32_e32 v19, v3, v7
	v_mul_f32_e32 v20, v2, v7
	v_fma_f32 v19, v2, v6, -v19
	v_fmac_f32_e32 v20, v3, v6
	v_add_f32_e32 v19, v10, v19
	v_add_f32_e32 v20, v11, v20
	v_mul_f32_e32 v10, v3, v9
	v_mul_f32_e32 v11, v2, v9
	v_fma_f32 v10, v2, v8, -v10
	v_fmac_f32_e32 v11, v3, v8
	v_add_f32_e32 v2, v12, v10
	v_add_f32_e32 v3, v13, v11
	ds_read_b128 v[10:13], v53 offset:4304
	s_waitcnt lgkmcnt(0)
	v_mul_f32_e32 v21, v11, v7
	v_mul_f32_e32 v7, v10, v7
	v_fmac_f32_e32 v7, v11, v6
	v_fma_f32 v21, v10, v6, -v21
	v_add_f32_e32 v16, v16, v7
	v_mul_f32_e32 v6, v11, v9
	v_mul_f32_e32 v7, v10, v9
	v_fma_f32 v6, v10, v8, -v6
	v_fmac_f32_e32 v7, v11, v8
	v_add_f32_e32 v10, v17, v6
	v_add_f32_e32 v11, v18, v7
	ds_read2_b64 v[6:9], v14 offset0:96 offset1:112
	v_add_f32_e32 v15, v15, v21
	s_waitcnt lgkmcnt(0)
	v_mul_f32_e32 v17, v5, v7
	v_fma_f32 v17, v4, v6, -v17
	v_add_f32_e32 v17, v19, v17
	v_mul_f32_e32 v19, v5, v9
	v_mul_f32_e32 v18, v4, v7
	v_fma_f32 v19, v4, v8, -v19
	v_mul_f32_e32 v4, v4, v9
	v_fmac_f32_e32 v18, v5, v6
	v_fmac_f32_e32 v4, v5, v8
	v_add_f32_e32 v18, v20, v18
	v_add_f32_e32 v19, v2, v19
	;; [unrolled: 1-line block ×3, first 2 shown]
	v_mul_f32_e32 v2, v13, v7
	v_mul_f32_e32 v3, v12, v7
	v_fma_f32 v2, v12, v6, -v2
	v_fmac_f32_e32 v3, v13, v6
	v_add_f32_e32 v21, v15, v2
	v_add_f32_e32 v32, v16, v3
	v_mul_f32_e32 v2, v13, v9
	v_mul_f32_e32 v3, v12, v9
	v_fma_f32 v2, v12, v8, -v2
	v_fmac_f32_e32 v3, v13, v8
	v_add_f32_e32 v10, v10, v2
	v_add_f32_e32 v11, v11, v3
	ds_read_b128 v[2:5], v53 offset:224
	ds_read2_b64 v[6:9], v14 offset0:128 offset1:144
	s_waitcnt lgkmcnt(0)
	v_mul_f32_e32 v12, v3, v7
	v_mul_f32_e32 v13, v2, v7
	;; [unrolled: 1-line block ×3, first 2 shown]
	v_fma_f32 v12, v2, v6, -v12
	v_fmac_f32_e32 v13, v3, v6
	v_fma_f32 v15, v2, v8, -v15
	v_mul_f32_e32 v2, v2, v9
	v_add_f32_e32 v12, v17, v12
	v_add_f32_e32 v13, v18, v13
	v_fmac_f32_e32 v2, v3, v8
	v_add_f32_e32 v3, v19, v15
	ds_read_b128 v[15:18], v53 offset:4320
	v_add_f32_e32 v2, v20, v2
	s_waitcnt lgkmcnt(0)
	v_mul_f32_e32 v19, v16, v7
	v_mul_f32_e32 v7, v15, v7
	v_fmac_f32_e32 v7, v16, v6
	v_fma_f32 v19, v15, v6, -v19
	v_add_f32_e32 v20, v32, v7
	v_mul_f32_e32 v6, v16, v9
	v_mul_f32_e32 v7, v15, v9
	v_fma_f32 v6, v15, v8, -v6
	v_fmac_f32_e32 v7, v16, v8
	v_add_f32_e32 v19, v21, v19
	v_add_f32_e32 v21, v10, v6
	;; [unrolled: 1-line block ×3, first 2 shown]
	ds_read2_b64 v[6:9], v14 offset0:160 offset1:176
	s_waitcnt lgkmcnt(0)
	v_mul_f32_e32 v10, v5, v7
	v_fma_f32 v10, v4, v6, -v10
	v_add_f32_e32 v10, v12, v10
	v_mul_f32_e32 v12, v5, v9
	v_mul_f32_e32 v11, v4, v7
	v_fma_f32 v12, v4, v8, -v12
	v_mul_f32_e32 v4, v4, v9
	v_fmac_f32_e32 v11, v5, v6
	v_fmac_f32_e32 v4, v5, v8
	v_add_f32_e32 v11, v13, v11
	v_add_f32_e32 v12, v3, v12
	;; [unrolled: 1-line block ×3, first 2 shown]
	v_mul_f32_e32 v2, v18, v7
	v_mul_f32_e32 v3, v17, v7
	v_fma_f32 v2, v17, v6, -v2
	v_fmac_f32_e32 v3, v18, v6
	v_add_f32_e32 v15, v19, v2
	v_add_f32_e32 v16, v20, v3
	v_mul_f32_e32 v2, v18, v9
	v_mul_f32_e32 v3, v17, v9
	v_fma_f32 v2, v17, v8, -v2
	v_fmac_f32_e32 v3, v18, v8
	v_add_f32_e32 v17, v21, v2
	v_add_f32_e32 v18, v32, v3
	ds_read_b128 v[2:5], v53 offset:240
	ds_read2_b64 v[6:9], v14 offset0:192 offset1:208
	s_waitcnt lgkmcnt(0)
	v_mul_f32_e32 v19, v3, v7
	v_mul_f32_e32 v20, v2, v7
	v_fma_f32 v19, v2, v6, -v19
	v_fmac_f32_e32 v20, v3, v6
	v_add_f32_e32 v19, v10, v19
	v_add_f32_e32 v21, v11, v20
	v_mul_f32_e32 v10, v3, v9
	v_mul_f32_e32 v11, v2, v9
	v_fma_f32 v10, v2, v8, -v10
	v_fmac_f32_e32 v11, v3, v8
	v_add_f32_e32 v2, v12, v10
	v_add_f32_e32 v3, v13, v11
	ds_read_b128 v[10:13], v53 offset:4336
	s_waitcnt lgkmcnt(0)
	v_mul_f32_e32 v20, v11, v7
	v_mul_f32_e32 v7, v10, v7
	v_fmac_f32_e32 v7, v11, v6
	v_fma_f32 v20, v10, v6, -v20
	v_add_f32_e32 v32, v16, v7
	v_mul_f32_e32 v6, v11, v9
	v_mul_f32_e32 v7, v10, v9
	v_fma_f32 v6, v10, v8, -v6
	v_fmac_f32_e32 v7, v11, v8
	v_add_f32_e32 v10, v17, v6
	v_add_f32_e32 v11, v18, v7
	ds_read2_b64 v[6:9], v14 offset0:224 offset1:240
	v_add_f32_e32 v15, v15, v20
	s_waitcnt lgkmcnt(0)
	s_barrier
	v_mul_f32_e32 v14, v5, v7
	v_fma_f32 v14, v4, v6, -v14
	v_add_f32_e32 v20, v19, v14
	v_mul_f32_e32 v14, v5, v9
	v_mul_f32_e32 v16, v4, v7
	v_fma_f32 v14, v4, v8, -v14
	v_mul_f32_e32 v4, v4, v9
	v_fmac_f32_e32 v4, v5, v8
	v_add_f32_e32 v18, v2, v14
	v_add_f32_e32 v19, v3, v4
	v_mul_f32_e32 v2, v13, v7
	v_mul_f32_e32 v3, v12, v7
	v_fmac_f32_e32 v16, v5, v6
	v_fma_f32 v2, v12, v6, -v2
	v_fmac_f32_e32 v3, v13, v6
	v_add_f32_e32 v21, v21, v16
	v_add_f32_e32 v16, v15, v2
	;; [unrolled: 1-line block ×3, first 2 shown]
	v_mul_f32_e32 v2, v13, v9
	v_mul_f32_e32 v3, v12, v9
	v_fma_f32 v2, v12, v8, -v2
	v_fmac_f32_e32 v3, v13, v8
	v_add_f32_e32 v15, v10, v2
	v_add_f32_e32 v14, v11, v3
	s_cbranch_scc1 .LBB76_56
.LBB76_7:                               ;   Parent Loop BB76_4 Depth=1
                                        ; =>  This Inner Loop Header: Depth=2
	v_mov_b32_e32 v2, s27
	v_add_co_u32_e64 v4, s[10:11], s26, v24
	v_addc_co_u32_e64 v5, s[10:11], v25, v2, s[10:11]
	v_mov_b32_e32 v3, s21
	v_add_co_u32_e64 v2, s[10:11], s20, v50
	v_addc_co_u32_e64 v3, s[10:11], v51, v3, s[10:11]
	v_cmp_le_i64_e64 s[12:13], s[42:43], v[4:5]
	v_cmp_eq_u64_e64 s[16:17], s[26:27], v[30:31]
	v_cmp_lt_i64_e64 s[10:11], v[4:5], v[22:23]
	s_and_b64 s[38:39], s[40:41], s[16:17]
	s_or_b64 s[16:17], s[12:13], s[10:11]
	s_or_b64 s[16:17], s[16:17], s[38:39]
	s_nor_b64 s[16:17], s[0:1], s[16:17]
	s_and_saveexec_b64 s[18:19], s[16:17]
	s_xor_b64 s[16:17], exec, s[18:19]
	s_cbranch_execz .LBB76_9
; %bb.8:                                ;   in Loop: Header=BB76_7 Depth=2
	global_load_dwordx2 v[6:7], v[2:3], off
	s_waitcnt vmcnt(0)
	ds_write_b64 v52, v[6:7]
.LBB76_9:                               ;   in Loop: Header=BB76_7 Depth=2
	s_or_saveexec_b64 s[16:17], s[16:17]
	s_xor_b64 s[28:29], s[38:39], -1
	s_xor_b64 exec, exec, s[16:17]
	s_cbranch_execz .LBB76_15
; %bb.10:                               ;   in Loop: Header=BB76_7 Depth=2
	s_and_saveexec_b64 s[18:19], s[28:29]
	s_xor_b64 s[18:19], exec, s[18:19]
; %bb.11:                               ;   in Loop: Header=BB76_7 Depth=2
	v_mov_b32_e32 v6, v43
	v_mov_b32_e32 v7, v43
	ds_write_b64 v52, v[6:7]
; %bb.12:                               ;   in Loop: Header=BB76_7 Depth=2
	s_andn2_saveexec_b64 s[18:19], s[18:19]
; %bb.13:                               ;   in Loop: Header=BB76_7 Depth=2
	ds_write_b64 v52, v[42:43]
; %bb.14:                               ;   in Loop: Header=BB76_7 Depth=2
	s_or_b64 exec, exec, s[18:19]
.LBB76_15:                              ;   in Loop: Header=BB76_7 Depth=2
	s_or_b64 exec, exec, s[16:17]
	v_cmp_eq_u64_e64 s[16:17], s[26:27], v[36:37]
	v_cmp_gt_i64_e64 s[18:19], v[26:27], v[4:5]
	s_and_b64 s[16:17], s[40:41], s[16:17]
	s_or_b64 s[12:13], s[12:13], s[18:19]
	s_or_b64 s[12:13], s[12:13], s[16:17]
	s_nor_b64 s[12:13], s[2:3], s[12:13]
	s_and_saveexec_b64 s[18:19], s[12:13]
	s_xor_b64 s[18:19], exec, s[18:19]
	s_cbranch_execz .LBB76_17
; %bb.16:                               ;   in Loop: Header=BB76_7 Depth=2
	v_mov_b32_e32 v7, s21
	v_add_co_u32_e64 v6, s[12:13], s20, v54
	v_addc_co_u32_e64 v7, s[12:13], v55, v7, s[12:13]
	global_load_dwordx2 v[6:7], v[6:7], off
	s_waitcnt vmcnt(0)
	ds_write_b64 v52, v[6:7] offset:128
.LBB76_17:                              ;   in Loop: Header=BB76_7 Depth=2
	s_andn2_saveexec_b64 s[12:13], s[18:19]
	s_cbranch_execz .LBB76_23
; %bb.18:                               ;   in Loop: Header=BB76_7 Depth=2
	s_xor_b64 s[16:17], s[16:17], -1
	s_and_saveexec_b64 s[18:19], s[16:17]
	s_xor_b64 s[16:17], exec, s[18:19]
; %bb.19:                               ;   in Loop: Header=BB76_7 Depth=2
	v_mov_b32_e32 v6, v43
	v_mov_b32_e32 v7, v43
	ds_write_b64 v52, v[6:7] offset:128
; %bb.20:                               ;   in Loop: Header=BB76_7 Depth=2
	s_andn2_saveexec_b64 s[16:17], s[16:17]
; %bb.21:                               ;   in Loop: Header=BB76_7 Depth=2
	ds_write_b64 v52, v[42:43] offset:128
; %bb.22:                               ;   in Loop: Header=BB76_7 Depth=2
	s_or_b64 exec, exec, s[16:17]
.LBB76_23:                              ;   in Loop: Header=BB76_7 Depth=2
	s_or_b64 exec, exec, s[12:13]
	v_add_co_u32_e64 v4, s[12:13], 16, v4
	v_addc_co_u32_e64 v5, s[12:13], 0, v5, s[12:13]
	v_cmp_le_i64_e64 s[12:13], s[42:43], v[4:5]
	v_cmp_eq_u64_e64 s[16:17], s[26:27], v[38:39]
	v_cmp_lt_i64_e64 s[18:19], v[4:5], v[22:23]
	s_and_b64 s[48:49], s[40:41], s[16:17]
	s_or_b64 s[16:17], s[12:13], s[18:19]
	s_or_b64 s[16:17], s[16:17], s[48:49]
	s_nor_b64 s[16:17], s[0:1], s[16:17]
	s_and_saveexec_b64 s[18:19], s[16:17]
	s_xor_b64 s[16:17], exec, s[18:19]
	s_cbranch_execz .LBB76_25
; %bb.24:                               ;   in Loop: Header=BB76_7 Depth=2
	global_load_dwordx2 v[2:3], v[2:3], off offset:128
	s_waitcnt vmcnt(0)
	ds_write_b64 v52, v[2:3] offset:4096
.LBB76_25:                              ;   in Loop: Header=BB76_7 Depth=2
	s_andn2_saveexec_b64 s[16:17], s[16:17]
	s_cbranch_execz .LBB76_31
; %bb.26:                               ;   in Loop: Header=BB76_7 Depth=2
	s_xor_b64 s[18:19], s[48:49], -1
	s_and_saveexec_b64 s[48:49], s[18:19]
	s_xor_b64 s[18:19], exec, s[48:49]
; %bb.27:                               ;   in Loop: Header=BB76_7 Depth=2
	v_mov_b32_e32 v2, v43
	v_mov_b32_e32 v3, v43
	ds_write_b64 v52, v[2:3] offset:4096
; %bb.28:                               ;   in Loop: Header=BB76_7 Depth=2
	s_andn2_saveexec_b64 s[18:19], s[18:19]
; %bb.29:                               ;   in Loop: Header=BB76_7 Depth=2
	ds_write_b64 v52, v[42:43] offset:4096
; %bb.30:                               ;   in Loop: Header=BB76_7 Depth=2
	s_or_b64 exec, exec, s[18:19]
.LBB76_31:                              ;   in Loop: Header=BB76_7 Depth=2
	s_or_b64 exec, exec, s[16:17]
	s_or_b64 s[10:11], s[12:13], s[10:11]
	s_or_b64 s[10:11], s[10:11], s[38:39]
	s_nor_b64 s[10:11], s[2:3], s[10:11]
	s_and_saveexec_b64 s[12:13], s[10:11]
	s_xor_b64 s[12:13], exec, s[12:13]
	s_cbranch_execz .LBB76_33
; %bb.32:                               ;   in Loop: Header=BB76_7 Depth=2
	v_mov_b32_e32 v3, s21
	v_add_co_u32_e64 v2, s[10:11], s20, v54
	v_addc_co_u32_e64 v3, s[10:11], v55, v3, s[10:11]
	global_load_dwordx2 v[2:3], v[2:3], off offset:128
	s_waitcnt vmcnt(0)
	ds_write_b64 v52, v[2:3] offset:4224
.LBB76_33:                              ;   in Loop: Header=BB76_7 Depth=2
	s_andn2_saveexec_b64 s[10:11], s[12:13]
	s_cbranch_execz .LBB76_39
; %bb.34:                               ;   in Loop: Header=BB76_7 Depth=2
	s_and_saveexec_b64 s[12:13], s[28:29]
	s_xor_b64 s[12:13], exec, s[12:13]
; %bb.35:                               ;   in Loop: Header=BB76_7 Depth=2
	v_mov_b32_e32 v2, v43
	v_mov_b32_e32 v3, v43
	ds_write_b64 v52, v[2:3] offset:4224
; %bb.36:                               ;   in Loop: Header=BB76_7 Depth=2
	s_andn2_saveexec_b64 s[12:13], s[12:13]
; %bb.37:                               ;   in Loop: Header=BB76_7 Depth=2
	ds_write_b64 v52, v[42:43] offset:4224
; %bb.38:                               ;   in Loop: Header=BB76_7 Depth=2
	s_or_b64 exec, exec, s[12:13]
.LBB76_39:                              ;   in Loop: Header=BB76_7 Depth=2
	s_or_b64 exec, exec, s[10:11]
	v_mov_b32_e32 v3, s27
	v_add_co_u32_e64 v2, s[10:11], s26, v22
	v_addc_co_u32_e64 v3, s[10:11], v23, v3, s[10:11]
	v_cmp_gt_i64_e64 s[10:11], s[42:43], v[2:3]
	s_and_b64 s[12:13], vcc, s[10:11]
	s_xor_b64 s[12:13], s[12:13], -1
	s_and_saveexec_b64 s[16:17], s[12:13]
	s_xor_b64 s[12:13], exec, s[16:17]
; %bb.40:                               ;   in Loop: Header=BB76_7 Depth=2
	v_mov_b32_e32 v4, v43
	v_mov_b32_e32 v5, v43
	ds_write_b64 v56, v[4:5]
; %bb.41:                               ;   in Loop: Header=BB76_7 Depth=2
	s_or_saveexec_b64 s[16:17], s[12:13]
	v_mov_b32_e32 v5, s21
	v_add_co_u32_e64 v4, s[12:13], s20, v46
	v_addc_co_u32_e64 v5, s[12:13], v47, v5, s[12:13]
	s_xor_b64 exec, exec, s[16:17]
	s_cbranch_execz .LBB76_43
; %bb.42:                               ;   in Loop: Header=BB76_7 Depth=2
	global_load_dwordx2 v[6:7], v[4:5], off offset:-128
	s_waitcnt vmcnt(0)
	ds_write_b64 v56, v[6:7]
.LBB76_43:                              ;   in Loop: Header=BB76_7 Depth=2
	s_or_b64 exec, exec, s[16:17]
	v_cmp_gt_i64_e64 s[12:13], s[46:47], v[2:3]
	s_and_b64 s[16:17], vcc, s[12:13]
	s_xor_b64 s[16:17], s[16:17], -1
	s_and_saveexec_b64 s[18:19], s[16:17]
	s_xor_b64 s[16:17], exec, s[18:19]
; %bb.44:                               ;   in Loop: Header=BB76_7 Depth=2
	v_mov_b32_e32 v2, v43
	v_mov_b32_e32 v3, v43
	ds_write_b64 v56, v[2:3] offset:128
                                        ; implicit-def: $vgpr4_vgpr5
; %bb.45:                               ;   in Loop: Header=BB76_7 Depth=2
	s_andn2_saveexec_b64 s[16:17], s[16:17]
	s_cbranch_execz .LBB76_47
; %bb.46:                               ;   in Loop: Header=BB76_7 Depth=2
	global_load_dwordx2 v[2:3], v[4:5], off
	s_waitcnt vmcnt(0)
	ds_write_b64 v56, v[2:3] offset:128
.LBB76_47:                              ;   in Loop: Header=BB76_7 Depth=2
	s_or_b64 exec, exec, s[16:17]
	s_and_b64 s[10:11], s[8:9], s[10:11]
	s_xor_b64 s[10:11], s[10:11], -1
	s_and_saveexec_b64 s[16:17], s[10:11]
	s_xor_b64 s[10:11], exec, s[16:17]
; %bb.48:                               ;   in Loop: Header=BB76_7 Depth=2
	v_mov_b32_e32 v2, v43
	v_mov_b32_e32 v3, v43
	ds_write_b64 v56, v[2:3] offset:4096
; %bb.49:                               ;   in Loop: Header=BB76_7 Depth=2
	s_or_saveexec_b64 s[16:17], s[10:11]
	v_mov_b32_e32 v3, s21
	v_add_co_u32_e64 v2, s[10:11], s20, v48
	v_addc_co_u32_e64 v3, s[10:11], v49, v3, s[10:11]
	s_xor_b64 exec, exec, s[16:17]
	s_cbranch_execz .LBB76_51
; %bb.50:                               ;   in Loop: Header=BB76_7 Depth=2
	global_load_dwordx2 v[4:5], v[2:3], off
	s_waitcnt vmcnt(0)
	ds_write_b64 v56, v[4:5] offset:4096
.LBB76_51:                              ;   in Loop: Header=BB76_7 Depth=2
	s_or_b64 exec, exec, s[16:17]
	s_and_b64 s[10:11], s[8:9], s[12:13]
	s_xor_b64 s[10:11], s[10:11], -1
	s_and_saveexec_b64 s[12:13], s[10:11]
	s_xor_b64 s[10:11], exec, s[12:13]
; %bb.52:                               ;   in Loop: Header=BB76_7 Depth=2
	v_mov_b32_e32 v2, v43
	v_mov_b32_e32 v3, v43
	ds_write_b64 v56, v[2:3] offset:4224
                                        ; implicit-def: $vgpr2_vgpr3
; %bb.53:                               ;   in Loop: Header=BB76_7 Depth=2
	s_andn2_saveexec_b64 s[10:11], s[10:11]
	s_cbranch_execz .LBB76_6
; %bb.54:                               ;   in Loop: Header=BB76_7 Depth=2
	global_load_dwordx2 v[2:3], v[2:3], off offset:128
	s_waitcnt vmcnt(0)
	ds_write_b64 v56, v[2:3] offset:4224
	s_branch .LBB76_6
.LBB76_55:                              ;   in Loop: Header=BB76_4 Depth=1
	v_mov_b32_e32 v20, 0
	v_mov_b32_e32 v21, 0
	;; [unrolled: 1-line block ×8, first 2 shown]
.LBB76_56:                              ;   in Loop: Header=BB76_4 Depth=1
	v_mul_lo_u32 v4, s45, v57
	v_mul_lo_u32 v5, s44, v58
	v_mad_u64_u32 v[2:3], s[8:9], s44, v57, 0
	v_cmp_gt_i32_e32 vcc, s30, v57
	v_add3_u32 v3, v3, v5, v4
	v_lshlrev_b64 v[2:3], 3, v[2:3]
	v_mov_b32_e32 v4, s51
	v_add_co_u32_e64 v2, s[8:9], s50, v2
	v_addc_co_u32_e64 v3, s[8:9], v4, v3, s[8:9]
	s_and_b64 s[8:9], s[4:5], vcc
	s_and_saveexec_b64 s[10:11], s[8:9]
	s_cbranch_execz .LBB76_58
; %bb.57:                               ;   in Loop: Header=BB76_4 Depth=1
	v_lshlrev_b64 v[4:5], 3, v[22:23]
	v_mul_f32_e32 v8, s35, v21
	v_add_co_u32_e64 v4, s[8:9], v2, v4
	v_addc_co_u32_e64 v5, s[8:9], v3, v5, s[8:9]
	global_load_dwordx2 v[6:7], v[4:5], off
	v_mul_f32_e32 v9, s34, v21
	v_fma_f32 v8, v20, s34, -v8
	v_fmac_f32_e32 v9, s35, v20
	s_waitcnt vmcnt(0)
	v_add_f32_e32 v6, v6, v8
	v_add_f32_e32 v7, v9, v7
	global_store_dwordx2 v[4:5], v[6:7], off
.LBB76_58:                              ;   in Loop: Header=BB76_4 Depth=1
	s_or_b64 exec, exec, s[10:11]
	s_and_b64 s[10:11], s[14:15], vcc
	s_and_saveexec_b64 s[8:9], s[10:11]
	s_cbranch_execz .LBB76_60
; %bb.59:                               ;   in Loop: Header=BB76_4 Depth=1
	v_lshlrev_b64 v[4:5], 3, v[28:29]
	v_mul_f32_e32 v6, s35, v19
	v_add_co_u32_e32 v2, vcc, v2, v4
	v_addc_co_u32_e32 v3, vcc, v3, v5, vcc
	global_load_dwordx2 v[4:5], v[2:3], off
	v_mul_f32_e32 v7, s34, v19
	v_fma_f32 v6, v18, s34, -v6
	v_fmac_f32_e32 v7, s35, v18
	s_waitcnt vmcnt(0)
	v_add_f32_e32 v4, v4, v6
	v_add_f32_e32 v5, v7, v5
	global_store_dwordx2 v[2:3], v[4:5], off
.LBB76_60:                              ;   in Loop: Header=BB76_4 Depth=1
	s_or_b64 exec, exec, s[8:9]
	v_add_u32_e32 v4, 16, v57
	v_ashrrev_i32_e32 v2, 31, v4
	v_mul_lo_u32 v5, s44, v2
	v_mul_lo_u32 v6, s45, v4
	v_mad_u64_u32 v[2:3], s[8:9], s44, v4, 0
	v_cmp_gt_i32_e32 vcc, s30, v4
	v_mov_b32_e32 v4, s51
	v_add3_u32 v3, v3, v5, v6
	v_lshlrev_b64 v[2:3], 3, v[2:3]
	v_add_co_u32_e64 v2, s[8:9], s50, v2
	v_addc_co_u32_e64 v3, s[8:9], v4, v3, s[8:9]
	s_and_b64 s[8:9], s[4:5], vcc
	s_and_saveexec_b64 s[10:11], s[8:9]
	s_cbranch_execz .LBB76_62
; %bb.61:                               ;   in Loop: Header=BB76_4 Depth=1
	v_lshlrev_b64 v[4:5], 3, v[22:23]
	v_mul_f32_e32 v8, s35, v17
	v_add_co_u32_e64 v4, s[8:9], v2, v4
	v_addc_co_u32_e64 v5, s[8:9], v3, v5, s[8:9]
	global_load_dwordx2 v[6:7], v[4:5], off
	v_mul_f32_e32 v9, s34, v17
	v_fma_f32 v8, v16, s34, -v8
	v_fmac_f32_e32 v9, s35, v16
	s_waitcnt vmcnt(0)
	v_add_f32_e32 v6, v6, v8
	v_add_f32_e32 v7, v9, v7
	global_store_dwordx2 v[4:5], v[6:7], off
.LBB76_62:                              ;   in Loop: Header=BB76_4 Depth=1
	s_or_b64 exec, exec, s[10:11]
	s_and_b64 s[10:11], s[14:15], vcc
	s_and_saveexec_b64 s[8:9], s[10:11]
	s_cbranch_execz .LBB76_3
; %bb.63:                               ;   in Loop: Header=BB76_4 Depth=1
	v_lshlrev_b64 v[4:5], 3, v[28:29]
	v_mul_f32_e32 v6, s35, v14
	v_add_co_u32_e32 v2, vcc, v2, v4
	v_addc_co_u32_e32 v3, vcc, v3, v5, vcc
	global_load_dwordx2 v[4:5], v[2:3], off
	v_mul_f32_e32 v7, s34, v14
	v_fma_f32 v6, v15, s34, -v6
	v_fmac_f32_e32 v7, s35, v15
	s_waitcnt vmcnt(0)
	v_add_f32_e32 v4, v4, v6
	v_add_f32_e32 v5, v7, v5
	global_store_dwordx2 v[2:3], v[4:5], off
	s_branch .LBB76_3
.LBB76_64:
	s_endpgm
	.section	.rodata,"a",@progbits
	.p2align	6, 0x0
	.amdhsa_kernel _ZL30rocblas_trmm_outofplace_kernelI19rocblas_complex_numIfELi32ELi2ELb1ELb0ELb1ELb0EPKS1_S2_S1_Ev17rocblas_diagonal_iiT6_lPT7_lllS7_lllPT8_llli
		.amdhsa_group_segment_fixed_size 16384
		.amdhsa_private_segment_fixed_size 20
		.amdhsa_kernarg_size 392
		.amdhsa_user_sgpr_count 6
		.amdhsa_user_sgpr_private_segment_buffer 1
		.amdhsa_user_sgpr_dispatch_ptr 0
		.amdhsa_user_sgpr_queue_ptr 0
		.amdhsa_user_sgpr_kernarg_segment_ptr 1
		.amdhsa_user_sgpr_dispatch_id 0
		.amdhsa_user_sgpr_flat_scratch_init 0
		.amdhsa_user_sgpr_private_segment_size 0
		.amdhsa_uses_dynamic_stack 0
		.amdhsa_system_sgpr_private_segment_wavefront_offset 1
		.amdhsa_system_sgpr_workgroup_id_x 1
		.amdhsa_system_sgpr_workgroup_id_y 1
		.amdhsa_system_sgpr_workgroup_id_z 1
		.amdhsa_system_sgpr_workgroup_info 0
		.amdhsa_system_vgpr_workitem_id 1
		.amdhsa_next_free_vgpr 64
		.amdhsa_next_free_sgpr 61
		.amdhsa_reserve_vcc 1
		.amdhsa_reserve_flat_scratch 0
		.amdhsa_float_round_mode_32 0
		.amdhsa_float_round_mode_16_64 0
		.amdhsa_float_denorm_mode_32 3
		.amdhsa_float_denorm_mode_16_64 3
		.amdhsa_dx10_clamp 1
		.amdhsa_ieee_mode 1
		.amdhsa_fp16_overflow 0
		.amdhsa_exception_fp_ieee_invalid_op 0
		.amdhsa_exception_fp_denorm_src 0
		.amdhsa_exception_fp_ieee_div_zero 0
		.amdhsa_exception_fp_ieee_overflow 0
		.amdhsa_exception_fp_ieee_underflow 0
		.amdhsa_exception_fp_ieee_inexact 0
		.amdhsa_exception_int_div_zero 0
	.end_amdhsa_kernel
	.section	.text._ZL30rocblas_trmm_outofplace_kernelI19rocblas_complex_numIfELi32ELi2ELb1ELb0ELb1ELb0EPKS1_S2_S1_Ev17rocblas_diagonal_iiT6_lPT7_lllS7_lllPT8_llli,"axG",@progbits,_ZL30rocblas_trmm_outofplace_kernelI19rocblas_complex_numIfELi32ELi2ELb1ELb0ELb1ELb0EPKS1_S2_S1_Ev17rocblas_diagonal_iiT6_lPT7_lllS7_lllPT8_llli,comdat
.Lfunc_end76:
	.size	_ZL30rocblas_trmm_outofplace_kernelI19rocblas_complex_numIfELi32ELi2ELb1ELb0ELb1ELb0EPKS1_S2_S1_Ev17rocblas_diagonal_iiT6_lPT7_lllS7_lllPT8_llli, .Lfunc_end76-_ZL30rocblas_trmm_outofplace_kernelI19rocblas_complex_numIfELi32ELi2ELb1ELb0ELb1ELb0EPKS1_S2_S1_Ev17rocblas_diagonal_iiT6_lPT7_lllS7_lllPT8_llli
                                        ; -- End function
	.set _ZL30rocblas_trmm_outofplace_kernelI19rocblas_complex_numIfELi32ELi2ELb1ELb0ELb1ELb0EPKS1_S2_S1_Ev17rocblas_diagonal_iiT6_lPT7_lllS7_lllPT8_llli.num_vgpr, 64
	.set _ZL30rocblas_trmm_outofplace_kernelI19rocblas_complex_numIfELi32ELi2ELb1ELb0ELb1ELb0EPKS1_S2_S1_Ev17rocblas_diagonal_iiT6_lPT7_lllS7_lllPT8_llli.num_agpr, 0
	.set _ZL30rocblas_trmm_outofplace_kernelI19rocblas_complex_numIfELi32ELi2ELb1ELb0ELb1ELb0EPKS1_S2_S1_Ev17rocblas_diagonal_iiT6_lPT7_lllS7_lllPT8_llli.numbered_sgpr, 60
	.set _ZL30rocblas_trmm_outofplace_kernelI19rocblas_complex_numIfELi32ELi2ELb1ELb0ELb1ELb0EPKS1_S2_S1_Ev17rocblas_diagonal_iiT6_lPT7_lllS7_lllPT8_llli.num_named_barrier, 0
	.set _ZL30rocblas_trmm_outofplace_kernelI19rocblas_complex_numIfELi32ELi2ELb1ELb0ELb1ELb0EPKS1_S2_S1_Ev17rocblas_diagonal_iiT6_lPT7_lllS7_lllPT8_llli.private_seg_size, 20
	.set _ZL30rocblas_trmm_outofplace_kernelI19rocblas_complex_numIfELi32ELi2ELb1ELb0ELb1ELb0EPKS1_S2_S1_Ev17rocblas_diagonal_iiT6_lPT7_lllS7_lllPT8_llli.uses_vcc, 1
	.set _ZL30rocblas_trmm_outofplace_kernelI19rocblas_complex_numIfELi32ELi2ELb1ELb0ELb1ELb0EPKS1_S2_S1_Ev17rocblas_diagonal_iiT6_lPT7_lllS7_lllPT8_llli.uses_flat_scratch, 0
	.set _ZL30rocblas_trmm_outofplace_kernelI19rocblas_complex_numIfELi32ELi2ELb1ELb0ELb1ELb0EPKS1_S2_S1_Ev17rocblas_diagonal_iiT6_lPT7_lllS7_lllPT8_llli.has_dyn_sized_stack, 0
	.set _ZL30rocblas_trmm_outofplace_kernelI19rocblas_complex_numIfELi32ELi2ELb1ELb0ELb1ELb0EPKS1_S2_S1_Ev17rocblas_diagonal_iiT6_lPT7_lllS7_lllPT8_llli.has_recursion, 0
	.set _ZL30rocblas_trmm_outofplace_kernelI19rocblas_complex_numIfELi32ELi2ELb1ELb0ELb1ELb0EPKS1_S2_S1_Ev17rocblas_diagonal_iiT6_lPT7_lllS7_lllPT8_llli.has_indirect_call, 0
	.section	.AMDGPU.csdata,"",@progbits
; Kernel info:
; codeLenInByte = 6688
; TotalNumSgprs: 64
; NumVgprs: 64
; ScratchSize: 20
; MemoryBound: 1
; FloatMode: 240
; IeeeMode: 1
; LDSByteSize: 16384 bytes/workgroup (compile time only)
; SGPRBlocks: 8
; VGPRBlocks: 15
; NumSGPRsForWavesPerEU: 65
; NumVGPRsForWavesPerEU: 64
; Occupancy: 4
; WaveLimiterHint : 0
; COMPUTE_PGM_RSRC2:SCRATCH_EN: 1
; COMPUTE_PGM_RSRC2:USER_SGPR: 6
; COMPUTE_PGM_RSRC2:TRAP_HANDLER: 0
; COMPUTE_PGM_RSRC2:TGID_X_EN: 1
; COMPUTE_PGM_RSRC2:TGID_Y_EN: 1
; COMPUTE_PGM_RSRC2:TGID_Z_EN: 1
; COMPUTE_PGM_RSRC2:TIDIG_COMP_CNT: 1
	.section	.text._ZL30rocblas_trmm_outofplace_kernelI19rocblas_complex_numIfELi32ELi2ELb1ELb0ELb1ELb0ES1_KS1_S1_Ev17rocblas_diagonal_iiT6_lPT7_lllS6_lllPT8_llli,"axG",@progbits,_ZL30rocblas_trmm_outofplace_kernelI19rocblas_complex_numIfELi32ELi2ELb1ELb0ELb1ELb0ES1_KS1_S1_Ev17rocblas_diagonal_iiT6_lPT7_lllS6_lllPT8_llli,comdat
	.globl	_ZL30rocblas_trmm_outofplace_kernelI19rocblas_complex_numIfELi32ELi2ELb1ELb0ELb1ELb0ES1_KS1_S1_Ev17rocblas_diagonal_iiT6_lPT7_lllS6_lllPT8_llli ; -- Begin function _ZL30rocblas_trmm_outofplace_kernelI19rocblas_complex_numIfELi32ELi2ELb1ELb0ELb1ELb0ES1_KS1_S1_Ev17rocblas_diagonal_iiT6_lPT7_lllS6_lllPT8_llli
	.p2align	8
	.type	_ZL30rocblas_trmm_outofplace_kernelI19rocblas_complex_numIfELi32ELi2ELb1ELb0ELb1ELb0ES1_KS1_S1_Ev17rocblas_diagonal_iiT6_lPT7_lllS6_lllPT8_llli,@function
_ZL30rocblas_trmm_outofplace_kernelI19rocblas_complex_numIfELi32ELi2ELb1ELb0ELb1ELb0ES1_KS1_S1_Ev17rocblas_diagonal_iiT6_lPT7_lllS6_lllPT8_llli: ; @_ZL30rocblas_trmm_outofplace_kernelI19rocblas_complex_numIfELi32ELi2ELb1ELb0ELb1ELb0ES1_KS1_S1_Ev17rocblas_diagonal_iiT6_lPT7_lllS6_lllPT8_llli
; %bb.0:
	s_load_dwordx4 s[28:31], s[4:5], 0x0
	s_load_dword s33, s[4:5], 0x10
	s_mov_b64 s[58:59], s[2:3]
	s_mov_b64 s[56:57], s[0:1]
	s_add_u32 s56, s56, s9
	s_addc_u32 s57, s57, 0
	s_waitcnt lgkmcnt(0)
	s_or_b32 s0, s31, s33
	s_bitset0_b32 s0, 31
	s_cmp_eq_u32 s0, 0
	s_cbranch_scc1 .LBB77_64
; %bb.1:
	s_add_i32 s0, s30, -1
	s_ashr_i32 s1, s0, 31
	s_lshr_b32 s1, s1, 27
	s_add_i32 s0, s0, s1
	s_ashr_i32 s48, s0, 5
	s_cmp_gt_i32 s7, s48
	s_cbranch_scc1 .LBB77_64
; %bb.2:
	s_load_dwordx16 s[12:27], s[4:5], 0x20
	s_load_dwordx8 s[36:43], s[4:5], 0x60
	s_load_dword s53, s[4:5], 0x8c
	s_mov_b32 s52, s30
	v_mov_b32_e32 v43, 0
	s_waitcnt lgkmcnt(0)
	s_mul_i32 s1, s19, s8
	s_mul_hi_u32 s2, s18, s8
	s_mul_i32 s0, s18, s8
	s_add_i32 s1, s2, s1
	s_lshl_b64 s[10:11], s[0:1], 3
	s_add_u32 s0, s12, s10
	s_addc_u32 s1, s13, s11
	s_lshl_b64 s[18:19], s[14:15], 3
	s_add_u32 s2, s0, s18
	s_addc_u32 s3, s1, s19
	s_mul_i32 s0, s43, s8
	s_mul_hi_u32 s1, s42, s8
	s_add_i32 s1, s1, s0
	s_mul_i32 s0, s42, s8
	s_lshl_b64 s[0:1], s[0:1], 3
	s_add_u32 s9, s36, s0
	s_addc_u32 s14, s37, s1
	s_lshl_b64 s[0:1], s[38:39], 3
	s_add_u32 s49, s9, s0
	s_addc_u32 s50, s14, s1
	s_lshl_b32 s6, s6, 5
	v_add_u32_e32 v22, s6, v0
	v_ashrrev_i32_e32 v23, 31, v22
	v_mul_lo_u32 v4, s16, v23
	v_mul_lo_u32 v5, s17, v22
	v_mad_u64_u32 v[2:3], s[0:1], s16, v22, 0
	v_add_u32_e32 v24, s6, v1
	s_sub_i32 s6, s29, s6
	v_add3_u32 v3, v3, v4, v5
	v_lshlrev_b64 v[2:3], 3, v[2:3]
	s_cmp_gt_i32 s6, 0
	v_ashrrev_i32_e32 v25, 31, v24
	v_mov_b32_e32 v4, s3
	v_add_co_u32_e32 v5, vcc, s2, v2
	s_cselect_b64 s[34:35], -1, 0
	s_cmpk_eq_i32 s28, 0x84
	v_addc_co_u32_e32 v4, vcc, v4, v3, vcc
	v_lshlrev_b64 v[2:3], 3, v[24:25]
	s_cselect_b64 s[36:37], -1, 0
	s_ashr_i32 s39, s29, 31
	s_ashr_i32 s51, s30, 31
	s_add_u32 s42, s29, -16
	s_mul_i32 s9, s27, s8
	s_mul_hi_u32 s27, s26, s8
	v_add_co_u32_e32 v50, vcc, v5, v2
	s_addc_u32 s43, s39, -1
	s_add_i32 s9, s27, s9
	s_mul_i32 s8, s26, s8
	v_addc_co_u32_e32 v51, vcc, v4, v3, vcc
	s_lshl_b64 s[8:9], s[8:9], 3
	s_lshl_b64 s[22:23], s[22:23], 3
	v_add_co_u32_e32 v26, vcc, 16, v22
	s_add_u32 s8, s8, s22
	v_addc_co_u32_e32 v27, vcc, 0, v23, vcc
	s_addc_u32 s9, s9, s23
	v_sub_co_u32_e32 v30, vcc, v22, v24
	v_lshlrev_b64 v[6:7], 3, v[22:23]
	s_add_u32 s8, s20, s8
	v_lshlrev_b32_e32 v4, 8, v1
	v_lshlrev_b32_e32 v0, 3, v0
	v_subb_co_u32_e32 v31, vcc, v23, v25, vcc
	s_addc_u32 s9, s21, s9
	v_add_u32_e32 v52, v0, v4
	v_add_u32_e32 v53, 0x2000, v4
	v_mov_b32_e32 v4, s9
	v_add_co_u32_e32 v8, vcc, s8, v6
	s_lshl_b64 s[20:21], s[24:25], 3
	s_lshl_b32 s54, s53, 5
	v_addc_co_u32_e32 v9, vcc, v4, v7, vcc
	s_movk_i32 s22, 0x80
	s_add_u32 s8, s18, s10
	v_add_co_u32_e32 v6, vcc, s22, v6
	s_addc_u32 s9, s19, s11
	v_mov_b32_e32 v4, s8
	v_addc_co_u32_e32 v7, vcc, 0, v7, vcc
	v_mov_b32_e32 v5, s9
	v_mad_u64_u32 v[4:5], s[8:9], s16, v6, v[4:5]
	v_mul_lo_u32 v7, s16, v7
	v_mul_lo_u32 v6, s17, v6
	v_add_co_u32_e32 v36, vcc, 16, v30
	v_addc_co_u32_e32 v37, vcc, 0, v31, vcc
	v_add_co_u32_e32 v38, vcc, -16, v30
	v_addc_co_u32_e32 v39, vcc, -1, v31, vcc
	v_add3_u32 v5, v6, v5, v7
	v_add_co_u32_e32 v2, vcc, v4, v2
	v_addc_co_u32_e32 v3, vcc, v5, v3, vcc
	v_mov_b32_e32 v4, s13
	v_add_co_u32_e32 v54, vcc, s12, v2
	v_addc_co_u32_e32 v55, vcc, v4, v3, vcc
	v_add_co_u32_e32 v2, vcc, s22, v8
	buffer_store_dword v8, off, s[56:59], 0 ; 4-byte Folded Spill
	s_nop 0
	buffer_store_dword v9, off, s[56:59], 0 offset:4 ; 4-byte Folded Spill
	s_mov_b32 s38, s29
	v_cmp_le_i64_e64 s[2:3], s[38:39], v[26:27]
	v_add_u32_e32 v28, 16, v22
	v_cmp_le_i32_e64 s[0:1], s29, v22
	v_cmp_gt_i32_e64 s[4:5], s29, v22
	v_cmp_gt_i32_e64 s[14:15], s29, v28
	v_ashrrev_i32_e32 v29, 31, v28
	v_mov_b32_e32 v42, 1.0
	v_add_u32_e32 v56, v53, v0
	v_lshl_add_u32 v44, s7, 5, v1
	v_addc_co_u32_e32 v3, vcc, 0, v9, vcc
	buffer_store_dword v2, off, s[56:59], 0 offset:8 ; 4-byte Folded Spill
	s_nop 0
	buffer_store_dword v3, off, s[56:59], 0 offset:12 ; 4-byte Folded Spill
	s_branch .LBB77_4
.LBB77_3:                               ;   in Loop: Header=BB77_4 Depth=1
	s_or_b64 exec, exec, s[8:9]
	s_add_i32 s7, s53, s7
	s_cmp_le_i32 s7, s48
	v_add_u32_e32 v44, s54, v44
	s_cbranch_scc0 .LBB77_64
.LBB77_4:                               ; =>This Loop Header: Depth=1
                                        ;     Child Loop BB77_7 Depth 2
	v_lshl_add_u32 v57, s7, 5, v1
	s_andn2_b64 vcc, exec, s[34:35]
	v_ashrrev_i32_e32 v58, 31, v57
	s_cbranch_vccnz .LBB77_55
; %bb.5:                                ;   in Loop: Header=BB77_4 Depth=1
	buffer_load_dword v2, off, s[56:59], 0 offset:8 ; 4-byte Folded Reload
	buffer_load_dword v3, off, s[56:59], 0 offset:12 ; 4-byte Folded Reload
	buffer_load_dword v7, off, s[56:59], 0  ; 4-byte Folded Reload
	buffer_load_dword v8, off, s[56:59], 0 offset:4 ; 4-byte Folded Reload
	v_ashrrev_i32_e32 v45, 31, v44
	v_mul_lo_u32 v4, s21, v44
	v_mul_lo_u32 v5, s20, v45
	s_mov_b64 s[22:23], 0
	v_mov_b32_e32 v14, 0
	s_mov_b64 s[26:27], 0
	v_mov_b32_e32 v15, 0
	v_mov_b32_e32 v17, 0
	;; [unrolled: 1-line block ×7, first 2 shown]
	s_waitcnt vmcnt(2)
	v_mad_u64_u32 v[46:47], s[8:9], s20, v44, v[2:3]
	v_lshlrev_b64 v[2:3], 3, v[44:45]
	v_add_co_u32_e32 v2, vcc, 0x80, v2
	v_addc_co_u32_e32 v3, vcc, 0, v3, vcc
	v_mul_lo_u32 v3, s24, v3
	v_mul_lo_u32 v6, s25, v2
	s_waitcnt vmcnt(0)
	v_mad_u64_u32 v[48:49], s[8:9], s24, v2, v[7:8]
	v_sub_co_u32_e32 v2, vcc, s52, v57
	v_add3_u32 v49, v6, v49, v3
	v_mov_b32_e32 v3, s51
	v_subb_co_u32_e32 v3, vcc, v3, v58, vcc
	v_cmp_lt_i64_e32 vcc, 0, v[2:3]
	v_cmp_lt_i64_e64 s[8:9], 16, v[2:3]
	v_add3_u32 v47, v4, v47, v5
	s_branch .LBB77_7
.LBB77_6:                               ;   in Loop: Header=BB77_7 Depth=2
	s_or_b64 exec, exec, s[10:11]
	s_waitcnt lgkmcnt(0)
	s_barrier
	ds_read_b128 v[59:62], v53
	ds_read_b128 v[10:13], v53 offset:16
	ds_read_b128 v[6:9], v53 offset:32
	;; [unrolled: 1-line block ×3, first 2 shown]
	ds_read2_b64 v[32:35], v0 offset1:16
	s_add_u32 s26, s26, 32
	s_addc_u32 s27, s27, 0
	s_add_u32 s22, s22, 0x100
	s_addc_u32 s23, s23, 0
	s_waitcnt lgkmcnt(0)
	v_mul_f32_e32 v45, v60, v33
	v_mul_f32_e32 v63, v59, v33
	v_fma_f32 v45, v59, v32, -v45
	v_fmac_f32_e32 v63, v60, v32
	v_add_f32_e32 v45, v20, v45
	v_add_f32_e32 v63, v21, v63
	v_mul_f32_e32 v20, v60, v35
	v_mul_f32_e32 v21, v59, v35
	v_fma_f32 v20, v59, v34, -v20
	v_fmac_f32_e32 v21, v60, v34
	v_add_f32_e32 v59, v18, v20
	v_add_f32_e32 v60, v19, v21
	ds_read_b128 v[18:21], v53 offset:4096
	s_cmp_ge_i32 s26, s6
	s_waitcnt lgkmcnt(0)
	v_mul_f32_e32 v40, v19, v33
	v_mul_f32_e32 v33, v18, v33
	v_fma_f32 v40, v18, v32, -v40
	v_fmac_f32_e32 v33, v19, v32
	v_add_f32_e32 v32, v16, v40
	v_add_f32_e32 v33, v17, v33
	v_mul_f32_e32 v16, v19, v35
	v_mul_f32_e32 v17, v18, v35
	v_fma_f32 v16, v18, v34, -v16
	v_fmac_f32_e32 v17, v19, v34
	v_add_f32_e32 v18, v15, v16
	v_add_f32_e32 v19, v14, v17
	ds_read2_b64 v[14:17], v0 offset0:32 offset1:48
	s_waitcnt lgkmcnt(0)
	v_mul_f32_e32 v34, v62, v15
	v_fma_f32 v34, v61, v14, -v34
	v_mul_f32_e32 v35, v61, v15
	v_add_f32_e32 v34, v45, v34
	v_mul_f32_e32 v45, v21, v15
	v_mul_f32_e32 v15, v20, v15
	;; [unrolled: 1-line block ×3, first 2 shown]
	v_fmac_f32_e32 v15, v21, v14
	v_fmac_f32_e32 v35, v62, v14
	v_fma_f32 v40, v61, v16, -v40
	v_mul_f32_e32 v41, v61, v17
	v_fma_f32 v45, v20, v14, -v45
	v_add_f32_e32 v61, v33, v15
	v_mul_f32_e32 v14, v21, v17
	v_mul_f32_e32 v15, v20, v17
	v_fma_f32 v14, v20, v16, -v14
	v_fmac_f32_e32 v15, v21, v16
	v_add_f32_e32 v35, v63, v35
	v_fmac_f32_e32 v41, v62, v16
	v_add_f32_e32 v62, v18, v14
	v_add_f32_e32 v63, v19, v15
	ds_read2_b64 v[14:17], v0 offset0:64 offset1:80
	v_add_f32_e32 v40, v59, v40
	v_add_f32_e32 v41, v60, v41
	;; [unrolled: 1-line block ×3, first 2 shown]
	s_waitcnt lgkmcnt(0)
	v_mul_f32_e32 v18, v11, v15
	v_mul_f32_e32 v19, v10, v15
	v_fma_f32 v18, v10, v14, -v18
	v_fmac_f32_e32 v19, v11, v14
	v_add_f32_e32 v45, v34, v18
	v_add_f32_e32 v59, v35, v19
	v_mul_f32_e32 v18, v11, v17
	v_mul_f32_e32 v19, v10, v17
	v_fma_f32 v18, v10, v16, -v18
	v_fmac_f32_e32 v19, v11, v16
	v_add_f32_e32 v10, v40, v18
	v_add_f32_e32 v11, v41, v19
	ds_read_b128 v[18:21], v53 offset:4112
	s_waitcnt lgkmcnt(0)
	v_mul_f32_e32 v32, v19, v15
	v_mul_f32_e32 v15, v18, v15
	v_fmac_f32_e32 v15, v19, v14
	v_fma_f32 v32, v18, v14, -v32
	v_add_f32_e32 v33, v61, v15
	v_mul_f32_e32 v14, v19, v17
	v_mul_f32_e32 v15, v18, v17
	v_fma_f32 v14, v18, v16, -v14
	v_fmac_f32_e32 v15, v19, v16
	v_add_f32_e32 v18, v62, v14
	v_add_f32_e32 v19, v63, v15
	ds_read2_b64 v[14:17], v0 offset0:96 offset1:112
	v_add_f32_e32 v32, v60, v32
	s_waitcnt lgkmcnt(0)
	v_mul_f32_e32 v34, v13, v15
	v_mul_f32_e32 v40, v13, v17
	v_fma_f32 v34, v12, v14, -v34
	v_mul_f32_e32 v35, v12, v15
	v_fma_f32 v40, v12, v16, -v40
	v_mul_f32_e32 v12, v12, v17
	v_fmac_f32_e32 v12, v13, v16
	v_add_f32_e32 v40, v10, v40
	v_add_f32_e32 v41, v11, v12
	v_mul_f32_e32 v10, v21, v15
	v_mul_f32_e32 v11, v20, v15
	v_fma_f32 v10, v20, v14, -v10
	v_fmac_f32_e32 v11, v21, v14
	v_fmac_f32_e32 v35, v13, v14
	v_add_f32_e32 v14, v32, v10
	v_add_f32_e32 v15, v33, v11
	v_mul_f32_e32 v10, v21, v17
	v_mul_f32_e32 v11, v20, v17
	v_fma_f32 v10, v20, v16, -v10
	v_fmac_f32_e32 v11, v21, v16
	v_add_f32_e32 v20, v18, v10
	v_add_f32_e32 v21, v19, v11
	ds_read2_b64 v[10:13], v0 offset0:128 offset1:144
	v_add_f32_e32 v34, v45, v34
	v_add_f32_e32 v35, v59, v35
	s_waitcnt lgkmcnt(0)
	v_mul_f32_e32 v16, v7, v11
	v_fma_f32 v16, v6, v10, -v16
	v_mul_f32_e32 v17, v6, v11
	v_add_f32_e32 v32, v34, v16
	v_mul_f32_e32 v16, v7, v13
	v_fmac_f32_e32 v17, v7, v10
	v_fma_f32 v16, v6, v12, -v16
	v_mul_f32_e32 v6, v6, v13
	v_add_f32_e32 v33, v35, v17
	v_fmac_f32_e32 v6, v7, v12
	v_add_f32_e32 v7, v40, v16
	ds_read_b128 v[16:19], v53 offset:4128
	v_add_f32_e32 v6, v41, v6
	s_waitcnt lgkmcnt(0)
	v_mul_f32_e32 v34, v17, v11
	v_mul_f32_e32 v11, v16, v11
	v_fmac_f32_e32 v11, v17, v10
	v_fma_f32 v34, v16, v10, -v34
	v_add_f32_e32 v15, v15, v11
	v_mul_f32_e32 v10, v17, v13
	v_mul_f32_e32 v11, v16, v13
	v_fma_f32 v10, v16, v12, -v10
	v_fmac_f32_e32 v11, v17, v12
	v_add_f32_e32 v20, v20, v10
	v_add_f32_e32 v21, v21, v11
	ds_read2_b64 v[10:13], v0 offset0:160 offset1:176
	v_add_f32_e32 v14, v14, v34
	s_waitcnt lgkmcnt(0)
	v_mul_f32_e32 v16, v9, v11
	v_fma_f32 v16, v8, v10, -v16
	v_add_f32_e32 v32, v32, v16
	v_mul_f32_e32 v16, v9, v13
	v_mul_f32_e32 v17, v8, v11
	v_fma_f32 v16, v8, v12, -v16
	v_mul_f32_e32 v8, v8, v13
	v_fmac_f32_e32 v8, v9, v12
	v_add_f32_e32 v34, v7, v16
	v_add_f32_e32 v35, v6, v8
	v_mul_f32_e32 v6, v19, v11
	v_mul_f32_e32 v7, v18, v11
	v_fmac_f32_e32 v17, v9, v10
	v_fma_f32 v6, v18, v10, -v6
	v_fmac_f32_e32 v7, v19, v10
	v_add_f32_e32 v33, v33, v17
	v_add_f32_e32 v16, v14, v6
	;; [unrolled: 1-line block ×3, first 2 shown]
	v_mul_f32_e32 v6, v19, v13
	v_mul_f32_e32 v7, v18, v13
	v_fma_f32 v6, v18, v12, -v6
	v_fmac_f32_e32 v7, v19, v12
	v_add_f32_e32 v18, v20, v6
	v_add_f32_e32 v19, v21, v7
	ds_read2_b64 v[6:9], v0 offset0:192 offset1:208
	s_waitcnt lgkmcnt(0)
	v_mul_f32_e32 v10, v3, v7
	v_mul_f32_e32 v11, v2, v7
	v_fma_f32 v10, v2, v6, -v10
	v_fmac_f32_e32 v11, v3, v6
	v_add_f32_e32 v14, v32, v10
	v_add_f32_e32 v15, v33, v11
	v_mul_f32_e32 v10, v3, v9
	v_mul_f32_e32 v11, v2, v9
	v_fma_f32 v10, v2, v8, -v10
	v_fmac_f32_e32 v11, v3, v8
	v_add_f32_e32 v2, v34, v10
	v_add_f32_e32 v3, v35, v11
	ds_read_b128 v[10:13], v53 offset:4144
	s_waitcnt lgkmcnt(0)
	v_mul_f32_e32 v20, v11, v7
	v_mul_f32_e32 v7, v10, v7
	v_fmac_f32_e32 v7, v11, v6
	v_fma_f32 v20, v10, v6, -v20
	v_add_f32_e32 v17, v17, v7
	v_mul_f32_e32 v6, v11, v9
	v_mul_f32_e32 v7, v10, v9
	v_fma_f32 v6, v10, v8, -v6
	v_fmac_f32_e32 v7, v11, v8
	v_add_f32_e32 v10, v18, v6
	v_add_f32_e32 v11, v19, v7
	ds_read2_b64 v[6:9], v0 offset0:224 offset1:240
	v_add_f32_e32 v16, v16, v20
	s_waitcnt lgkmcnt(0)
	v_mul_f32_e32 v18, v5, v7
	v_fma_f32 v18, v4, v6, -v18
	v_add_f32_e32 v18, v14, v18
	v_mul_f32_e32 v14, v5, v9
	v_mul_f32_e32 v19, v4, v7
	v_fma_f32 v14, v4, v8, -v14
	v_mul_f32_e32 v4, v4, v9
	v_fmac_f32_e32 v19, v5, v6
	v_fmac_f32_e32 v4, v5, v8
	v_add_f32_e32 v15, v15, v19
	v_add_f32_e32 v19, v2, v14
	;; [unrolled: 1-line block ×3, first 2 shown]
	v_mul_f32_e32 v2, v13, v7
	v_mul_f32_e32 v3, v12, v7
	v_fma_f32 v2, v12, v6, -v2
	v_fmac_f32_e32 v3, v13, v6
	v_add_f32_e32 v21, v16, v2
	v_add_f32_e32 v32, v17, v3
	v_mul_f32_e32 v2, v13, v9
	v_mul_f32_e32 v3, v12, v9
	v_fma_f32 v2, v12, v8, -v2
	v_fmac_f32_e32 v3, v13, v8
	v_add_u32_e32 v14, 0x800, v0
	v_add_f32_e32 v10, v10, v2
	v_add_f32_e32 v11, v11, v3
	ds_read_b128 v[2:5], v53 offset:64
	ds_read2_b64 v[6:9], v14 offset1:16
	s_waitcnt lgkmcnt(0)
	v_mul_f32_e32 v13, v2, v7
	v_fmac_f32_e32 v13, v3, v6
	v_mul_f32_e32 v12, v3, v7
	v_add_f32_e32 v13, v15, v13
	v_mul_f32_e32 v15, v3, v9
	v_fma_f32 v12, v2, v6, -v12
	v_fma_f32 v15, v2, v8, -v15
	v_mul_f32_e32 v2, v2, v9
	v_add_f32_e32 v12, v18, v12
	v_fmac_f32_e32 v2, v3, v8
	v_add_f32_e32 v3, v19, v15
	ds_read_b128 v[15:18], v53 offset:4160
	v_add_f32_e32 v2, v20, v2
	s_waitcnt lgkmcnt(0)
	v_mul_f32_e32 v19, v16, v7
	v_mul_f32_e32 v7, v15, v7
	v_fmac_f32_e32 v7, v16, v6
	v_fma_f32 v19, v15, v6, -v19
	v_add_f32_e32 v20, v32, v7
	v_mul_f32_e32 v6, v16, v9
	v_mul_f32_e32 v7, v15, v9
	v_fma_f32 v6, v15, v8, -v6
	v_fmac_f32_e32 v7, v16, v8
	v_add_f32_e32 v19, v21, v19
	v_add_f32_e32 v21, v10, v6
	;; [unrolled: 1-line block ×3, first 2 shown]
	ds_read2_b64 v[6:9], v14 offset0:32 offset1:48
	s_waitcnt lgkmcnt(0)
	v_mul_f32_e32 v10, v5, v7
	v_fma_f32 v10, v4, v6, -v10
	v_add_f32_e32 v10, v12, v10
	v_mul_f32_e32 v12, v5, v9
	v_mul_f32_e32 v11, v4, v7
	v_fma_f32 v12, v4, v8, -v12
	v_mul_f32_e32 v4, v4, v9
	v_fmac_f32_e32 v11, v5, v6
	v_fmac_f32_e32 v4, v5, v8
	v_add_f32_e32 v11, v13, v11
	v_add_f32_e32 v12, v3, v12
	;; [unrolled: 1-line block ×3, first 2 shown]
	v_mul_f32_e32 v2, v18, v7
	v_mul_f32_e32 v3, v17, v7
	v_fma_f32 v2, v17, v6, -v2
	v_fmac_f32_e32 v3, v18, v6
	v_add_f32_e32 v15, v19, v2
	v_add_f32_e32 v16, v20, v3
	v_mul_f32_e32 v2, v18, v9
	v_mul_f32_e32 v3, v17, v9
	v_fma_f32 v2, v17, v8, -v2
	v_fmac_f32_e32 v3, v18, v8
	v_add_f32_e32 v17, v21, v2
	v_add_f32_e32 v18, v32, v3
	ds_read_b128 v[2:5], v53 offset:80
	ds_read2_b64 v[6:9], v14 offset0:64 offset1:80
	s_waitcnt lgkmcnt(0)
	v_mul_f32_e32 v19, v3, v7
	v_mul_f32_e32 v20, v2, v7
	v_fma_f32 v19, v2, v6, -v19
	v_fmac_f32_e32 v20, v3, v6
	v_add_f32_e32 v19, v10, v19
	v_add_f32_e32 v20, v11, v20
	v_mul_f32_e32 v10, v3, v9
	v_mul_f32_e32 v11, v2, v9
	v_fma_f32 v10, v2, v8, -v10
	v_fmac_f32_e32 v11, v3, v8
	v_add_f32_e32 v2, v12, v10
	v_add_f32_e32 v3, v13, v11
	ds_read_b128 v[10:13], v53 offset:4176
	s_waitcnt lgkmcnt(0)
	v_mul_f32_e32 v21, v11, v7
	v_mul_f32_e32 v7, v10, v7
	v_fmac_f32_e32 v7, v11, v6
	v_fma_f32 v21, v10, v6, -v21
	v_add_f32_e32 v16, v16, v7
	v_mul_f32_e32 v6, v11, v9
	v_mul_f32_e32 v7, v10, v9
	v_fma_f32 v6, v10, v8, -v6
	v_fmac_f32_e32 v7, v11, v8
	v_add_f32_e32 v10, v17, v6
	v_add_f32_e32 v11, v18, v7
	ds_read2_b64 v[6:9], v14 offset0:96 offset1:112
	v_add_f32_e32 v15, v15, v21
	s_waitcnt lgkmcnt(0)
	v_mul_f32_e32 v17, v5, v7
	v_fma_f32 v17, v4, v6, -v17
	v_add_f32_e32 v17, v19, v17
	v_mul_f32_e32 v19, v5, v9
	v_mul_f32_e32 v18, v4, v7
	v_fma_f32 v19, v4, v8, -v19
	v_mul_f32_e32 v4, v4, v9
	v_fmac_f32_e32 v18, v5, v6
	v_fmac_f32_e32 v4, v5, v8
	v_add_f32_e32 v18, v20, v18
	v_add_f32_e32 v19, v2, v19
	;; [unrolled: 1-line block ×3, first 2 shown]
	v_mul_f32_e32 v2, v13, v7
	v_mul_f32_e32 v3, v12, v7
	v_fma_f32 v2, v12, v6, -v2
	v_fmac_f32_e32 v3, v13, v6
	v_add_f32_e32 v21, v15, v2
	v_add_f32_e32 v32, v16, v3
	v_mul_f32_e32 v2, v13, v9
	v_mul_f32_e32 v3, v12, v9
	v_fma_f32 v2, v12, v8, -v2
	v_fmac_f32_e32 v3, v13, v8
	v_add_f32_e32 v10, v10, v2
	v_add_f32_e32 v11, v11, v3
	ds_read_b128 v[2:5], v53 offset:96
	ds_read2_b64 v[6:9], v14 offset0:128 offset1:144
	s_waitcnt lgkmcnt(0)
	v_mul_f32_e32 v12, v3, v7
	v_mul_f32_e32 v13, v2, v7
	v_mul_f32_e32 v15, v3, v9
	v_fma_f32 v12, v2, v6, -v12
	v_fmac_f32_e32 v13, v3, v6
	v_fma_f32 v15, v2, v8, -v15
	v_mul_f32_e32 v2, v2, v9
	v_add_f32_e32 v12, v17, v12
	v_add_f32_e32 v13, v18, v13
	v_fmac_f32_e32 v2, v3, v8
	v_add_f32_e32 v3, v19, v15
	ds_read_b128 v[15:18], v53 offset:4192
	v_add_f32_e32 v2, v20, v2
	s_waitcnt lgkmcnt(0)
	v_mul_f32_e32 v19, v16, v7
	v_mul_f32_e32 v7, v15, v7
	v_fmac_f32_e32 v7, v16, v6
	v_fma_f32 v19, v15, v6, -v19
	v_add_f32_e32 v20, v32, v7
	v_mul_f32_e32 v6, v16, v9
	v_mul_f32_e32 v7, v15, v9
	v_fma_f32 v6, v15, v8, -v6
	v_fmac_f32_e32 v7, v16, v8
	v_add_f32_e32 v19, v21, v19
	v_add_f32_e32 v21, v10, v6
	;; [unrolled: 1-line block ×3, first 2 shown]
	ds_read2_b64 v[6:9], v14 offset0:160 offset1:176
	s_waitcnt lgkmcnt(0)
	v_mul_f32_e32 v10, v5, v7
	v_fma_f32 v10, v4, v6, -v10
	v_add_f32_e32 v10, v12, v10
	v_mul_f32_e32 v12, v5, v9
	v_mul_f32_e32 v11, v4, v7
	v_fma_f32 v12, v4, v8, -v12
	v_mul_f32_e32 v4, v4, v9
	v_fmac_f32_e32 v11, v5, v6
	v_fmac_f32_e32 v4, v5, v8
	v_add_f32_e32 v11, v13, v11
	v_add_f32_e32 v12, v3, v12
	v_add_f32_e32 v13, v2, v4
	v_mul_f32_e32 v2, v18, v7
	v_mul_f32_e32 v3, v17, v7
	v_fma_f32 v2, v17, v6, -v2
	v_fmac_f32_e32 v3, v18, v6
	v_add_f32_e32 v15, v19, v2
	v_add_f32_e32 v16, v20, v3
	v_mul_f32_e32 v2, v18, v9
	v_mul_f32_e32 v3, v17, v9
	v_fma_f32 v2, v17, v8, -v2
	v_fmac_f32_e32 v3, v18, v8
	v_add_f32_e32 v17, v21, v2
	v_add_f32_e32 v18, v32, v3
	ds_read_b128 v[2:5], v53 offset:112
	ds_read2_b64 v[6:9], v14 offset0:192 offset1:208
	s_waitcnt lgkmcnt(0)
	v_mul_f32_e32 v19, v3, v7
	v_mul_f32_e32 v20, v2, v7
	v_fma_f32 v19, v2, v6, -v19
	v_fmac_f32_e32 v20, v3, v6
	v_add_f32_e32 v19, v10, v19
	v_add_f32_e32 v20, v11, v20
	v_mul_f32_e32 v10, v3, v9
	v_mul_f32_e32 v11, v2, v9
	v_fma_f32 v10, v2, v8, -v10
	v_fmac_f32_e32 v11, v3, v8
	v_add_f32_e32 v2, v12, v10
	v_add_f32_e32 v3, v13, v11
	ds_read_b128 v[10:13], v53 offset:4208
	s_waitcnt lgkmcnt(0)
	v_mul_f32_e32 v21, v11, v7
	v_mul_f32_e32 v7, v10, v7
	v_fmac_f32_e32 v7, v11, v6
	v_fma_f32 v21, v10, v6, -v21
	v_add_f32_e32 v16, v16, v7
	v_mul_f32_e32 v6, v11, v9
	v_mul_f32_e32 v7, v10, v9
	v_fma_f32 v6, v10, v8, -v6
	v_fmac_f32_e32 v7, v11, v8
	v_add_f32_e32 v10, v17, v6
	v_add_f32_e32 v11, v18, v7
	ds_read2_b64 v[6:9], v14 offset0:224 offset1:240
	v_add_f32_e32 v15, v15, v21
	s_waitcnt lgkmcnt(0)
	v_mul_f32_e32 v14, v5, v7
	v_fma_f32 v14, v4, v6, -v14
	v_add_f32_e32 v18, v19, v14
	v_mul_f32_e32 v14, v5, v9
	v_mul_f32_e32 v17, v4, v7
	v_fma_f32 v14, v4, v8, -v14
	v_mul_f32_e32 v4, v4, v9
	v_fmac_f32_e32 v17, v5, v6
	v_fmac_f32_e32 v4, v5, v8
	v_add_f32_e32 v17, v20, v17
	v_add_f32_e32 v19, v2, v14
	;; [unrolled: 1-line block ×3, first 2 shown]
	v_mul_f32_e32 v2, v13, v7
	v_mul_f32_e32 v3, v12, v7
	v_fma_f32 v2, v12, v6, -v2
	v_fmac_f32_e32 v3, v13, v6
	v_add_f32_e32 v21, v15, v2
	v_add_f32_e32 v32, v16, v3
	v_mul_f32_e32 v2, v13, v9
	v_mul_f32_e32 v3, v12, v9
	v_fma_f32 v2, v12, v8, -v2
	v_fmac_f32_e32 v3, v13, v8
	v_add_u32_e32 v14, 0x1000, v0
	v_add_f32_e32 v10, v10, v2
	v_add_f32_e32 v11, v11, v3
	ds_read_b128 v[2:5], v53 offset:128
	ds_read2_b64 v[6:9], v14 offset1:16
	s_waitcnt lgkmcnt(0)
	v_mul_f32_e32 v12, v3, v7
	v_mul_f32_e32 v13, v2, v7
	;; [unrolled: 1-line block ×3, first 2 shown]
	v_fma_f32 v12, v2, v6, -v12
	v_fmac_f32_e32 v13, v3, v6
	v_fma_f32 v15, v2, v8, -v15
	v_mul_f32_e32 v2, v2, v9
	v_add_f32_e32 v12, v18, v12
	v_add_f32_e32 v13, v17, v13
	v_fmac_f32_e32 v2, v3, v8
	v_add_f32_e32 v3, v19, v15
	ds_read_b128 v[15:18], v53 offset:4224
	v_add_f32_e32 v2, v20, v2
	s_waitcnt lgkmcnt(0)
	v_mul_f32_e32 v19, v16, v7
	v_mul_f32_e32 v7, v15, v7
	v_fmac_f32_e32 v7, v16, v6
	v_fma_f32 v19, v15, v6, -v19
	v_add_f32_e32 v20, v32, v7
	v_mul_f32_e32 v6, v16, v9
	v_mul_f32_e32 v7, v15, v9
	v_fma_f32 v6, v15, v8, -v6
	v_fmac_f32_e32 v7, v16, v8
	v_add_f32_e32 v19, v21, v19
	v_add_f32_e32 v21, v10, v6
	;; [unrolled: 1-line block ×3, first 2 shown]
	ds_read2_b64 v[6:9], v14 offset0:32 offset1:48
	s_waitcnt lgkmcnt(0)
	v_mul_f32_e32 v10, v5, v7
	v_fma_f32 v10, v4, v6, -v10
	v_add_f32_e32 v10, v12, v10
	v_mul_f32_e32 v12, v5, v9
	v_mul_f32_e32 v11, v4, v7
	v_fma_f32 v12, v4, v8, -v12
	v_mul_f32_e32 v4, v4, v9
	v_fmac_f32_e32 v11, v5, v6
	v_fmac_f32_e32 v4, v5, v8
	v_add_f32_e32 v11, v13, v11
	v_add_f32_e32 v12, v3, v12
	;; [unrolled: 1-line block ×3, first 2 shown]
	v_mul_f32_e32 v2, v18, v7
	v_mul_f32_e32 v3, v17, v7
	v_fma_f32 v2, v17, v6, -v2
	v_fmac_f32_e32 v3, v18, v6
	v_add_f32_e32 v15, v19, v2
	v_add_f32_e32 v16, v20, v3
	v_mul_f32_e32 v2, v18, v9
	v_mul_f32_e32 v3, v17, v9
	v_fma_f32 v2, v17, v8, -v2
	v_fmac_f32_e32 v3, v18, v8
	v_add_f32_e32 v17, v21, v2
	v_add_f32_e32 v18, v32, v3
	ds_read_b128 v[2:5], v53 offset:144
	ds_read2_b64 v[6:9], v14 offset0:64 offset1:80
	s_waitcnt lgkmcnt(0)
	v_mul_f32_e32 v19, v3, v7
	v_mul_f32_e32 v20, v2, v7
	v_fma_f32 v19, v2, v6, -v19
	v_fmac_f32_e32 v20, v3, v6
	v_add_f32_e32 v19, v10, v19
	v_add_f32_e32 v20, v11, v20
	v_mul_f32_e32 v10, v3, v9
	v_mul_f32_e32 v11, v2, v9
	v_fma_f32 v10, v2, v8, -v10
	v_fmac_f32_e32 v11, v3, v8
	v_add_f32_e32 v2, v12, v10
	v_add_f32_e32 v3, v13, v11
	ds_read_b128 v[10:13], v53 offset:4240
	s_waitcnt lgkmcnt(0)
	v_mul_f32_e32 v21, v11, v7
	v_mul_f32_e32 v7, v10, v7
	v_fmac_f32_e32 v7, v11, v6
	v_fma_f32 v21, v10, v6, -v21
	v_add_f32_e32 v16, v16, v7
	v_mul_f32_e32 v6, v11, v9
	v_mul_f32_e32 v7, v10, v9
	v_fma_f32 v6, v10, v8, -v6
	v_fmac_f32_e32 v7, v11, v8
	v_add_f32_e32 v10, v17, v6
	v_add_f32_e32 v11, v18, v7
	ds_read2_b64 v[6:9], v14 offset0:96 offset1:112
	v_add_f32_e32 v15, v15, v21
	s_waitcnt lgkmcnt(0)
	v_mul_f32_e32 v17, v5, v7
	v_fma_f32 v17, v4, v6, -v17
	v_add_f32_e32 v17, v19, v17
	v_mul_f32_e32 v19, v5, v9
	v_mul_f32_e32 v18, v4, v7
	v_fma_f32 v19, v4, v8, -v19
	v_mul_f32_e32 v4, v4, v9
	v_fmac_f32_e32 v18, v5, v6
	v_fmac_f32_e32 v4, v5, v8
	v_add_f32_e32 v18, v20, v18
	v_add_f32_e32 v19, v2, v19
	;; [unrolled: 1-line block ×3, first 2 shown]
	v_mul_f32_e32 v2, v13, v7
	v_mul_f32_e32 v3, v12, v7
	v_fma_f32 v2, v12, v6, -v2
	v_fmac_f32_e32 v3, v13, v6
	v_add_f32_e32 v21, v15, v2
	v_add_f32_e32 v32, v16, v3
	v_mul_f32_e32 v2, v13, v9
	v_mul_f32_e32 v3, v12, v9
	v_fma_f32 v2, v12, v8, -v2
	v_fmac_f32_e32 v3, v13, v8
	v_add_f32_e32 v10, v10, v2
	v_add_f32_e32 v11, v11, v3
	ds_read_b128 v[2:5], v53 offset:160
	ds_read2_b64 v[6:9], v14 offset0:128 offset1:144
	s_waitcnt lgkmcnt(0)
	v_mul_f32_e32 v12, v3, v7
	v_mul_f32_e32 v13, v2, v7
	;; [unrolled: 1-line block ×3, first 2 shown]
	v_fma_f32 v12, v2, v6, -v12
	v_fmac_f32_e32 v13, v3, v6
	v_fma_f32 v15, v2, v8, -v15
	v_mul_f32_e32 v2, v2, v9
	v_add_f32_e32 v12, v17, v12
	v_add_f32_e32 v13, v18, v13
	v_fmac_f32_e32 v2, v3, v8
	v_add_f32_e32 v3, v19, v15
	ds_read_b128 v[15:18], v53 offset:4256
	v_add_f32_e32 v2, v20, v2
	s_waitcnt lgkmcnt(0)
	v_mul_f32_e32 v19, v16, v7
	v_mul_f32_e32 v7, v15, v7
	v_fmac_f32_e32 v7, v16, v6
	v_fma_f32 v19, v15, v6, -v19
	v_add_f32_e32 v20, v32, v7
	v_mul_f32_e32 v6, v16, v9
	v_mul_f32_e32 v7, v15, v9
	v_fma_f32 v6, v15, v8, -v6
	v_fmac_f32_e32 v7, v16, v8
	v_add_f32_e32 v19, v21, v19
	v_add_f32_e32 v21, v10, v6
	;; [unrolled: 1-line block ×3, first 2 shown]
	ds_read2_b64 v[6:9], v14 offset0:160 offset1:176
	s_waitcnt lgkmcnt(0)
	v_mul_f32_e32 v10, v5, v7
	v_fma_f32 v10, v4, v6, -v10
	v_add_f32_e32 v10, v12, v10
	v_mul_f32_e32 v12, v5, v9
	v_mul_f32_e32 v11, v4, v7
	v_fma_f32 v12, v4, v8, -v12
	v_mul_f32_e32 v4, v4, v9
	v_fmac_f32_e32 v11, v5, v6
	v_fmac_f32_e32 v4, v5, v8
	v_add_f32_e32 v11, v13, v11
	v_add_f32_e32 v12, v3, v12
	v_add_f32_e32 v13, v2, v4
	v_mul_f32_e32 v2, v18, v7
	v_mul_f32_e32 v3, v17, v7
	v_fma_f32 v2, v17, v6, -v2
	v_fmac_f32_e32 v3, v18, v6
	v_add_f32_e32 v15, v19, v2
	v_add_f32_e32 v16, v20, v3
	v_mul_f32_e32 v2, v18, v9
	v_mul_f32_e32 v3, v17, v9
	v_fma_f32 v2, v17, v8, -v2
	v_fmac_f32_e32 v3, v18, v8
	v_add_f32_e32 v17, v21, v2
	v_add_f32_e32 v18, v32, v3
	ds_read_b128 v[2:5], v53 offset:176
	ds_read2_b64 v[6:9], v14 offset0:192 offset1:208
	s_waitcnt lgkmcnt(0)
	v_mul_f32_e32 v19, v3, v7
	v_mul_f32_e32 v20, v2, v7
	v_fma_f32 v19, v2, v6, -v19
	v_fmac_f32_e32 v20, v3, v6
	v_add_f32_e32 v19, v10, v19
	v_add_f32_e32 v20, v11, v20
	v_mul_f32_e32 v10, v3, v9
	v_mul_f32_e32 v11, v2, v9
	v_fma_f32 v10, v2, v8, -v10
	v_fmac_f32_e32 v11, v3, v8
	v_add_f32_e32 v2, v12, v10
	v_add_f32_e32 v3, v13, v11
	ds_read_b128 v[10:13], v53 offset:4272
	s_waitcnt lgkmcnt(0)
	v_mul_f32_e32 v21, v11, v7
	v_mul_f32_e32 v7, v10, v7
	v_fmac_f32_e32 v7, v11, v6
	v_fma_f32 v21, v10, v6, -v21
	v_add_f32_e32 v16, v16, v7
	v_mul_f32_e32 v6, v11, v9
	v_mul_f32_e32 v7, v10, v9
	v_fma_f32 v6, v10, v8, -v6
	v_fmac_f32_e32 v7, v11, v8
	v_add_f32_e32 v10, v17, v6
	v_add_f32_e32 v11, v18, v7
	ds_read2_b64 v[6:9], v14 offset0:224 offset1:240
	v_add_f32_e32 v15, v15, v21
	s_waitcnt lgkmcnt(0)
	v_mul_f32_e32 v14, v5, v7
	v_fma_f32 v14, v4, v6, -v14
	v_add_f32_e32 v18, v19, v14
	v_mul_f32_e32 v14, v5, v9
	v_mul_f32_e32 v17, v4, v7
	v_fma_f32 v14, v4, v8, -v14
	v_mul_f32_e32 v4, v4, v9
	v_fmac_f32_e32 v17, v5, v6
	v_fmac_f32_e32 v4, v5, v8
	v_add_f32_e32 v17, v20, v17
	v_add_f32_e32 v19, v2, v14
	;; [unrolled: 1-line block ×3, first 2 shown]
	v_mul_f32_e32 v2, v13, v7
	v_mul_f32_e32 v3, v12, v7
	v_fma_f32 v2, v12, v6, -v2
	v_fmac_f32_e32 v3, v13, v6
	v_add_f32_e32 v21, v15, v2
	v_add_f32_e32 v32, v16, v3
	v_mul_f32_e32 v2, v13, v9
	v_mul_f32_e32 v3, v12, v9
	v_fma_f32 v2, v12, v8, -v2
	v_fmac_f32_e32 v3, v13, v8
	v_add_u32_e32 v14, 0x1800, v0
	v_add_f32_e32 v10, v10, v2
	v_add_f32_e32 v11, v11, v3
	ds_read_b128 v[2:5], v53 offset:192
	ds_read2_b64 v[6:9], v14 offset1:16
	s_waitcnt lgkmcnt(0)
	v_mul_f32_e32 v12, v3, v7
	v_mul_f32_e32 v13, v2, v7
	;; [unrolled: 1-line block ×3, first 2 shown]
	v_fma_f32 v12, v2, v6, -v12
	v_fmac_f32_e32 v13, v3, v6
	v_fma_f32 v15, v2, v8, -v15
	v_mul_f32_e32 v2, v2, v9
	v_add_f32_e32 v12, v18, v12
	v_add_f32_e32 v13, v17, v13
	v_fmac_f32_e32 v2, v3, v8
	v_add_f32_e32 v3, v19, v15
	ds_read_b128 v[15:18], v53 offset:4288
	v_add_f32_e32 v2, v20, v2
	s_waitcnt lgkmcnt(0)
	v_mul_f32_e32 v19, v16, v7
	v_mul_f32_e32 v7, v15, v7
	v_fmac_f32_e32 v7, v16, v6
	v_fma_f32 v19, v15, v6, -v19
	v_add_f32_e32 v20, v32, v7
	v_mul_f32_e32 v6, v16, v9
	v_mul_f32_e32 v7, v15, v9
	v_fma_f32 v6, v15, v8, -v6
	v_fmac_f32_e32 v7, v16, v8
	v_add_f32_e32 v19, v21, v19
	v_add_f32_e32 v21, v10, v6
	;; [unrolled: 1-line block ×3, first 2 shown]
	ds_read2_b64 v[6:9], v14 offset0:32 offset1:48
	s_waitcnt lgkmcnt(0)
	v_mul_f32_e32 v10, v5, v7
	v_fma_f32 v10, v4, v6, -v10
	v_add_f32_e32 v10, v12, v10
	v_mul_f32_e32 v12, v5, v9
	v_mul_f32_e32 v11, v4, v7
	v_fma_f32 v12, v4, v8, -v12
	v_mul_f32_e32 v4, v4, v9
	v_fmac_f32_e32 v11, v5, v6
	v_fmac_f32_e32 v4, v5, v8
	v_add_f32_e32 v11, v13, v11
	v_add_f32_e32 v12, v3, v12
	;; [unrolled: 1-line block ×3, first 2 shown]
	v_mul_f32_e32 v2, v18, v7
	v_mul_f32_e32 v3, v17, v7
	v_fma_f32 v2, v17, v6, -v2
	v_fmac_f32_e32 v3, v18, v6
	v_add_f32_e32 v15, v19, v2
	v_add_f32_e32 v16, v20, v3
	v_mul_f32_e32 v2, v18, v9
	v_mul_f32_e32 v3, v17, v9
	v_fma_f32 v2, v17, v8, -v2
	v_fmac_f32_e32 v3, v18, v8
	v_add_f32_e32 v17, v21, v2
	v_add_f32_e32 v18, v32, v3
	ds_read_b128 v[2:5], v53 offset:208
	ds_read2_b64 v[6:9], v14 offset0:64 offset1:80
	s_waitcnt lgkmcnt(0)
	v_mul_f32_e32 v19, v3, v7
	v_mul_f32_e32 v20, v2, v7
	v_fma_f32 v19, v2, v6, -v19
	v_fmac_f32_e32 v20, v3, v6
	v_add_f32_e32 v19, v10, v19
	v_add_f32_e32 v20, v11, v20
	v_mul_f32_e32 v10, v3, v9
	v_mul_f32_e32 v11, v2, v9
	v_fma_f32 v10, v2, v8, -v10
	v_fmac_f32_e32 v11, v3, v8
	v_add_f32_e32 v2, v12, v10
	v_add_f32_e32 v3, v13, v11
	ds_read_b128 v[10:13], v53 offset:4304
	s_waitcnt lgkmcnt(0)
	v_mul_f32_e32 v21, v11, v7
	v_mul_f32_e32 v7, v10, v7
	v_fmac_f32_e32 v7, v11, v6
	v_fma_f32 v21, v10, v6, -v21
	v_add_f32_e32 v16, v16, v7
	v_mul_f32_e32 v6, v11, v9
	v_mul_f32_e32 v7, v10, v9
	v_fma_f32 v6, v10, v8, -v6
	v_fmac_f32_e32 v7, v11, v8
	v_add_f32_e32 v10, v17, v6
	v_add_f32_e32 v11, v18, v7
	ds_read2_b64 v[6:9], v14 offset0:96 offset1:112
	v_add_f32_e32 v15, v15, v21
	s_waitcnt lgkmcnt(0)
	v_mul_f32_e32 v17, v5, v7
	v_fma_f32 v17, v4, v6, -v17
	v_add_f32_e32 v17, v19, v17
	v_mul_f32_e32 v19, v5, v9
	v_mul_f32_e32 v18, v4, v7
	v_fma_f32 v19, v4, v8, -v19
	v_mul_f32_e32 v4, v4, v9
	v_fmac_f32_e32 v18, v5, v6
	v_fmac_f32_e32 v4, v5, v8
	v_add_f32_e32 v18, v20, v18
	v_add_f32_e32 v19, v2, v19
	;; [unrolled: 1-line block ×3, first 2 shown]
	v_mul_f32_e32 v2, v13, v7
	v_mul_f32_e32 v3, v12, v7
	v_fma_f32 v2, v12, v6, -v2
	v_fmac_f32_e32 v3, v13, v6
	v_add_f32_e32 v21, v15, v2
	v_add_f32_e32 v32, v16, v3
	v_mul_f32_e32 v2, v13, v9
	v_mul_f32_e32 v3, v12, v9
	v_fma_f32 v2, v12, v8, -v2
	v_fmac_f32_e32 v3, v13, v8
	v_add_f32_e32 v10, v10, v2
	v_add_f32_e32 v11, v11, v3
	ds_read_b128 v[2:5], v53 offset:224
	ds_read2_b64 v[6:9], v14 offset0:128 offset1:144
	s_waitcnt lgkmcnt(0)
	v_mul_f32_e32 v12, v3, v7
	v_mul_f32_e32 v13, v2, v7
	;; [unrolled: 1-line block ×3, first 2 shown]
	v_fma_f32 v12, v2, v6, -v12
	v_fmac_f32_e32 v13, v3, v6
	v_fma_f32 v15, v2, v8, -v15
	v_mul_f32_e32 v2, v2, v9
	v_add_f32_e32 v12, v17, v12
	v_add_f32_e32 v13, v18, v13
	v_fmac_f32_e32 v2, v3, v8
	v_add_f32_e32 v3, v19, v15
	ds_read_b128 v[15:18], v53 offset:4320
	v_add_f32_e32 v2, v20, v2
	s_waitcnt lgkmcnt(0)
	v_mul_f32_e32 v19, v16, v7
	v_mul_f32_e32 v7, v15, v7
	v_fmac_f32_e32 v7, v16, v6
	v_fma_f32 v19, v15, v6, -v19
	v_add_f32_e32 v20, v32, v7
	v_mul_f32_e32 v6, v16, v9
	v_mul_f32_e32 v7, v15, v9
	v_fma_f32 v6, v15, v8, -v6
	v_fmac_f32_e32 v7, v16, v8
	v_add_f32_e32 v19, v21, v19
	v_add_f32_e32 v21, v10, v6
	;; [unrolled: 1-line block ×3, first 2 shown]
	ds_read2_b64 v[6:9], v14 offset0:160 offset1:176
	s_waitcnt lgkmcnt(0)
	v_mul_f32_e32 v10, v5, v7
	v_fma_f32 v10, v4, v6, -v10
	v_add_f32_e32 v10, v12, v10
	v_mul_f32_e32 v12, v5, v9
	v_mul_f32_e32 v11, v4, v7
	v_fma_f32 v12, v4, v8, -v12
	v_mul_f32_e32 v4, v4, v9
	v_fmac_f32_e32 v11, v5, v6
	v_fmac_f32_e32 v4, v5, v8
	v_add_f32_e32 v11, v13, v11
	v_add_f32_e32 v12, v3, v12
	;; [unrolled: 1-line block ×3, first 2 shown]
	v_mul_f32_e32 v2, v18, v7
	v_mul_f32_e32 v3, v17, v7
	v_fma_f32 v2, v17, v6, -v2
	v_fmac_f32_e32 v3, v18, v6
	v_add_f32_e32 v15, v19, v2
	v_add_f32_e32 v16, v20, v3
	v_mul_f32_e32 v2, v18, v9
	v_mul_f32_e32 v3, v17, v9
	v_fma_f32 v2, v17, v8, -v2
	v_fmac_f32_e32 v3, v18, v8
	v_add_f32_e32 v17, v21, v2
	v_add_f32_e32 v18, v32, v3
	ds_read_b128 v[2:5], v53 offset:240
	ds_read2_b64 v[6:9], v14 offset0:192 offset1:208
	s_waitcnt lgkmcnt(0)
	v_mul_f32_e32 v19, v3, v7
	v_mul_f32_e32 v20, v2, v7
	v_fma_f32 v19, v2, v6, -v19
	v_fmac_f32_e32 v20, v3, v6
	v_add_f32_e32 v19, v10, v19
	v_add_f32_e32 v21, v11, v20
	v_mul_f32_e32 v10, v3, v9
	v_mul_f32_e32 v11, v2, v9
	v_fma_f32 v10, v2, v8, -v10
	v_fmac_f32_e32 v11, v3, v8
	v_add_f32_e32 v2, v12, v10
	v_add_f32_e32 v3, v13, v11
	ds_read_b128 v[10:13], v53 offset:4336
	s_waitcnt lgkmcnt(0)
	v_mul_f32_e32 v20, v11, v7
	v_mul_f32_e32 v7, v10, v7
	v_fmac_f32_e32 v7, v11, v6
	v_fma_f32 v20, v10, v6, -v20
	v_add_f32_e32 v32, v16, v7
	v_mul_f32_e32 v6, v11, v9
	v_mul_f32_e32 v7, v10, v9
	v_fma_f32 v6, v10, v8, -v6
	v_fmac_f32_e32 v7, v11, v8
	v_add_f32_e32 v10, v17, v6
	v_add_f32_e32 v11, v18, v7
	ds_read2_b64 v[6:9], v14 offset0:224 offset1:240
	v_add_f32_e32 v15, v15, v20
	s_waitcnt lgkmcnt(0)
	s_barrier
	v_mul_f32_e32 v14, v5, v7
	v_fma_f32 v14, v4, v6, -v14
	v_add_f32_e32 v20, v19, v14
	v_mul_f32_e32 v14, v5, v9
	v_mul_f32_e32 v16, v4, v7
	v_fma_f32 v14, v4, v8, -v14
	v_mul_f32_e32 v4, v4, v9
	v_fmac_f32_e32 v4, v5, v8
	v_add_f32_e32 v18, v2, v14
	v_add_f32_e32 v19, v3, v4
	v_mul_f32_e32 v2, v13, v7
	v_mul_f32_e32 v3, v12, v7
	v_fmac_f32_e32 v16, v5, v6
	v_fma_f32 v2, v12, v6, -v2
	v_fmac_f32_e32 v3, v13, v6
	v_add_f32_e32 v21, v21, v16
	v_add_f32_e32 v16, v15, v2
	;; [unrolled: 1-line block ×3, first 2 shown]
	v_mul_f32_e32 v2, v13, v9
	v_mul_f32_e32 v3, v12, v9
	v_fma_f32 v2, v12, v8, -v2
	v_fmac_f32_e32 v3, v13, v8
	v_add_f32_e32 v15, v10, v2
	v_add_f32_e32 v14, v11, v3
	s_cbranch_scc1 .LBB77_56
.LBB77_7:                               ;   Parent Loop BB77_4 Depth=1
                                        ; =>  This Inner Loop Header: Depth=2
	v_mov_b32_e32 v2, s27
	v_add_co_u32_e64 v4, s[10:11], s26, v24
	v_addc_co_u32_e64 v5, s[10:11], v25, v2, s[10:11]
	v_mov_b32_e32 v3, s23
	v_add_co_u32_e64 v2, s[10:11], s22, v50
	v_addc_co_u32_e64 v3, s[10:11], v51, v3, s[10:11]
	v_cmp_le_i64_e64 s[12:13], s[38:39], v[4:5]
	v_cmp_eq_u64_e64 s[16:17], s[26:27], v[30:31]
	v_cmp_lt_i64_e64 s[10:11], v[4:5], v[22:23]
	s_and_b64 s[44:45], s[36:37], s[16:17]
	s_or_b64 s[16:17], s[12:13], s[10:11]
	s_or_b64 s[16:17], s[16:17], s[44:45]
	s_nor_b64 s[16:17], s[0:1], s[16:17]
	s_and_saveexec_b64 s[18:19], s[16:17]
	s_xor_b64 s[16:17], exec, s[18:19]
	s_cbranch_execz .LBB77_9
; %bb.8:                                ;   in Loop: Header=BB77_7 Depth=2
	global_load_dwordx2 v[6:7], v[2:3], off
	s_waitcnt vmcnt(0)
	ds_write_b64 v52, v[6:7]
.LBB77_9:                               ;   in Loop: Header=BB77_7 Depth=2
	s_or_saveexec_b64 s[16:17], s[16:17]
	s_xor_b64 s[28:29], s[44:45], -1
	s_xor_b64 exec, exec, s[16:17]
	s_cbranch_execz .LBB77_15
; %bb.10:                               ;   in Loop: Header=BB77_7 Depth=2
	s_and_saveexec_b64 s[18:19], s[28:29]
	s_xor_b64 s[18:19], exec, s[18:19]
; %bb.11:                               ;   in Loop: Header=BB77_7 Depth=2
	v_mov_b32_e32 v6, v43
	v_mov_b32_e32 v7, v43
	ds_write_b64 v52, v[6:7]
; %bb.12:                               ;   in Loop: Header=BB77_7 Depth=2
	s_andn2_saveexec_b64 s[18:19], s[18:19]
; %bb.13:                               ;   in Loop: Header=BB77_7 Depth=2
	ds_write_b64 v52, v[42:43]
; %bb.14:                               ;   in Loop: Header=BB77_7 Depth=2
	s_or_b64 exec, exec, s[18:19]
.LBB77_15:                              ;   in Loop: Header=BB77_7 Depth=2
	s_or_b64 exec, exec, s[16:17]
	v_cmp_eq_u64_e64 s[16:17], s[26:27], v[36:37]
	v_cmp_gt_i64_e64 s[18:19], v[26:27], v[4:5]
	s_and_b64 s[16:17], s[36:37], s[16:17]
	s_or_b64 s[12:13], s[12:13], s[18:19]
	s_or_b64 s[12:13], s[12:13], s[16:17]
	s_nor_b64 s[12:13], s[2:3], s[12:13]
	s_and_saveexec_b64 s[18:19], s[12:13]
	s_xor_b64 s[18:19], exec, s[18:19]
	s_cbranch_execz .LBB77_17
; %bb.16:                               ;   in Loop: Header=BB77_7 Depth=2
	v_mov_b32_e32 v7, s23
	v_add_co_u32_e64 v6, s[12:13], s22, v54
	v_addc_co_u32_e64 v7, s[12:13], v55, v7, s[12:13]
	global_load_dwordx2 v[6:7], v[6:7], off
	s_waitcnt vmcnt(0)
	ds_write_b64 v52, v[6:7] offset:128
.LBB77_17:                              ;   in Loop: Header=BB77_7 Depth=2
	s_andn2_saveexec_b64 s[12:13], s[18:19]
	s_cbranch_execz .LBB77_23
; %bb.18:                               ;   in Loop: Header=BB77_7 Depth=2
	s_xor_b64 s[16:17], s[16:17], -1
	s_and_saveexec_b64 s[18:19], s[16:17]
	s_xor_b64 s[16:17], exec, s[18:19]
; %bb.19:                               ;   in Loop: Header=BB77_7 Depth=2
	v_mov_b32_e32 v6, v43
	v_mov_b32_e32 v7, v43
	ds_write_b64 v52, v[6:7] offset:128
; %bb.20:                               ;   in Loop: Header=BB77_7 Depth=2
	s_andn2_saveexec_b64 s[16:17], s[16:17]
; %bb.21:                               ;   in Loop: Header=BB77_7 Depth=2
	ds_write_b64 v52, v[42:43] offset:128
; %bb.22:                               ;   in Loop: Header=BB77_7 Depth=2
	s_or_b64 exec, exec, s[16:17]
.LBB77_23:                              ;   in Loop: Header=BB77_7 Depth=2
	s_or_b64 exec, exec, s[12:13]
	v_add_co_u32_e64 v4, s[12:13], 16, v4
	v_addc_co_u32_e64 v5, s[12:13], 0, v5, s[12:13]
	v_cmp_le_i64_e64 s[12:13], s[38:39], v[4:5]
	v_cmp_eq_u64_e64 s[16:17], s[26:27], v[38:39]
	v_cmp_lt_i64_e64 s[18:19], v[4:5], v[22:23]
	s_and_b64 s[46:47], s[36:37], s[16:17]
	s_or_b64 s[16:17], s[12:13], s[18:19]
	s_or_b64 s[16:17], s[16:17], s[46:47]
	s_nor_b64 s[16:17], s[0:1], s[16:17]
	s_and_saveexec_b64 s[18:19], s[16:17]
	s_xor_b64 s[16:17], exec, s[18:19]
	s_cbranch_execz .LBB77_25
; %bb.24:                               ;   in Loop: Header=BB77_7 Depth=2
	global_load_dwordx2 v[2:3], v[2:3], off offset:128
	s_waitcnt vmcnt(0)
	ds_write_b64 v52, v[2:3] offset:4096
.LBB77_25:                              ;   in Loop: Header=BB77_7 Depth=2
	s_andn2_saveexec_b64 s[16:17], s[16:17]
	s_cbranch_execz .LBB77_31
; %bb.26:                               ;   in Loop: Header=BB77_7 Depth=2
	s_xor_b64 s[18:19], s[46:47], -1
	s_and_saveexec_b64 s[46:47], s[18:19]
	s_xor_b64 s[18:19], exec, s[46:47]
; %bb.27:                               ;   in Loop: Header=BB77_7 Depth=2
	v_mov_b32_e32 v2, v43
	v_mov_b32_e32 v3, v43
	ds_write_b64 v52, v[2:3] offset:4096
; %bb.28:                               ;   in Loop: Header=BB77_7 Depth=2
	s_andn2_saveexec_b64 s[18:19], s[18:19]
; %bb.29:                               ;   in Loop: Header=BB77_7 Depth=2
	ds_write_b64 v52, v[42:43] offset:4096
; %bb.30:                               ;   in Loop: Header=BB77_7 Depth=2
	s_or_b64 exec, exec, s[18:19]
.LBB77_31:                              ;   in Loop: Header=BB77_7 Depth=2
	s_or_b64 exec, exec, s[16:17]
	s_or_b64 s[10:11], s[12:13], s[10:11]
	s_or_b64 s[10:11], s[10:11], s[44:45]
	s_nor_b64 s[10:11], s[2:3], s[10:11]
	s_and_saveexec_b64 s[12:13], s[10:11]
	s_xor_b64 s[12:13], exec, s[12:13]
	s_cbranch_execz .LBB77_33
; %bb.32:                               ;   in Loop: Header=BB77_7 Depth=2
	v_mov_b32_e32 v3, s23
	v_add_co_u32_e64 v2, s[10:11], s22, v54
	v_addc_co_u32_e64 v3, s[10:11], v55, v3, s[10:11]
	global_load_dwordx2 v[2:3], v[2:3], off offset:128
	s_waitcnt vmcnt(0)
	ds_write_b64 v52, v[2:3] offset:4224
.LBB77_33:                              ;   in Loop: Header=BB77_7 Depth=2
	s_andn2_saveexec_b64 s[10:11], s[12:13]
	s_cbranch_execz .LBB77_39
; %bb.34:                               ;   in Loop: Header=BB77_7 Depth=2
	s_and_saveexec_b64 s[12:13], s[28:29]
	s_xor_b64 s[12:13], exec, s[12:13]
; %bb.35:                               ;   in Loop: Header=BB77_7 Depth=2
	v_mov_b32_e32 v2, v43
	v_mov_b32_e32 v3, v43
	ds_write_b64 v52, v[2:3] offset:4224
; %bb.36:                               ;   in Loop: Header=BB77_7 Depth=2
	s_andn2_saveexec_b64 s[12:13], s[12:13]
; %bb.37:                               ;   in Loop: Header=BB77_7 Depth=2
	ds_write_b64 v52, v[42:43] offset:4224
; %bb.38:                               ;   in Loop: Header=BB77_7 Depth=2
	s_or_b64 exec, exec, s[12:13]
.LBB77_39:                              ;   in Loop: Header=BB77_7 Depth=2
	s_or_b64 exec, exec, s[10:11]
	v_mov_b32_e32 v3, s27
	v_add_co_u32_e64 v2, s[10:11], s26, v22
	v_addc_co_u32_e64 v3, s[10:11], v23, v3, s[10:11]
	v_cmp_gt_i64_e64 s[10:11], s[38:39], v[2:3]
	s_and_b64 s[12:13], vcc, s[10:11]
	s_xor_b64 s[12:13], s[12:13], -1
	s_and_saveexec_b64 s[16:17], s[12:13]
	s_xor_b64 s[12:13], exec, s[16:17]
; %bb.40:                               ;   in Loop: Header=BB77_7 Depth=2
	v_mov_b32_e32 v4, v43
	v_mov_b32_e32 v5, v43
	ds_write_b64 v56, v[4:5]
; %bb.41:                               ;   in Loop: Header=BB77_7 Depth=2
	s_or_saveexec_b64 s[16:17], s[12:13]
	v_mov_b32_e32 v5, s23
	v_add_co_u32_e64 v4, s[12:13], s22, v46
	v_addc_co_u32_e64 v5, s[12:13], v47, v5, s[12:13]
	s_xor_b64 exec, exec, s[16:17]
	s_cbranch_execz .LBB77_43
; %bb.42:                               ;   in Loop: Header=BB77_7 Depth=2
	global_load_dwordx2 v[6:7], v[4:5], off offset:-128
	s_waitcnt vmcnt(0)
	ds_write_b64 v56, v[6:7]
.LBB77_43:                              ;   in Loop: Header=BB77_7 Depth=2
	s_or_b64 exec, exec, s[16:17]
	v_cmp_gt_i64_e64 s[12:13], s[42:43], v[2:3]
	s_and_b64 s[16:17], vcc, s[12:13]
	s_xor_b64 s[16:17], s[16:17], -1
	s_and_saveexec_b64 s[18:19], s[16:17]
	s_xor_b64 s[16:17], exec, s[18:19]
; %bb.44:                               ;   in Loop: Header=BB77_7 Depth=2
	v_mov_b32_e32 v2, v43
	v_mov_b32_e32 v3, v43
	ds_write_b64 v56, v[2:3] offset:128
                                        ; implicit-def: $vgpr4_vgpr5
; %bb.45:                               ;   in Loop: Header=BB77_7 Depth=2
	s_andn2_saveexec_b64 s[16:17], s[16:17]
	s_cbranch_execz .LBB77_47
; %bb.46:                               ;   in Loop: Header=BB77_7 Depth=2
	global_load_dwordx2 v[2:3], v[4:5], off
	s_waitcnt vmcnt(0)
	ds_write_b64 v56, v[2:3] offset:128
.LBB77_47:                              ;   in Loop: Header=BB77_7 Depth=2
	s_or_b64 exec, exec, s[16:17]
	s_and_b64 s[10:11], s[8:9], s[10:11]
	s_xor_b64 s[10:11], s[10:11], -1
	s_and_saveexec_b64 s[16:17], s[10:11]
	s_xor_b64 s[10:11], exec, s[16:17]
; %bb.48:                               ;   in Loop: Header=BB77_7 Depth=2
	v_mov_b32_e32 v2, v43
	v_mov_b32_e32 v3, v43
	ds_write_b64 v56, v[2:3] offset:4096
; %bb.49:                               ;   in Loop: Header=BB77_7 Depth=2
	s_or_saveexec_b64 s[16:17], s[10:11]
	v_mov_b32_e32 v3, s23
	v_add_co_u32_e64 v2, s[10:11], s22, v48
	v_addc_co_u32_e64 v3, s[10:11], v49, v3, s[10:11]
	s_xor_b64 exec, exec, s[16:17]
	s_cbranch_execz .LBB77_51
; %bb.50:                               ;   in Loop: Header=BB77_7 Depth=2
	global_load_dwordx2 v[4:5], v[2:3], off
	s_waitcnt vmcnt(0)
	ds_write_b64 v56, v[4:5] offset:4096
.LBB77_51:                              ;   in Loop: Header=BB77_7 Depth=2
	s_or_b64 exec, exec, s[16:17]
	s_and_b64 s[10:11], s[8:9], s[12:13]
	s_xor_b64 s[10:11], s[10:11], -1
	s_and_saveexec_b64 s[12:13], s[10:11]
	s_xor_b64 s[10:11], exec, s[12:13]
; %bb.52:                               ;   in Loop: Header=BB77_7 Depth=2
	v_mov_b32_e32 v2, v43
	v_mov_b32_e32 v3, v43
	ds_write_b64 v56, v[2:3] offset:4224
                                        ; implicit-def: $vgpr2_vgpr3
; %bb.53:                               ;   in Loop: Header=BB77_7 Depth=2
	s_andn2_saveexec_b64 s[10:11], s[10:11]
	s_cbranch_execz .LBB77_6
; %bb.54:                               ;   in Loop: Header=BB77_7 Depth=2
	global_load_dwordx2 v[2:3], v[2:3], off offset:128
	s_waitcnt vmcnt(0)
	ds_write_b64 v56, v[2:3] offset:4224
	s_branch .LBB77_6
.LBB77_55:                              ;   in Loop: Header=BB77_4 Depth=1
	v_mov_b32_e32 v20, 0
	v_mov_b32_e32 v21, 0
	;; [unrolled: 1-line block ×8, first 2 shown]
.LBB77_56:                              ;   in Loop: Header=BB77_4 Depth=1
	v_mul_lo_u32 v4, s41, v57
	v_mul_lo_u32 v5, s40, v58
	v_mad_u64_u32 v[2:3], s[8:9], s40, v57, 0
	v_cmp_gt_i32_e32 vcc, s30, v57
	v_add3_u32 v3, v3, v5, v4
	v_lshlrev_b64 v[2:3], 3, v[2:3]
	v_mov_b32_e32 v4, s50
	v_add_co_u32_e64 v2, s[8:9], s49, v2
	v_addc_co_u32_e64 v3, s[8:9], v4, v3, s[8:9]
	s_and_b64 s[8:9], s[4:5], vcc
	s_and_saveexec_b64 s[10:11], s[8:9]
	s_cbranch_execz .LBB77_58
; %bb.57:                               ;   in Loop: Header=BB77_4 Depth=1
	v_lshlrev_b64 v[4:5], 3, v[22:23]
	v_mul_f32_e32 v8, s33, v21
	v_add_co_u32_e64 v4, s[8:9], v2, v4
	v_addc_co_u32_e64 v5, s[8:9], v3, v5, s[8:9]
	global_load_dwordx2 v[6:7], v[4:5], off
	v_mul_f32_e32 v9, s31, v21
	v_fma_f32 v8, v20, s31, -v8
	v_fmac_f32_e32 v9, s33, v20
	s_waitcnt vmcnt(0)
	v_add_f32_e32 v6, v6, v8
	v_add_f32_e32 v7, v9, v7
	global_store_dwordx2 v[4:5], v[6:7], off
.LBB77_58:                              ;   in Loop: Header=BB77_4 Depth=1
	s_or_b64 exec, exec, s[10:11]
	s_and_b64 s[10:11], s[14:15], vcc
	s_and_saveexec_b64 s[8:9], s[10:11]
	s_cbranch_execz .LBB77_60
; %bb.59:                               ;   in Loop: Header=BB77_4 Depth=1
	v_lshlrev_b64 v[4:5], 3, v[28:29]
	v_mul_f32_e32 v6, s33, v19
	v_add_co_u32_e32 v2, vcc, v2, v4
	v_addc_co_u32_e32 v3, vcc, v3, v5, vcc
	global_load_dwordx2 v[4:5], v[2:3], off
	v_mul_f32_e32 v7, s31, v19
	v_fma_f32 v6, v18, s31, -v6
	v_fmac_f32_e32 v7, s33, v18
	s_waitcnt vmcnt(0)
	v_add_f32_e32 v4, v4, v6
	v_add_f32_e32 v5, v7, v5
	global_store_dwordx2 v[2:3], v[4:5], off
.LBB77_60:                              ;   in Loop: Header=BB77_4 Depth=1
	s_or_b64 exec, exec, s[8:9]
	v_add_u32_e32 v4, 16, v57
	v_ashrrev_i32_e32 v2, 31, v4
	v_mul_lo_u32 v5, s40, v2
	v_mul_lo_u32 v6, s41, v4
	v_mad_u64_u32 v[2:3], s[8:9], s40, v4, 0
	v_cmp_gt_i32_e32 vcc, s30, v4
	v_mov_b32_e32 v4, s50
	v_add3_u32 v3, v3, v5, v6
	v_lshlrev_b64 v[2:3], 3, v[2:3]
	v_add_co_u32_e64 v2, s[8:9], s49, v2
	v_addc_co_u32_e64 v3, s[8:9], v4, v3, s[8:9]
	s_and_b64 s[8:9], s[4:5], vcc
	s_and_saveexec_b64 s[10:11], s[8:9]
	s_cbranch_execz .LBB77_62
; %bb.61:                               ;   in Loop: Header=BB77_4 Depth=1
	v_lshlrev_b64 v[4:5], 3, v[22:23]
	v_mul_f32_e32 v8, s33, v17
	v_add_co_u32_e64 v4, s[8:9], v2, v4
	v_addc_co_u32_e64 v5, s[8:9], v3, v5, s[8:9]
	global_load_dwordx2 v[6:7], v[4:5], off
	v_mul_f32_e32 v9, s31, v17
	v_fma_f32 v8, v16, s31, -v8
	v_fmac_f32_e32 v9, s33, v16
	s_waitcnt vmcnt(0)
	v_add_f32_e32 v6, v6, v8
	v_add_f32_e32 v7, v9, v7
	global_store_dwordx2 v[4:5], v[6:7], off
.LBB77_62:                              ;   in Loop: Header=BB77_4 Depth=1
	s_or_b64 exec, exec, s[10:11]
	s_and_b64 s[10:11], s[14:15], vcc
	s_and_saveexec_b64 s[8:9], s[10:11]
	s_cbranch_execz .LBB77_3
; %bb.63:                               ;   in Loop: Header=BB77_4 Depth=1
	v_lshlrev_b64 v[4:5], 3, v[28:29]
	v_mul_f32_e32 v6, s33, v14
	v_add_co_u32_e32 v2, vcc, v2, v4
	v_addc_co_u32_e32 v3, vcc, v3, v5, vcc
	global_load_dwordx2 v[4:5], v[2:3], off
	v_mul_f32_e32 v7, s31, v14
	v_fma_f32 v6, v15, s31, -v6
	v_fmac_f32_e32 v7, s33, v15
	s_waitcnt vmcnt(0)
	v_add_f32_e32 v4, v4, v6
	v_add_f32_e32 v5, v7, v5
	global_store_dwordx2 v[2:3], v[4:5], off
	s_branch .LBB77_3
.LBB77_64:
	s_endpgm
	.section	.rodata,"a",@progbits
	.p2align	6, 0x0
	.amdhsa_kernel _ZL30rocblas_trmm_outofplace_kernelI19rocblas_complex_numIfELi32ELi2ELb1ELb0ELb1ELb0ES1_KS1_S1_Ev17rocblas_diagonal_iiT6_lPT7_lllS6_lllPT8_llli
		.amdhsa_group_segment_fixed_size 16384
		.amdhsa_private_segment_fixed_size 20
		.amdhsa_kernarg_size 392
		.amdhsa_user_sgpr_count 6
		.amdhsa_user_sgpr_private_segment_buffer 1
		.amdhsa_user_sgpr_dispatch_ptr 0
		.amdhsa_user_sgpr_queue_ptr 0
		.amdhsa_user_sgpr_kernarg_segment_ptr 1
		.amdhsa_user_sgpr_dispatch_id 0
		.amdhsa_user_sgpr_flat_scratch_init 0
		.amdhsa_user_sgpr_private_segment_size 0
		.amdhsa_uses_dynamic_stack 0
		.amdhsa_system_sgpr_private_segment_wavefront_offset 1
		.amdhsa_system_sgpr_workgroup_id_x 1
		.amdhsa_system_sgpr_workgroup_id_y 1
		.amdhsa_system_sgpr_workgroup_id_z 1
		.amdhsa_system_sgpr_workgroup_info 0
		.amdhsa_system_vgpr_workitem_id 1
		.amdhsa_next_free_vgpr 64
		.amdhsa_next_free_sgpr 61
		.amdhsa_reserve_vcc 1
		.amdhsa_reserve_flat_scratch 0
		.amdhsa_float_round_mode_32 0
		.amdhsa_float_round_mode_16_64 0
		.amdhsa_float_denorm_mode_32 3
		.amdhsa_float_denorm_mode_16_64 3
		.amdhsa_dx10_clamp 1
		.amdhsa_ieee_mode 1
		.amdhsa_fp16_overflow 0
		.amdhsa_exception_fp_ieee_invalid_op 0
		.amdhsa_exception_fp_denorm_src 0
		.amdhsa_exception_fp_ieee_div_zero 0
		.amdhsa_exception_fp_ieee_overflow 0
		.amdhsa_exception_fp_ieee_underflow 0
		.amdhsa_exception_fp_ieee_inexact 0
		.amdhsa_exception_int_div_zero 0
	.end_amdhsa_kernel
	.section	.text._ZL30rocblas_trmm_outofplace_kernelI19rocblas_complex_numIfELi32ELi2ELb1ELb0ELb1ELb0ES1_KS1_S1_Ev17rocblas_diagonal_iiT6_lPT7_lllS6_lllPT8_llli,"axG",@progbits,_ZL30rocblas_trmm_outofplace_kernelI19rocblas_complex_numIfELi32ELi2ELb1ELb0ELb1ELb0ES1_KS1_S1_Ev17rocblas_diagonal_iiT6_lPT7_lllS6_lllPT8_llli,comdat
.Lfunc_end77:
	.size	_ZL30rocblas_trmm_outofplace_kernelI19rocblas_complex_numIfELi32ELi2ELb1ELb0ELb1ELb0ES1_KS1_S1_Ev17rocblas_diagonal_iiT6_lPT7_lllS6_lllPT8_llli, .Lfunc_end77-_ZL30rocblas_trmm_outofplace_kernelI19rocblas_complex_numIfELi32ELi2ELb1ELb0ELb1ELb0ES1_KS1_S1_Ev17rocblas_diagonal_iiT6_lPT7_lllS6_lllPT8_llli
                                        ; -- End function
	.set _ZL30rocblas_trmm_outofplace_kernelI19rocblas_complex_numIfELi32ELi2ELb1ELb0ELb1ELb0ES1_KS1_S1_Ev17rocblas_diagonal_iiT6_lPT7_lllS6_lllPT8_llli.num_vgpr, 64
	.set _ZL30rocblas_trmm_outofplace_kernelI19rocblas_complex_numIfELi32ELi2ELb1ELb0ELb1ELb0ES1_KS1_S1_Ev17rocblas_diagonal_iiT6_lPT7_lllS6_lllPT8_llli.num_agpr, 0
	.set _ZL30rocblas_trmm_outofplace_kernelI19rocblas_complex_numIfELi32ELi2ELb1ELb0ELb1ELb0ES1_KS1_S1_Ev17rocblas_diagonal_iiT6_lPT7_lllS6_lllPT8_llli.numbered_sgpr, 60
	.set _ZL30rocblas_trmm_outofplace_kernelI19rocblas_complex_numIfELi32ELi2ELb1ELb0ELb1ELb0ES1_KS1_S1_Ev17rocblas_diagonal_iiT6_lPT7_lllS6_lllPT8_llli.num_named_barrier, 0
	.set _ZL30rocblas_trmm_outofplace_kernelI19rocblas_complex_numIfELi32ELi2ELb1ELb0ELb1ELb0ES1_KS1_S1_Ev17rocblas_diagonal_iiT6_lPT7_lllS6_lllPT8_llli.private_seg_size, 20
	.set _ZL30rocblas_trmm_outofplace_kernelI19rocblas_complex_numIfELi32ELi2ELb1ELb0ELb1ELb0ES1_KS1_S1_Ev17rocblas_diagonal_iiT6_lPT7_lllS6_lllPT8_llli.uses_vcc, 1
	.set _ZL30rocblas_trmm_outofplace_kernelI19rocblas_complex_numIfELi32ELi2ELb1ELb0ELb1ELb0ES1_KS1_S1_Ev17rocblas_diagonal_iiT6_lPT7_lllS6_lllPT8_llli.uses_flat_scratch, 0
	.set _ZL30rocblas_trmm_outofplace_kernelI19rocblas_complex_numIfELi32ELi2ELb1ELb0ELb1ELb0ES1_KS1_S1_Ev17rocblas_diagonal_iiT6_lPT7_lllS6_lllPT8_llli.has_dyn_sized_stack, 0
	.set _ZL30rocblas_trmm_outofplace_kernelI19rocblas_complex_numIfELi32ELi2ELb1ELb0ELb1ELb0ES1_KS1_S1_Ev17rocblas_diagonal_iiT6_lPT7_lllS6_lllPT8_llli.has_recursion, 0
	.set _ZL30rocblas_trmm_outofplace_kernelI19rocblas_complex_numIfELi32ELi2ELb1ELb0ELb1ELb0ES1_KS1_S1_Ev17rocblas_diagonal_iiT6_lPT7_lllS6_lllPT8_llli.has_indirect_call, 0
	.section	.AMDGPU.csdata,"",@progbits
; Kernel info:
; codeLenInByte = 6644
; TotalNumSgprs: 64
; NumVgprs: 64
; ScratchSize: 20
; MemoryBound: 1
; FloatMode: 240
; IeeeMode: 1
; LDSByteSize: 16384 bytes/workgroup (compile time only)
; SGPRBlocks: 8
; VGPRBlocks: 15
; NumSGPRsForWavesPerEU: 65
; NumVGPRsForWavesPerEU: 64
; Occupancy: 4
; WaveLimiterHint : 0
; COMPUTE_PGM_RSRC2:SCRATCH_EN: 1
; COMPUTE_PGM_RSRC2:USER_SGPR: 6
; COMPUTE_PGM_RSRC2:TRAP_HANDLER: 0
; COMPUTE_PGM_RSRC2:TGID_X_EN: 1
; COMPUTE_PGM_RSRC2:TGID_Y_EN: 1
; COMPUTE_PGM_RSRC2:TGID_Z_EN: 1
; COMPUTE_PGM_RSRC2:TIDIG_COMP_CNT: 1
	.section	.text._ZL30rocblas_trmm_outofplace_kernelI19rocblas_complex_numIfELi32ELi2ELb1ELb1ELb1ELb0EPKS1_S2_S1_Ev17rocblas_diagonal_iiT6_lPT7_lllS7_lllPT8_llli,"axG",@progbits,_ZL30rocblas_trmm_outofplace_kernelI19rocblas_complex_numIfELi32ELi2ELb1ELb1ELb1ELb0EPKS1_S2_S1_Ev17rocblas_diagonal_iiT6_lPT7_lllS7_lllPT8_llli,comdat
	.globl	_ZL30rocblas_trmm_outofplace_kernelI19rocblas_complex_numIfELi32ELi2ELb1ELb1ELb1ELb0EPKS1_S2_S1_Ev17rocblas_diagonal_iiT6_lPT7_lllS7_lllPT8_llli ; -- Begin function _ZL30rocblas_trmm_outofplace_kernelI19rocblas_complex_numIfELi32ELi2ELb1ELb1ELb1ELb0EPKS1_S2_S1_Ev17rocblas_diagonal_iiT6_lPT7_lllS7_lllPT8_llli
	.p2align	8
	.type	_ZL30rocblas_trmm_outofplace_kernelI19rocblas_complex_numIfELi32ELi2ELb1ELb1ELb1ELb0EPKS1_S2_S1_Ev17rocblas_diagonal_iiT6_lPT7_lllS7_lllPT8_llli,@function
_ZL30rocblas_trmm_outofplace_kernelI19rocblas_complex_numIfELi32ELi2ELb1ELb1ELb1ELb0EPKS1_S2_S1_Ev17rocblas_diagonal_iiT6_lPT7_lllS7_lllPT8_llli: ; @_ZL30rocblas_trmm_outofplace_kernelI19rocblas_complex_numIfELi32ELi2ELb1ELb1ELb1ELb0EPKS1_S2_S1_Ev17rocblas_diagonal_iiT6_lPT7_lllS7_lllPT8_llli
; %bb.0:
	s_load_dwordx16 s[12:27], s[4:5], 0x10
	s_mov_b64 s[58:59], s[2:3]
	s_mov_b64 s[56:57], s[0:1]
	s_add_u32 s56, s56, s9
	s_addc_u32 s57, s57, 0
	s_waitcnt lgkmcnt(0)
	s_mul_i32 s0, s15, s8
	s_mul_hi_u32 s1, s14, s8
	s_add_i32 s1, s1, s0
	s_mul_i32 s0, s14, s8
	s_lshl_b64 s[0:1], s[0:1], 3
	s_add_u32 s0, s12, s0
	s_addc_u32 s1, s13, s1
	s_load_dwordx2 s[34:35], s[0:1], 0x0
	s_waitcnt lgkmcnt(0)
	s_or_b32 s0, s34, s35
	s_bitset0_b32 s0, 31
	s_cmp_eq_u32 s0, 0
	s_cbranch_scc1 .LBB78_63
; %bb.1:
	s_load_dwordx4 s[28:31], s[4:5], 0x0
	s_waitcnt lgkmcnt(0)
	s_add_i32 s0, s30, -1
	s_ashr_i32 s1, s0, 31
	s_lshr_b32 s1, s1, 27
	s_add_i32 s0, s0, s1
	s_ashr_i32 s31, s0, 5
	s_cmp_gt_i32 s7, s31
	s_cbranch_scc1 .LBB78_63
; %bb.2:
	s_mul_i32 s0, s23, s8
	s_mul_hi_u32 s1, s22, s8
	s_load_dwordx8 s[36:43], s[4:5], 0x50
	s_load_dwordx4 s[44:47], s[4:5], 0x70
	s_add_i32 s1, s1, s0
	s_mul_i32 s0, s22, s8
	s_lshl_b64 s[10:11], s[0:1], 3
	s_add_u32 s0, s16, s10
	s_addc_u32 s1, s17, s11
	s_lshl_b64 s[12:13], s[18:19], 3
	s_add_u32 s2, s0, s12
	s_addc_u32 s3, s1, s13
	s_waitcnt lgkmcnt(0)
	s_mul_i32 s0, s47, s8
	s_mul_hi_u32 s1, s46, s8
	s_add_i32 s1, s1, s0
	s_mul_i32 s0, s46, s8
	s_lshl_b64 s[0:1], s[0:1], 3
	s_load_dword s33, s[4:5], 0x8c
	s_add_u32 s4, s40, s0
	s_addc_u32 s5, s41, s1
	s_lshl_b64 s[0:1], s[42:43], 3
	s_add_u32 s50, s4, s0
	s_addc_u32 s51, s5, s1
	s_lshl_b32 s52, s6, 5
	v_add_u32_e32 v22, s52, v0
	v_ashrrev_i32_e32 v23, 31, v22
	v_mul_lo_u32 v4, s20, v23
	v_mul_lo_u32 v5, s21, v22
	v_mad_u64_u32 v[2:3], s[0:1], s20, v22, 0
	s_cmp_gt_i32 s6, -1
	v_lshlrev_b32_e32 v6, 3, v1
	v_add3_u32 v3, v3, v4, v5
	v_lshlrev_b64 v[2:3], 3, v[2:3]
	v_mov_b32_e32 v4, s3
	v_add_co_u32_e32 v2, vcc, s2, v2
	v_addc_co_u32_e32 v3, vcc, v4, v3, vcc
	s_cselect_b64 s[22:23], -1, 0
	s_cmpk_eq_i32 s28, 0x84
	v_add_co_u32_e32 v48, vcc, v2, v6
	s_cselect_b64 s[40:41], -1, 0
	s_ashr_i32 s43, s29, 31
	s_ashr_i32 s6, s30, 31
	v_addc_co_u32_e32 v49, vcc, 0, v3, vcc
	s_add_u32 s46, s29, -16
	s_mul_i32 s9, s39, s8
	s_mul_hi_u32 s18, s38, s8
	v_add_co_u32_e32 v24, vcc, 16, v22
	s_addc_u32 s47, s43, -1
	s_add_i32 s9, s18, s9
	s_mul_i32 s8, s38, s8
	v_addc_co_u32_e32 v25, vcc, 0, v23, vcc
	s_lshl_b64 s[8:9], s[8:9], 3
	s_lshl_b64 s[18:19], s[26:27], 3
	v_sub_co_u32_e32 v26, vcc, v22, v1
	s_add_u32 s8, s8, s18
	v_subbrev_co_u32_e32 v27, vcc, 0, v23, vcc
	s_addc_u32 s9, s9, s19
	v_add_co_u32_e32 v28, vcc, 16, v26
	s_add_u32 s8, s24, s8
	v_lshlrev_b32_e32 v50, 3, v0
	v_addc_co_u32_e32 v29, vcc, 0, v27, vcc
	s_addc_u32 s9, s25, s9
	v_mov_b32_e32 v4, s9
	v_add_co_u32_e32 v9, vcc, s8, v50
	v_addc_co_u32_e32 v10, vcc, 0, v4, vcc
	v_lshlrev_b64 v[4:5], 3, v[22:23]
	s_movk_i32 s18, 0x80
	s_lshl_b64 s[24:25], s[36:37], 3
	s_waitcnt lgkmcnt(0)
	s_lshl_b32 s53, s33, 5
	v_add_co_u32_e32 v7, vcc, s18, v4
	s_add_u32 s8, s12, s10
	v_addc_co_u32_e32 v8, vcc, 0, v5, vcc
	s_addc_u32 s9, s13, s11
	v_mov_b32_e32 v4, s8
	v_mov_b32_e32 v5, s9
	v_mad_u64_u32 v[4:5], s[8:9], s20, v7, v[4:5]
	v_mul_lo_u32 v8, s20, v8
	v_mul_lo_u32 v7, s21, v7
	v_add_co_u32_e32 v34, vcc, -16, v26
	v_addc_co_u32_e32 v35, vcc, -1, v27, vcc
	v_add3_u32 v5, v7, v5, v8
	v_add_co_u32_e32 v7, vcc, s18, v9
	buffer_store_dword v9, off, s[56:59], 0 ; 4-byte Folded Spill
	s_nop 0
	buffer_store_dword v10, off, s[56:59], 0 offset:4 ; 4-byte Folded Spill
	v_lshlrev_b32_e32 v2, 8, v1
	v_add_u32_e32 v51, v50, v2
	v_add_u32_e32 v52, 0x2000, v2
	;; [unrolled: 1-line block ×3, first 2 shown]
	s_mov_b32 s42, s29
	v_ashrrev_i32_e32 v3, 31, v2
	v_cmp_le_i64_e64 s[2:3], s[42:43], v[24:25]
	v_lshlrev_b64 v[40:41], 3, v[2:3]
	v_cmp_le_i32_e64 s[0:1], s29, v22
	v_cmp_gt_i32_e64 s[4:5], s29, v22
	v_cmp_gt_i32_e64 s[14:15], s29, v2
	v_mov_b32_e32 v39, 0
	v_mov_b32_e32 v38, 1.0
	v_add_u32_e32 v55, v52, v50
	v_lshl_add_u32 v42, s7, 5, v1
	v_addc_co_u32_e32 v8, vcc, 0, v10, vcc
	v_add_co_u32_e32 v4, vcc, v4, v6
	v_addc_co_u32_e32 v5, vcc, 0, v5, vcc
	v_mov_b32_e32 v6, s17
	v_add_co_u32_e32 v53, vcc, s16, v4
	v_addc_co_u32_e32 v54, vcc, v6, v5, vcc
	buffer_store_dword v7, off, s[56:59], 0 offset:8 ; 4-byte Folded Spill
	s_nop 0
	buffer_store_dword v8, off, s[56:59], 0 offset:12 ; 4-byte Folded Spill
	s_branch .LBB78_4
.LBB78_3:                               ;   in Loop: Header=BB78_4 Depth=1
	s_or_b64 exec, exec, s[8:9]
	s_add_i32 s7, s33, s7
	s_cmp_le_i32 s7, s31
	v_add_u32_e32 v42, s53, v42
	s_cbranch_scc0 .LBB78_63
.LBB78_4:                               ; =>This Loop Header: Depth=1
                                        ;     Child Loop BB78_7 Depth 2
	v_lshl_add_u32 v56, s7, 5, v1
	v_ashrrev_i32_e32 v57, 31, v56
	s_andn2_b64 vcc, exec, s[22:23]
	v_mov_b32_e32 v20, v39
	v_mov_b32_e32 v21, v39
	v_mov_b32_e32 v18, v39
	v_mov_b32_e32 v19, v39
	v_mov_b32_e32 v16, v39
	v_mov_b32_e32 v17, v39
	v_mov_b32_e32 v15, v39
	v_mov_b32_e32 v14, v39
	s_cbranch_vccnz .LBB78_55
; %bb.5:                                ;   in Loop: Header=BB78_4 Depth=1
	buffer_load_dword v2, off, s[56:59], 0 offset:8 ; 4-byte Folded Reload
	buffer_load_dword v3, off, s[56:59], 0 offset:12 ; 4-byte Folded Reload
	buffer_load_dword v7, off, s[56:59], 0  ; 4-byte Folded Reload
	buffer_load_dword v8, off, s[56:59], 0 offset:4 ; 4-byte Folded Reload
	v_ashrrev_i32_e32 v43, 31, v42
	v_mul_lo_u32 v4, s25, v42
	v_mul_lo_u32 v5, s24, v43
	s_mov_b64 s[20:21], 0
	v_mov_b32_e32 v14, 0
	s_mov_b64 s[26:27], 0
	v_mov_b32_e32 v15, 0
	v_mov_b32_e32 v17, 0
	;; [unrolled: 1-line block ×7, first 2 shown]
	s_waitcnt vmcnt(2)
	v_mad_u64_u32 v[44:45], s[8:9], s24, v42, v[2:3]
	v_lshlrev_b64 v[2:3], 3, v[42:43]
	v_add_co_u32_e32 v2, vcc, 0x80, v2
	v_addc_co_u32_e32 v3, vcc, 0, v3, vcc
	v_mul_lo_u32 v3, s36, v3
	v_mul_lo_u32 v6, s37, v2
	s_waitcnt vmcnt(0)
	v_mad_u64_u32 v[46:47], s[8:9], s36, v2, v[7:8]
	v_sub_co_u32_e32 v2, vcc, s30, v56
	v_add3_u32 v47, v6, v47, v3
	v_mov_b32_e32 v3, s6
	v_subb_co_u32_e32 v3, vcc, v3, v57, vcc
	v_cmp_lt_i64_e32 vcc, 0, v[2:3]
	v_cmp_lt_i64_e64 s[8:9], 16, v[2:3]
	v_add3_u32 v45, v4, v45, v5
	s_branch .LBB78_7
.LBB78_6:                               ;   in Loop: Header=BB78_7 Depth=2
	s_or_b64 exec, exec, s[10:11]
	s_waitcnt lgkmcnt(0)
	s_barrier
	ds_read_b128 v[58:61], v52
	ds_read_b128 v[10:13], v52 offset:16
	ds_read_b128 v[6:9], v52 offset:32
	;; [unrolled: 1-line block ×3, first 2 shown]
	ds_read2_b64 v[30:33], v50 offset1:16
	s_add_u32 s26, s26, 32
	s_addc_u32 s27, s27, 0
	s_sub_i32 s10, s26, 32
	s_add_u32 s20, s20, 0x100
	s_waitcnt lgkmcnt(0)
	v_mul_f32_e32 v43, v59, v31
	v_mul_f32_e32 v62, v58, v31
	v_fma_f32 v43, v58, v30, -v43
	v_fmac_f32_e32 v62, v59, v30
	v_add_f32_e32 v43, v20, v43
	v_add_f32_e32 v62, v21, v62
	v_mul_f32_e32 v20, v59, v33
	v_mul_f32_e32 v21, v58, v33
	v_fma_f32 v20, v58, v32, -v20
	v_fmac_f32_e32 v21, v59, v32
	v_add_f32_e32 v58, v18, v20
	v_add_f32_e32 v59, v19, v21
	ds_read_b128 v[18:21], v52 offset:4096
	s_addc_u32 s21, s21, 0
	s_cmp_ge_i32 s10, s52
	s_waitcnt lgkmcnt(0)
	v_mul_f32_e32 v63, v19, v31
	v_mul_f32_e32 v31, v18, v31
	v_fma_f32 v63, v18, v30, -v63
	v_fmac_f32_e32 v31, v19, v30
	v_add_f32_e32 v30, v16, v63
	v_add_f32_e32 v31, v17, v31
	v_mul_f32_e32 v16, v19, v33
	v_mul_f32_e32 v17, v18, v33
	v_fma_f32 v16, v18, v32, -v16
	v_fmac_f32_e32 v17, v19, v32
	v_add_f32_e32 v18, v15, v16
	v_add_f32_e32 v19, v14, v17
	ds_read2_b64 v[14:17], v50 offset0:32 offset1:48
	s_waitcnt lgkmcnt(0)
	v_mul_f32_e32 v32, v61, v15
	v_fma_f32 v32, v60, v14, -v32
	v_add_f32_e32 v32, v43, v32
	v_mul_f32_e32 v43, v61, v17
	v_mul_f32_e32 v33, v60, v15
	v_fma_f32 v43, v60, v16, -v43
	v_mul_f32_e32 v60, v60, v17
	v_mul_f32_e32 v37, v21, v15
	;; [unrolled: 1-line block ×3, first 2 shown]
	v_fmac_f32_e32 v60, v61, v16
	v_fmac_f32_e32 v15, v21, v14
	v_fmac_f32_e32 v33, v61, v14
	v_add_f32_e32 v36, v59, v60
	v_fma_f32 v37, v20, v14, -v37
	v_add_f32_e32 v60, v31, v15
	v_mul_f32_e32 v14, v21, v17
	v_mul_f32_e32 v15, v20, v17
	v_fma_f32 v14, v20, v16, -v14
	v_fmac_f32_e32 v15, v21, v16
	v_add_f32_e32 v33, v62, v33
	v_add_f32_e32 v61, v18, v14
	;; [unrolled: 1-line block ×3, first 2 shown]
	ds_read2_b64 v[14:17], v50 offset0:64 offset1:80
	v_add_f32_e32 v63, v58, v43
	v_add_f32_e32 v59, v30, v37
	s_waitcnt lgkmcnt(0)
	v_mul_f32_e32 v18, v11, v15
	v_mul_f32_e32 v19, v10, v15
	v_fma_f32 v18, v10, v14, -v18
	v_fmac_f32_e32 v19, v11, v14
	v_add_f32_e32 v43, v32, v18
	v_add_f32_e32 v58, v33, v19
	v_mul_f32_e32 v18, v11, v17
	v_mul_f32_e32 v19, v10, v17
	v_fma_f32 v18, v10, v16, -v18
	v_fmac_f32_e32 v19, v11, v16
	v_add_f32_e32 v10, v63, v18
	v_add_f32_e32 v11, v36, v19
	ds_read_b128 v[18:21], v52 offset:4112
	s_waitcnt lgkmcnt(0)
	v_mul_f32_e32 v30, v19, v15
	v_mul_f32_e32 v15, v18, v15
	v_fmac_f32_e32 v15, v19, v14
	v_fma_f32 v30, v18, v14, -v30
	v_add_f32_e32 v31, v60, v15
	v_mul_f32_e32 v14, v19, v17
	v_mul_f32_e32 v15, v18, v17
	v_fma_f32 v14, v18, v16, -v14
	v_fmac_f32_e32 v15, v19, v16
	v_add_f32_e32 v18, v61, v14
	v_add_f32_e32 v19, v62, v15
	ds_read2_b64 v[14:17], v50 offset0:96 offset1:112
	v_add_f32_e32 v30, v59, v30
	s_waitcnt lgkmcnt(0)
	v_mul_f32_e32 v32, v13, v15
	v_mul_f32_e32 v36, v13, v17
	v_fma_f32 v32, v12, v14, -v32
	v_mul_f32_e32 v33, v12, v15
	v_fma_f32 v36, v12, v16, -v36
	v_mul_f32_e32 v12, v12, v17
	v_fmac_f32_e32 v12, v13, v16
	v_add_f32_e32 v36, v10, v36
	v_add_f32_e32 v37, v11, v12
	v_mul_f32_e32 v10, v21, v15
	v_mul_f32_e32 v11, v20, v15
	v_fma_f32 v10, v20, v14, -v10
	v_fmac_f32_e32 v11, v21, v14
	v_fmac_f32_e32 v33, v13, v14
	v_add_f32_e32 v14, v30, v10
	v_add_f32_e32 v15, v31, v11
	v_mul_f32_e32 v10, v21, v17
	v_mul_f32_e32 v11, v20, v17
	v_fma_f32 v10, v20, v16, -v10
	v_fmac_f32_e32 v11, v21, v16
	v_add_f32_e32 v20, v18, v10
	v_add_f32_e32 v21, v19, v11
	ds_read2_b64 v[10:13], v50 offset0:128 offset1:144
	v_add_f32_e32 v32, v43, v32
	v_add_f32_e32 v33, v58, v33
	s_waitcnt lgkmcnt(0)
	v_mul_f32_e32 v16, v7, v11
	v_fma_f32 v16, v6, v10, -v16
	v_mul_f32_e32 v17, v6, v11
	v_add_f32_e32 v30, v32, v16
	v_mul_f32_e32 v16, v7, v13
	v_fmac_f32_e32 v17, v7, v10
	v_fma_f32 v16, v6, v12, -v16
	v_mul_f32_e32 v6, v6, v13
	v_add_f32_e32 v31, v33, v17
	v_fmac_f32_e32 v6, v7, v12
	v_add_f32_e32 v7, v36, v16
	ds_read_b128 v[16:19], v52 offset:4128
	v_add_f32_e32 v6, v37, v6
	s_waitcnt lgkmcnt(0)
	v_mul_f32_e32 v32, v17, v11
	v_mul_f32_e32 v11, v16, v11
	v_fmac_f32_e32 v11, v17, v10
	v_fma_f32 v32, v16, v10, -v32
	v_add_f32_e32 v15, v15, v11
	v_mul_f32_e32 v10, v17, v13
	v_mul_f32_e32 v11, v16, v13
	v_fma_f32 v10, v16, v12, -v10
	v_fmac_f32_e32 v11, v17, v12
	v_add_f32_e32 v20, v20, v10
	v_add_f32_e32 v21, v21, v11
	ds_read2_b64 v[10:13], v50 offset0:160 offset1:176
	v_add_f32_e32 v14, v14, v32
	s_waitcnt lgkmcnt(0)
	v_mul_f32_e32 v16, v9, v11
	v_fma_f32 v16, v8, v10, -v16
	v_add_f32_e32 v30, v30, v16
	v_mul_f32_e32 v16, v9, v13
	v_mul_f32_e32 v17, v8, v11
	v_fma_f32 v16, v8, v12, -v16
	v_mul_f32_e32 v8, v8, v13
	v_fmac_f32_e32 v8, v9, v12
	v_add_f32_e32 v32, v7, v16
	v_add_f32_e32 v33, v6, v8
	v_mul_f32_e32 v6, v19, v11
	v_mul_f32_e32 v7, v18, v11
	v_fmac_f32_e32 v17, v9, v10
	v_fma_f32 v6, v18, v10, -v6
	v_fmac_f32_e32 v7, v19, v10
	v_add_f32_e32 v31, v31, v17
	v_add_f32_e32 v16, v14, v6
	;; [unrolled: 1-line block ×3, first 2 shown]
	v_mul_f32_e32 v6, v19, v13
	v_mul_f32_e32 v7, v18, v13
	v_fma_f32 v6, v18, v12, -v6
	v_fmac_f32_e32 v7, v19, v12
	v_add_f32_e32 v18, v20, v6
	v_add_f32_e32 v19, v21, v7
	ds_read2_b64 v[6:9], v50 offset0:192 offset1:208
	s_waitcnt lgkmcnt(0)
	v_mul_f32_e32 v10, v3, v7
	v_mul_f32_e32 v11, v2, v7
	v_fma_f32 v10, v2, v6, -v10
	v_fmac_f32_e32 v11, v3, v6
	v_add_f32_e32 v14, v30, v10
	v_add_f32_e32 v15, v31, v11
	v_mul_f32_e32 v10, v3, v9
	v_mul_f32_e32 v11, v2, v9
	v_fma_f32 v10, v2, v8, -v10
	v_fmac_f32_e32 v11, v3, v8
	v_add_f32_e32 v2, v32, v10
	v_add_f32_e32 v3, v33, v11
	ds_read_b128 v[10:13], v52 offset:4144
	s_waitcnt lgkmcnt(0)
	v_mul_f32_e32 v20, v11, v7
	v_mul_f32_e32 v7, v10, v7
	v_fmac_f32_e32 v7, v11, v6
	v_fma_f32 v20, v10, v6, -v20
	v_add_f32_e32 v17, v17, v7
	v_mul_f32_e32 v6, v11, v9
	v_mul_f32_e32 v7, v10, v9
	v_fma_f32 v6, v10, v8, -v6
	v_fmac_f32_e32 v7, v11, v8
	v_add_f32_e32 v10, v18, v6
	v_add_f32_e32 v11, v19, v7
	ds_read2_b64 v[6:9], v50 offset0:224 offset1:240
	v_add_f32_e32 v16, v16, v20
	s_waitcnt lgkmcnt(0)
	v_mul_f32_e32 v18, v5, v7
	v_fma_f32 v18, v4, v6, -v18
	v_add_f32_e32 v18, v14, v18
	v_mul_f32_e32 v14, v5, v9
	v_mul_f32_e32 v19, v4, v7
	v_fma_f32 v14, v4, v8, -v14
	v_mul_f32_e32 v4, v4, v9
	v_fmac_f32_e32 v19, v5, v6
	v_fmac_f32_e32 v4, v5, v8
	v_add_f32_e32 v15, v15, v19
	v_add_f32_e32 v19, v2, v14
	;; [unrolled: 1-line block ×3, first 2 shown]
	v_mul_f32_e32 v2, v13, v7
	v_mul_f32_e32 v3, v12, v7
	v_fma_f32 v2, v12, v6, -v2
	v_fmac_f32_e32 v3, v13, v6
	v_add_f32_e32 v21, v16, v2
	v_add_f32_e32 v30, v17, v3
	v_mul_f32_e32 v2, v13, v9
	v_mul_f32_e32 v3, v12, v9
	v_fma_f32 v2, v12, v8, -v2
	v_fmac_f32_e32 v3, v13, v8
	v_add_u32_e32 v14, 0x800, v50
	v_add_f32_e32 v10, v10, v2
	v_add_f32_e32 v11, v11, v3
	ds_read_b128 v[2:5], v52 offset:64
	ds_read2_b64 v[6:9], v14 offset1:16
	s_waitcnt lgkmcnt(0)
	v_mul_f32_e32 v13, v2, v7
	v_fmac_f32_e32 v13, v3, v6
	v_mul_f32_e32 v12, v3, v7
	v_add_f32_e32 v13, v15, v13
	v_mul_f32_e32 v15, v3, v9
	v_fma_f32 v12, v2, v6, -v12
	v_fma_f32 v15, v2, v8, -v15
	v_mul_f32_e32 v2, v2, v9
	v_add_f32_e32 v12, v18, v12
	v_fmac_f32_e32 v2, v3, v8
	v_add_f32_e32 v3, v19, v15
	ds_read_b128 v[15:18], v52 offset:4160
	v_add_f32_e32 v2, v20, v2
	s_waitcnt lgkmcnt(0)
	v_mul_f32_e32 v19, v16, v7
	v_mul_f32_e32 v7, v15, v7
	v_fmac_f32_e32 v7, v16, v6
	v_fma_f32 v19, v15, v6, -v19
	v_add_f32_e32 v20, v30, v7
	v_mul_f32_e32 v6, v16, v9
	v_mul_f32_e32 v7, v15, v9
	v_fma_f32 v6, v15, v8, -v6
	v_fmac_f32_e32 v7, v16, v8
	v_add_f32_e32 v19, v21, v19
	v_add_f32_e32 v21, v10, v6
	;; [unrolled: 1-line block ×3, first 2 shown]
	ds_read2_b64 v[6:9], v14 offset0:32 offset1:48
	s_waitcnt lgkmcnt(0)
	v_mul_f32_e32 v10, v5, v7
	v_fma_f32 v10, v4, v6, -v10
	v_add_f32_e32 v10, v12, v10
	v_mul_f32_e32 v12, v5, v9
	v_mul_f32_e32 v11, v4, v7
	v_fma_f32 v12, v4, v8, -v12
	v_mul_f32_e32 v4, v4, v9
	v_fmac_f32_e32 v11, v5, v6
	v_fmac_f32_e32 v4, v5, v8
	v_add_f32_e32 v11, v13, v11
	v_add_f32_e32 v12, v3, v12
	v_add_f32_e32 v13, v2, v4
	v_mul_f32_e32 v2, v18, v7
	v_mul_f32_e32 v3, v17, v7
	v_fma_f32 v2, v17, v6, -v2
	v_fmac_f32_e32 v3, v18, v6
	v_add_f32_e32 v15, v19, v2
	v_add_f32_e32 v16, v20, v3
	v_mul_f32_e32 v2, v18, v9
	v_mul_f32_e32 v3, v17, v9
	v_fma_f32 v2, v17, v8, -v2
	v_fmac_f32_e32 v3, v18, v8
	v_add_f32_e32 v17, v21, v2
	v_add_f32_e32 v18, v30, v3
	ds_read_b128 v[2:5], v52 offset:80
	ds_read2_b64 v[6:9], v14 offset0:64 offset1:80
	s_waitcnt lgkmcnt(0)
	v_mul_f32_e32 v19, v3, v7
	v_mul_f32_e32 v20, v2, v7
	v_fma_f32 v19, v2, v6, -v19
	v_fmac_f32_e32 v20, v3, v6
	v_add_f32_e32 v19, v10, v19
	v_add_f32_e32 v20, v11, v20
	v_mul_f32_e32 v10, v3, v9
	v_mul_f32_e32 v11, v2, v9
	v_fma_f32 v10, v2, v8, -v10
	v_fmac_f32_e32 v11, v3, v8
	v_add_f32_e32 v2, v12, v10
	v_add_f32_e32 v3, v13, v11
	ds_read_b128 v[10:13], v52 offset:4176
	s_waitcnt lgkmcnt(0)
	v_mul_f32_e32 v21, v11, v7
	v_mul_f32_e32 v7, v10, v7
	v_fmac_f32_e32 v7, v11, v6
	v_fma_f32 v21, v10, v6, -v21
	v_add_f32_e32 v16, v16, v7
	v_mul_f32_e32 v6, v11, v9
	v_mul_f32_e32 v7, v10, v9
	v_fma_f32 v6, v10, v8, -v6
	v_fmac_f32_e32 v7, v11, v8
	v_add_f32_e32 v10, v17, v6
	v_add_f32_e32 v11, v18, v7
	ds_read2_b64 v[6:9], v14 offset0:96 offset1:112
	v_add_f32_e32 v15, v15, v21
	s_waitcnt lgkmcnt(0)
	v_mul_f32_e32 v17, v5, v7
	v_fma_f32 v17, v4, v6, -v17
	v_add_f32_e32 v17, v19, v17
	v_mul_f32_e32 v19, v5, v9
	v_mul_f32_e32 v18, v4, v7
	v_fma_f32 v19, v4, v8, -v19
	v_mul_f32_e32 v4, v4, v9
	v_fmac_f32_e32 v18, v5, v6
	v_fmac_f32_e32 v4, v5, v8
	v_add_f32_e32 v18, v20, v18
	v_add_f32_e32 v19, v2, v19
	v_add_f32_e32 v20, v3, v4
	v_mul_f32_e32 v2, v13, v7
	v_mul_f32_e32 v3, v12, v7
	v_fma_f32 v2, v12, v6, -v2
	v_fmac_f32_e32 v3, v13, v6
	v_add_f32_e32 v21, v15, v2
	v_add_f32_e32 v30, v16, v3
	v_mul_f32_e32 v2, v13, v9
	v_mul_f32_e32 v3, v12, v9
	v_fma_f32 v2, v12, v8, -v2
	v_fmac_f32_e32 v3, v13, v8
	v_add_f32_e32 v10, v10, v2
	v_add_f32_e32 v11, v11, v3
	ds_read_b128 v[2:5], v52 offset:96
	ds_read2_b64 v[6:9], v14 offset0:128 offset1:144
	s_waitcnt lgkmcnt(0)
	v_mul_f32_e32 v12, v3, v7
	v_mul_f32_e32 v13, v2, v7
	;; [unrolled: 1-line block ×3, first 2 shown]
	v_fma_f32 v12, v2, v6, -v12
	v_fmac_f32_e32 v13, v3, v6
	v_fma_f32 v15, v2, v8, -v15
	v_mul_f32_e32 v2, v2, v9
	v_add_f32_e32 v12, v17, v12
	v_add_f32_e32 v13, v18, v13
	v_fmac_f32_e32 v2, v3, v8
	v_add_f32_e32 v3, v19, v15
	ds_read_b128 v[15:18], v52 offset:4192
	v_add_f32_e32 v2, v20, v2
	s_waitcnt lgkmcnt(0)
	v_mul_f32_e32 v19, v16, v7
	v_mul_f32_e32 v7, v15, v7
	v_fmac_f32_e32 v7, v16, v6
	v_fma_f32 v19, v15, v6, -v19
	v_add_f32_e32 v20, v30, v7
	v_mul_f32_e32 v6, v16, v9
	v_mul_f32_e32 v7, v15, v9
	v_fma_f32 v6, v15, v8, -v6
	v_fmac_f32_e32 v7, v16, v8
	v_add_f32_e32 v19, v21, v19
	v_add_f32_e32 v21, v10, v6
	;; [unrolled: 1-line block ×3, first 2 shown]
	ds_read2_b64 v[6:9], v14 offset0:160 offset1:176
	s_waitcnt lgkmcnt(0)
	v_mul_f32_e32 v10, v5, v7
	v_fma_f32 v10, v4, v6, -v10
	v_add_f32_e32 v10, v12, v10
	v_mul_f32_e32 v12, v5, v9
	v_mul_f32_e32 v11, v4, v7
	v_fma_f32 v12, v4, v8, -v12
	v_mul_f32_e32 v4, v4, v9
	v_fmac_f32_e32 v11, v5, v6
	v_fmac_f32_e32 v4, v5, v8
	v_add_f32_e32 v11, v13, v11
	v_add_f32_e32 v12, v3, v12
	;; [unrolled: 1-line block ×3, first 2 shown]
	v_mul_f32_e32 v2, v18, v7
	v_mul_f32_e32 v3, v17, v7
	v_fma_f32 v2, v17, v6, -v2
	v_fmac_f32_e32 v3, v18, v6
	v_add_f32_e32 v15, v19, v2
	v_add_f32_e32 v16, v20, v3
	v_mul_f32_e32 v2, v18, v9
	v_mul_f32_e32 v3, v17, v9
	v_fma_f32 v2, v17, v8, -v2
	v_fmac_f32_e32 v3, v18, v8
	v_add_f32_e32 v17, v21, v2
	v_add_f32_e32 v18, v30, v3
	ds_read_b128 v[2:5], v52 offset:112
	ds_read2_b64 v[6:9], v14 offset0:192 offset1:208
	s_waitcnt lgkmcnt(0)
	v_mul_f32_e32 v19, v3, v7
	v_mul_f32_e32 v20, v2, v7
	v_fma_f32 v19, v2, v6, -v19
	v_fmac_f32_e32 v20, v3, v6
	v_add_f32_e32 v19, v10, v19
	v_add_f32_e32 v20, v11, v20
	v_mul_f32_e32 v10, v3, v9
	v_mul_f32_e32 v11, v2, v9
	v_fma_f32 v10, v2, v8, -v10
	v_fmac_f32_e32 v11, v3, v8
	v_add_f32_e32 v2, v12, v10
	v_add_f32_e32 v3, v13, v11
	ds_read_b128 v[10:13], v52 offset:4208
	s_waitcnt lgkmcnt(0)
	v_mul_f32_e32 v21, v11, v7
	v_mul_f32_e32 v7, v10, v7
	v_fmac_f32_e32 v7, v11, v6
	v_fma_f32 v21, v10, v6, -v21
	v_add_f32_e32 v16, v16, v7
	v_mul_f32_e32 v6, v11, v9
	v_mul_f32_e32 v7, v10, v9
	v_fma_f32 v6, v10, v8, -v6
	v_fmac_f32_e32 v7, v11, v8
	v_add_f32_e32 v10, v17, v6
	v_add_f32_e32 v11, v18, v7
	ds_read2_b64 v[6:9], v14 offset0:224 offset1:240
	v_add_f32_e32 v15, v15, v21
	s_waitcnt lgkmcnt(0)
	v_mul_f32_e32 v14, v5, v7
	v_fma_f32 v14, v4, v6, -v14
	v_add_f32_e32 v18, v19, v14
	v_mul_f32_e32 v14, v5, v9
	v_mul_f32_e32 v17, v4, v7
	v_fma_f32 v14, v4, v8, -v14
	v_mul_f32_e32 v4, v4, v9
	v_fmac_f32_e32 v17, v5, v6
	v_fmac_f32_e32 v4, v5, v8
	v_add_f32_e32 v17, v20, v17
	v_add_f32_e32 v19, v2, v14
	;; [unrolled: 1-line block ×3, first 2 shown]
	v_mul_f32_e32 v2, v13, v7
	v_mul_f32_e32 v3, v12, v7
	v_fma_f32 v2, v12, v6, -v2
	v_fmac_f32_e32 v3, v13, v6
	v_add_f32_e32 v21, v15, v2
	v_add_f32_e32 v30, v16, v3
	v_mul_f32_e32 v2, v13, v9
	v_mul_f32_e32 v3, v12, v9
	v_fma_f32 v2, v12, v8, -v2
	v_fmac_f32_e32 v3, v13, v8
	v_add_u32_e32 v14, 0x1000, v50
	v_add_f32_e32 v10, v10, v2
	v_add_f32_e32 v11, v11, v3
	ds_read_b128 v[2:5], v52 offset:128
	ds_read2_b64 v[6:9], v14 offset1:16
	s_waitcnt lgkmcnt(0)
	v_mul_f32_e32 v12, v3, v7
	v_mul_f32_e32 v13, v2, v7
	;; [unrolled: 1-line block ×3, first 2 shown]
	v_fma_f32 v12, v2, v6, -v12
	v_fmac_f32_e32 v13, v3, v6
	v_fma_f32 v15, v2, v8, -v15
	v_mul_f32_e32 v2, v2, v9
	v_add_f32_e32 v12, v18, v12
	v_add_f32_e32 v13, v17, v13
	v_fmac_f32_e32 v2, v3, v8
	v_add_f32_e32 v3, v19, v15
	ds_read_b128 v[15:18], v52 offset:4224
	v_add_f32_e32 v2, v20, v2
	s_waitcnt lgkmcnt(0)
	v_mul_f32_e32 v19, v16, v7
	v_mul_f32_e32 v7, v15, v7
	v_fmac_f32_e32 v7, v16, v6
	v_fma_f32 v19, v15, v6, -v19
	v_add_f32_e32 v20, v30, v7
	v_mul_f32_e32 v6, v16, v9
	v_mul_f32_e32 v7, v15, v9
	v_fma_f32 v6, v15, v8, -v6
	v_fmac_f32_e32 v7, v16, v8
	v_add_f32_e32 v19, v21, v19
	v_add_f32_e32 v21, v10, v6
	;; [unrolled: 1-line block ×3, first 2 shown]
	ds_read2_b64 v[6:9], v14 offset0:32 offset1:48
	s_waitcnt lgkmcnt(0)
	v_mul_f32_e32 v10, v5, v7
	v_fma_f32 v10, v4, v6, -v10
	v_add_f32_e32 v10, v12, v10
	v_mul_f32_e32 v12, v5, v9
	v_mul_f32_e32 v11, v4, v7
	v_fma_f32 v12, v4, v8, -v12
	v_mul_f32_e32 v4, v4, v9
	v_fmac_f32_e32 v11, v5, v6
	v_fmac_f32_e32 v4, v5, v8
	v_add_f32_e32 v11, v13, v11
	v_add_f32_e32 v12, v3, v12
	;; [unrolled: 1-line block ×3, first 2 shown]
	v_mul_f32_e32 v2, v18, v7
	v_mul_f32_e32 v3, v17, v7
	v_fma_f32 v2, v17, v6, -v2
	v_fmac_f32_e32 v3, v18, v6
	v_add_f32_e32 v15, v19, v2
	v_add_f32_e32 v16, v20, v3
	v_mul_f32_e32 v2, v18, v9
	v_mul_f32_e32 v3, v17, v9
	v_fma_f32 v2, v17, v8, -v2
	v_fmac_f32_e32 v3, v18, v8
	v_add_f32_e32 v17, v21, v2
	v_add_f32_e32 v18, v30, v3
	ds_read_b128 v[2:5], v52 offset:144
	ds_read2_b64 v[6:9], v14 offset0:64 offset1:80
	s_waitcnt lgkmcnt(0)
	v_mul_f32_e32 v19, v3, v7
	v_mul_f32_e32 v20, v2, v7
	v_fma_f32 v19, v2, v6, -v19
	v_fmac_f32_e32 v20, v3, v6
	v_add_f32_e32 v19, v10, v19
	v_add_f32_e32 v20, v11, v20
	v_mul_f32_e32 v10, v3, v9
	v_mul_f32_e32 v11, v2, v9
	v_fma_f32 v10, v2, v8, -v10
	v_fmac_f32_e32 v11, v3, v8
	v_add_f32_e32 v2, v12, v10
	v_add_f32_e32 v3, v13, v11
	ds_read_b128 v[10:13], v52 offset:4240
	s_waitcnt lgkmcnt(0)
	v_mul_f32_e32 v21, v11, v7
	v_mul_f32_e32 v7, v10, v7
	v_fmac_f32_e32 v7, v11, v6
	v_fma_f32 v21, v10, v6, -v21
	v_add_f32_e32 v16, v16, v7
	v_mul_f32_e32 v6, v11, v9
	v_mul_f32_e32 v7, v10, v9
	v_fma_f32 v6, v10, v8, -v6
	v_fmac_f32_e32 v7, v11, v8
	v_add_f32_e32 v10, v17, v6
	v_add_f32_e32 v11, v18, v7
	ds_read2_b64 v[6:9], v14 offset0:96 offset1:112
	v_add_f32_e32 v15, v15, v21
	s_waitcnt lgkmcnt(0)
	v_mul_f32_e32 v17, v5, v7
	v_fma_f32 v17, v4, v6, -v17
	v_add_f32_e32 v17, v19, v17
	v_mul_f32_e32 v19, v5, v9
	v_mul_f32_e32 v18, v4, v7
	v_fma_f32 v19, v4, v8, -v19
	v_mul_f32_e32 v4, v4, v9
	v_fmac_f32_e32 v18, v5, v6
	v_fmac_f32_e32 v4, v5, v8
	v_add_f32_e32 v18, v20, v18
	v_add_f32_e32 v19, v2, v19
	;; [unrolled: 1-line block ×3, first 2 shown]
	v_mul_f32_e32 v2, v13, v7
	v_mul_f32_e32 v3, v12, v7
	v_fma_f32 v2, v12, v6, -v2
	v_fmac_f32_e32 v3, v13, v6
	v_add_f32_e32 v21, v15, v2
	v_add_f32_e32 v30, v16, v3
	v_mul_f32_e32 v2, v13, v9
	v_mul_f32_e32 v3, v12, v9
	v_fma_f32 v2, v12, v8, -v2
	v_fmac_f32_e32 v3, v13, v8
	v_add_f32_e32 v10, v10, v2
	v_add_f32_e32 v11, v11, v3
	ds_read_b128 v[2:5], v52 offset:160
	ds_read2_b64 v[6:9], v14 offset0:128 offset1:144
	s_waitcnt lgkmcnt(0)
	v_mul_f32_e32 v12, v3, v7
	v_mul_f32_e32 v13, v2, v7
	;; [unrolled: 1-line block ×3, first 2 shown]
	v_fma_f32 v12, v2, v6, -v12
	v_fmac_f32_e32 v13, v3, v6
	v_fma_f32 v15, v2, v8, -v15
	v_mul_f32_e32 v2, v2, v9
	v_add_f32_e32 v12, v17, v12
	v_add_f32_e32 v13, v18, v13
	v_fmac_f32_e32 v2, v3, v8
	v_add_f32_e32 v3, v19, v15
	ds_read_b128 v[15:18], v52 offset:4256
	v_add_f32_e32 v2, v20, v2
	s_waitcnt lgkmcnt(0)
	v_mul_f32_e32 v19, v16, v7
	v_mul_f32_e32 v7, v15, v7
	v_fmac_f32_e32 v7, v16, v6
	v_fma_f32 v19, v15, v6, -v19
	v_add_f32_e32 v20, v30, v7
	v_mul_f32_e32 v6, v16, v9
	v_mul_f32_e32 v7, v15, v9
	v_fma_f32 v6, v15, v8, -v6
	v_fmac_f32_e32 v7, v16, v8
	v_add_f32_e32 v19, v21, v19
	v_add_f32_e32 v21, v10, v6
	;; [unrolled: 1-line block ×3, first 2 shown]
	ds_read2_b64 v[6:9], v14 offset0:160 offset1:176
	s_waitcnt lgkmcnt(0)
	v_mul_f32_e32 v10, v5, v7
	v_fma_f32 v10, v4, v6, -v10
	v_add_f32_e32 v10, v12, v10
	v_mul_f32_e32 v12, v5, v9
	v_mul_f32_e32 v11, v4, v7
	v_fma_f32 v12, v4, v8, -v12
	v_mul_f32_e32 v4, v4, v9
	v_fmac_f32_e32 v11, v5, v6
	v_fmac_f32_e32 v4, v5, v8
	v_add_f32_e32 v11, v13, v11
	v_add_f32_e32 v12, v3, v12
	v_add_f32_e32 v13, v2, v4
	v_mul_f32_e32 v2, v18, v7
	v_mul_f32_e32 v3, v17, v7
	v_fma_f32 v2, v17, v6, -v2
	v_fmac_f32_e32 v3, v18, v6
	v_add_f32_e32 v15, v19, v2
	v_add_f32_e32 v16, v20, v3
	v_mul_f32_e32 v2, v18, v9
	v_mul_f32_e32 v3, v17, v9
	v_fma_f32 v2, v17, v8, -v2
	v_fmac_f32_e32 v3, v18, v8
	v_add_f32_e32 v17, v21, v2
	v_add_f32_e32 v18, v30, v3
	ds_read_b128 v[2:5], v52 offset:176
	ds_read2_b64 v[6:9], v14 offset0:192 offset1:208
	s_waitcnt lgkmcnt(0)
	v_mul_f32_e32 v19, v3, v7
	v_mul_f32_e32 v20, v2, v7
	v_fma_f32 v19, v2, v6, -v19
	v_fmac_f32_e32 v20, v3, v6
	v_add_f32_e32 v19, v10, v19
	v_add_f32_e32 v20, v11, v20
	v_mul_f32_e32 v10, v3, v9
	v_mul_f32_e32 v11, v2, v9
	v_fma_f32 v10, v2, v8, -v10
	v_fmac_f32_e32 v11, v3, v8
	v_add_f32_e32 v2, v12, v10
	v_add_f32_e32 v3, v13, v11
	ds_read_b128 v[10:13], v52 offset:4272
	s_waitcnt lgkmcnt(0)
	v_mul_f32_e32 v21, v11, v7
	v_mul_f32_e32 v7, v10, v7
	v_fmac_f32_e32 v7, v11, v6
	v_fma_f32 v21, v10, v6, -v21
	v_add_f32_e32 v16, v16, v7
	v_mul_f32_e32 v6, v11, v9
	v_mul_f32_e32 v7, v10, v9
	v_fma_f32 v6, v10, v8, -v6
	v_fmac_f32_e32 v7, v11, v8
	v_add_f32_e32 v10, v17, v6
	v_add_f32_e32 v11, v18, v7
	ds_read2_b64 v[6:9], v14 offset0:224 offset1:240
	v_add_f32_e32 v15, v15, v21
	s_waitcnt lgkmcnt(0)
	v_mul_f32_e32 v14, v5, v7
	v_fma_f32 v14, v4, v6, -v14
	v_add_f32_e32 v18, v19, v14
	v_mul_f32_e32 v14, v5, v9
	v_mul_f32_e32 v17, v4, v7
	v_fma_f32 v14, v4, v8, -v14
	v_mul_f32_e32 v4, v4, v9
	v_fmac_f32_e32 v17, v5, v6
	v_fmac_f32_e32 v4, v5, v8
	v_add_f32_e32 v17, v20, v17
	v_add_f32_e32 v19, v2, v14
	;; [unrolled: 1-line block ×3, first 2 shown]
	v_mul_f32_e32 v2, v13, v7
	v_mul_f32_e32 v3, v12, v7
	v_fma_f32 v2, v12, v6, -v2
	v_fmac_f32_e32 v3, v13, v6
	v_add_f32_e32 v21, v15, v2
	v_add_f32_e32 v30, v16, v3
	v_mul_f32_e32 v2, v13, v9
	v_mul_f32_e32 v3, v12, v9
	v_fma_f32 v2, v12, v8, -v2
	v_fmac_f32_e32 v3, v13, v8
	v_add_u32_e32 v14, 0x1800, v50
	v_add_f32_e32 v10, v10, v2
	v_add_f32_e32 v11, v11, v3
	ds_read_b128 v[2:5], v52 offset:192
	ds_read2_b64 v[6:9], v14 offset1:16
	s_waitcnt lgkmcnt(0)
	v_mul_f32_e32 v12, v3, v7
	v_mul_f32_e32 v13, v2, v7
	;; [unrolled: 1-line block ×3, first 2 shown]
	v_fma_f32 v12, v2, v6, -v12
	v_fmac_f32_e32 v13, v3, v6
	v_fma_f32 v15, v2, v8, -v15
	v_mul_f32_e32 v2, v2, v9
	v_add_f32_e32 v12, v18, v12
	v_add_f32_e32 v13, v17, v13
	v_fmac_f32_e32 v2, v3, v8
	v_add_f32_e32 v3, v19, v15
	ds_read_b128 v[15:18], v52 offset:4288
	v_add_f32_e32 v2, v20, v2
	s_waitcnt lgkmcnt(0)
	v_mul_f32_e32 v19, v16, v7
	v_mul_f32_e32 v7, v15, v7
	v_fmac_f32_e32 v7, v16, v6
	v_fma_f32 v19, v15, v6, -v19
	v_add_f32_e32 v20, v30, v7
	v_mul_f32_e32 v6, v16, v9
	v_mul_f32_e32 v7, v15, v9
	v_fma_f32 v6, v15, v8, -v6
	v_fmac_f32_e32 v7, v16, v8
	v_add_f32_e32 v19, v21, v19
	v_add_f32_e32 v21, v10, v6
	;; [unrolled: 1-line block ×3, first 2 shown]
	ds_read2_b64 v[6:9], v14 offset0:32 offset1:48
	s_waitcnt lgkmcnt(0)
	v_mul_f32_e32 v10, v5, v7
	v_fma_f32 v10, v4, v6, -v10
	v_add_f32_e32 v10, v12, v10
	v_mul_f32_e32 v12, v5, v9
	v_mul_f32_e32 v11, v4, v7
	v_fma_f32 v12, v4, v8, -v12
	v_mul_f32_e32 v4, v4, v9
	v_fmac_f32_e32 v11, v5, v6
	v_fmac_f32_e32 v4, v5, v8
	v_add_f32_e32 v11, v13, v11
	v_add_f32_e32 v12, v3, v12
	;; [unrolled: 1-line block ×3, first 2 shown]
	v_mul_f32_e32 v2, v18, v7
	v_mul_f32_e32 v3, v17, v7
	v_fma_f32 v2, v17, v6, -v2
	v_fmac_f32_e32 v3, v18, v6
	v_add_f32_e32 v15, v19, v2
	v_add_f32_e32 v16, v20, v3
	v_mul_f32_e32 v2, v18, v9
	v_mul_f32_e32 v3, v17, v9
	v_fma_f32 v2, v17, v8, -v2
	v_fmac_f32_e32 v3, v18, v8
	v_add_f32_e32 v17, v21, v2
	v_add_f32_e32 v18, v30, v3
	ds_read_b128 v[2:5], v52 offset:208
	ds_read2_b64 v[6:9], v14 offset0:64 offset1:80
	s_waitcnt lgkmcnt(0)
	v_mul_f32_e32 v19, v3, v7
	v_mul_f32_e32 v20, v2, v7
	v_fma_f32 v19, v2, v6, -v19
	v_fmac_f32_e32 v20, v3, v6
	v_add_f32_e32 v19, v10, v19
	v_add_f32_e32 v20, v11, v20
	v_mul_f32_e32 v10, v3, v9
	v_mul_f32_e32 v11, v2, v9
	v_fma_f32 v10, v2, v8, -v10
	v_fmac_f32_e32 v11, v3, v8
	v_add_f32_e32 v2, v12, v10
	v_add_f32_e32 v3, v13, v11
	ds_read_b128 v[10:13], v52 offset:4304
	s_waitcnt lgkmcnt(0)
	v_mul_f32_e32 v21, v11, v7
	v_mul_f32_e32 v7, v10, v7
	v_fmac_f32_e32 v7, v11, v6
	v_fma_f32 v21, v10, v6, -v21
	v_add_f32_e32 v16, v16, v7
	v_mul_f32_e32 v6, v11, v9
	v_mul_f32_e32 v7, v10, v9
	v_fma_f32 v6, v10, v8, -v6
	v_fmac_f32_e32 v7, v11, v8
	v_add_f32_e32 v10, v17, v6
	v_add_f32_e32 v11, v18, v7
	ds_read2_b64 v[6:9], v14 offset0:96 offset1:112
	v_add_f32_e32 v15, v15, v21
	s_waitcnt lgkmcnt(0)
	v_mul_f32_e32 v17, v5, v7
	v_fma_f32 v17, v4, v6, -v17
	v_add_f32_e32 v17, v19, v17
	v_mul_f32_e32 v19, v5, v9
	v_mul_f32_e32 v18, v4, v7
	v_fma_f32 v19, v4, v8, -v19
	v_mul_f32_e32 v4, v4, v9
	v_fmac_f32_e32 v18, v5, v6
	v_fmac_f32_e32 v4, v5, v8
	v_add_f32_e32 v18, v20, v18
	v_add_f32_e32 v19, v2, v19
	;; [unrolled: 1-line block ×3, first 2 shown]
	v_mul_f32_e32 v2, v13, v7
	v_mul_f32_e32 v3, v12, v7
	v_fma_f32 v2, v12, v6, -v2
	v_fmac_f32_e32 v3, v13, v6
	v_add_f32_e32 v21, v15, v2
	v_add_f32_e32 v30, v16, v3
	v_mul_f32_e32 v2, v13, v9
	v_mul_f32_e32 v3, v12, v9
	v_fma_f32 v2, v12, v8, -v2
	v_fmac_f32_e32 v3, v13, v8
	v_add_f32_e32 v10, v10, v2
	v_add_f32_e32 v11, v11, v3
	ds_read_b128 v[2:5], v52 offset:224
	ds_read2_b64 v[6:9], v14 offset0:128 offset1:144
	s_waitcnt lgkmcnt(0)
	v_mul_f32_e32 v12, v3, v7
	v_mul_f32_e32 v13, v2, v7
	;; [unrolled: 1-line block ×3, first 2 shown]
	v_fma_f32 v12, v2, v6, -v12
	v_fmac_f32_e32 v13, v3, v6
	v_fma_f32 v15, v2, v8, -v15
	v_mul_f32_e32 v2, v2, v9
	v_add_f32_e32 v12, v17, v12
	v_add_f32_e32 v13, v18, v13
	v_fmac_f32_e32 v2, v3, v8
	v_add_f32_e32 v3, v19, v15
	ds_read_b128 v[15:18], v52 offset:4320
	v_add_f32_e32 v2, v20, v2
	s_waitcnt lgkmcnt(0)
	v_mul_f32_e32 v19, v16, v7
	v_mul_f32_e32 v7, v15, v7
	v_fmac_f32_e32 v7, v16, v6
	v_fma_f32 v19, v15, v6, -v19
	v_add_f32_e32 v20, v30, v7
	v_mul_f32_e32 v6, v16, v9
	v_mul_f32_e32 v7, v15, v9
	v_fma_f32 v6, v15, v8, -v6
	v_fmac_f32_e32 v7, v16, v8
	v_add_f32_e32 v19, v21, v19
	v_add_f32_e32 v21, v10, v6
	;; [unrolled: 1-line block ×3, first 2 shown]
	ds_read2_b64 v[6:9], v14 offset0:160 offset1:176
	s_waitcnt lgkmcnt(0)
	v_mul_f32_e32 v10, v5, v7
	v_fma_f32 v10, v4, v6, -v10
	v_add_f32_e32 v10, v12, v10
	v_mul_f32_e32 v12, v5, v9
	v_mul_f32_e32 v11, v4, v7
	v_fma_f32 v12, v4, v8, -v12
	v_mul_f32_e32 v4, v4, v9
	v_fmac_f32_e32 v11, v5, v6
	v_fmac_f32_e32 v4, v5, v8
	v_add_f32_e32 v11, v13, v11
	v_add_f32_e32 v12, v3, v12
	;; [unrolled: 1-line block ×3, first 2 shown]
	v_mul_f32_e32 v2, v18, v7
	v_mul_f32_e32 v3, v17, v7
	v_fma_f32 v2, v17, v6, -v2
	v_fmac_f32_e32 v3, v18, v6
	v_add_f32_e32 v15, v19, v2
	v_add_f32_e32 v16, v20, v3
	v_mul_f32_e32 v2, v18, v9
	v_mul_f32_e32 v3, v17, v9
	v_fma_f32 v2, v17, v8, -v2
	v_fmac_f32_e32 v3, v18, v8
	v_add_f32_e32 v17, v21, v2
	v_add_f32_e32 v18, v30, v3
	ds_read_b128 v[2:5], v52 offset:240
	ds_read2_b64 v[6:9], v14 offset0:192 offset1:208
	s_waitcnt lgkmcnt(0)
	v_mul_f32_e32 v19, v3, v7
	v_mul_f32_e32 v20, v2, v7
	v_fma_f32 v19, v2, v6, -v19
	v_fmac_f32_e32 v20, v3, v6
	v_add_f32_e32 v19, v10, v19
	v_add_f32_e32 v21, v11, v20
	v_mul_f32_e32 v10, v3, v9
	v_mul_f32_e32 v11, v2, v9
	v_fma_f32 v10, v2, v8, -v10
	v_fmac_f32_e32 v11, v3, v8
	v_add_f32_e32 v2, v12, v10
	v_add_f32_e32 v3, v13, v11
	ds_read_b128 v[10:13], v52 offset:4336
	s_waitcnt lgkmcnt(0)
	v_mul_f32_e32 v20, v11, v7
	v_mul_f32_e32 v7, v10, v7
	v_fmac_f32_e32 v7, v11, v6
	v_fma_f32 v20, v10, v6, -v20
	v_add_f32_e32 v30, v16, v7
	v_mul_f32_e32 v6, v11, v9
	v_mul_f32_e32 v7, v10, v9
	v_fma_f32 v6, v10, v8, -v6
	v_fmac_f32_e32 v7, v11, v8
	v_add_f32_e32 v10, v17, v6
	v_add_f32_e32 v11, v18, v7
	ds_read2_b64 v[6:9], v14 offset0:224 offset1:240
	v_add_f32_e32 v15, v15, v20
	s_waitcnt lgkmcnt(0)
	s_barrier
	v_mul_f32_e32 v14, v5, v7
	v_fma_f32 v14, v4, v6, -v14
	v_add_f32_e32 v20, v19, v14
	v_mul_f32_e32 v14, v5, v9
	v_mul_f32_e32 v16, v4, v7
	v_fma_f32 v14, v4, v8, -v14
	v_mul_f32_e32 v4, v4, v9
	v_fmac_f32_e32 v4, v5, v8
	v_add_f32_e32 v18, v2, v14
	v_add_f32_e32 v19, v3, v4
	v_mul_f32_e32 v2, v13, v7
	v_mul_f32_e32 v3, v12, v7
	v_fmac_f32_e32 v16, v5, v6
	v_fma_f32 v2, v12, v6, -v2
	v_fmac_f32_e32 v3, v13, v6
	v_add_f32_e32 v21, v21, v16
	v_add_f32_e32 v16, v15, v2
	;; [unrolled: 1-line block ×3, first 2 shown]
	v_mul_f32_e32 v2, v13, v9
	v_mul_f32_e32 v3, v12, v9
	v_fma_f32 v2, v12, v8, -v2
	v_fmac_f32_e32 v3, v13, v8
	v_add_f32_e32 v15, v10, v2
	v_add_f32_e32 v14, v11, v3
	s_cbranch_scc1 .LBB78_55
.LBB78_7:                               ;   Parent Loop BB78_4 Depth=1
                                        ; =>  This Inner Loop Header: Depth=2
	v_mov_b32_e32 v2, s27
	v_add_co_u32_e64 v4, s[10:11], s26, v1
	v_addc_co_u32_e64 v5, s[10:11], 0, v2, s[10:11]
	v_mov_b32_e32 v3, s21
	v_add_co_u32_e64 v2, s[10:11], s20, v48
	v_addc_co_u32_e64 v3, s[10:11], v49, v3, s[10:11]
	v_cmp_le_i64_e64 s[12:13], s[42:43], v[4:5]
	v_cmp_eq_u64_e64 s[16:17], s[26:27], v[26:27]
	v_cmp_gt_i64_e64 s[10:11], v[4:5], v[22:23]
	s_and_b64 s[38:39], s[40:41], s[16:17]
	s_or_b64 s[16:17], s[12:13], s[10:11]
	s_or_b64 s[16:17], s[16:17], s[38:39]
	s_nor_b64 s[16:17], s[0:1], s[16:17]
	s_and_saveexec_b64 s[18:19], s[16:17]
	s_xor_b64 s[16:17], exec, s[18:19]
	s_cbranch_execz .LBB78_9
; %bb.8:                                ;   in Loop: Header=BB78_7 Depth=2
	global_load_dwordx2 v[6:7], v[2:3], off
	s_waitcnt vmcnt(0)
	ds_write_b64 v51, v[6:7]
.LBB78_9:                               ;   in Loop: Header=BB78_7 Depth=2
	s_or_saveexec_b64 s[16:17], s[16:17]
	s_xor_b64 s[28:29], s[38:39], -1
	s_xor_b64 exec, exec, s[16:17]
	s_cbranch_execz .LBB78_15
; %bb.10:                               ;   in Loop: Header=BB78_7 Depth=2
	s_and_saveexec_b64 s[18:19], s[28:29]
	s_xor_b64 s[18:19], exec, s[18:19]
; %bb.11:                               ;   in Loop: Header=BB78_7 Depth=2
	v_mov_b32_e32 v6, v39
	v_mov_b32_e32 v7, v39
	ds_write_b64 v51, v[6:7]
; %bb.12:                               ;   in Loop: Header=BB78_7 Depth=2
	s_andn2_saveexec_b64 s[18:19], s[18:19]
; %bb.13:                               ;   in Loop: Header=BB78_7 Depth=2
	ds_write_b64 v51, v[38:39]
; %bb.14:                               ;   in Loop: Header=BB78_7 Depth=2
	s_or_b64 exec, exec, s[18:19]
.LBB78_15:                              ;   in Loop: Header=BB78_7 Depth=2
	s_or_b64 exec, exec, s[16:17]
	v_cmp_eq_u64_e64 s[16:17], s[26:27], v[28:29]
	v_cmp_lt_i64_e64 s[18:19], v[24:25], v[4:5]
	s_and_b64 s[16:17], s[40:41], s[16:17]
	s_or_b64 s[12:13], s[12:13], s[18:19]
	s_or_b64 s[12:13], s[12:13], s[16:17]
	s_nor_b64 s[12:13], s[2:3], s[12:13]
	s_and_saveexec_b64 s[18:19], s[12:13]
	s_xor_b64 s[18:19], exec, s[18:19]
	s_cbranch_execz .LBB78_17
; %bb.16:                               ;   in Loop: Header=BB78_7 Depth=2
	v_mov_b32_e32 v7, s21
	v_add_co_u32_e64 v6, s[12:13], s20, v53
	v_addc_co_u32_e64 v7, s[12:13], v54, v7, s[12:13]
	global_load_dwordx2 v[6:7], v[6:7], off
	s_waitcnt vmcnt(0)
	ds_write_b64 v51, v[6:7] offset:128
.LBB78_17:                              ;   in Loop: Header=BB78_7 Depth=2
	s_andn2_saveexec_b64 s[12:13], s[18:19]
	s_cbranch_execz .LBB78_23
; %bb.18:                               ;   in Loop: Header=BB78_7 Depth=2
	s_xor_b64 s[16:17], s[16:17], -1
	s_and_saveexec_b64 s[18:19], s[16:17]
	s_xor_b64 s[16:17], exec, s[18:19]
; %bb.19:                               ;   in Loop: Header=BB78_7 Depth=2
	v_mov_b32_e32 v6, v39
	v_mov_b32_e32 v7, v39
	ds_write_b64 v51, v[6:7] offset:128
; %bb.20:                               ;   in Loop: Header=BB78_7 Depth=2
	s_andn2_saveexec_b64 s[16:17], s[16:17]
; %bb.21:                               ;   in Loop: Header=BB78_7 Depth=2
	ds_write_b64 v51, v[38:39] offset:128
; %bb.22:                               ;   in Loop: Header=BB78_7 Depth=2
	s_or_b64 exec, exec, s[16:17]
.LBB78_23:                              ;   in Loop: Header=BB78_7 Depth=2
	s_or_b64 exec, exec, s[12:13]
	v_add_co_u32_e64 v4, s[12:13], 16, v4
	v_addc_co_u32_e64 v5, s[12:13], 0, v5, s[12:13]
	v_cmp_le_i64_e64 s[12:13], s[42:43], v[4:5]
	v_cmp_eq_u64_e64 s[16:17], s[26:27], v[34:35]
	v_cmp_gt_i64_e64 s[18:19], v[4:5], v[22:23]
	s_and_b64 s[48:49], s[40:41], s[16:17]
	s_or_b64 s[16:17], s[12:13], s[18:19]
	s_or_b64 s[16:17], s[16:17], s[48:49]
	s_nor_b64 s[16:17], s[0:1], s[16:17]
	s_and_saveexec_b64 s[18:19], s[16:17]
	s_xor_b64 s[16:17], exec, s[18:19]
	s_cbranch_execz .LBB78_25
; %bb.24:                               ;   in Loop: Header=BB78_7 Depth=2
	global_load_dwordx2 v[2:3], v[2:3], off offset:128
	s_waitcnt vmcnt(0)
	ds_write_b64 v51, v[2:3] offset:4096
.LBB78_25:                              ;   in Loop: Header=BB78_7 Depth=2
	s_andn2_saveexec_b64 s[16:17], s[16:17]
	s_cbranch_execz .LBB78_31
; %bb.26:                               ;   in Loop: Header=BB78_7 Depth=2
	s_xor_b64 s[18:19], s[48:49], -1
	s_and_saveexec_b64 s[48:49], s[18:19]
	s_xor_b64 s[18:19], exec, s[48:49]
; %bb.27:                               ;   in Loop: Header=BB78_7 Depth=2
	v_mov_b32_e32 v2, v39
	v_mov_b32_e32 v3, v39
	ds_write_b64 v51, v[2:3] offset:4096
; %bb.28:                               ;   in Loop: Header=BB78_7 Depth=2
	s_andn2_saveexec_b64 s[18:19], s[18:19]
; %bb.29:                               ;   in Loop: Header=BB78_7 Depth=2
	ds_write_b64 v51, v[38:39] offset:4096
; %bb.30:                               ;   in Loop: Header=BB78_7 Depth=2
	s_or_b64 exec, exec, s[18:19]
.LBB78_31:                              ;   in Loop: Header=BB78_7 Depth=2
	s_or_b64 exec, exec, s[16:17]
	s_or_b64 s[10:11], s[12:13], s[10:11]
	s_or_b64 s[10:11], s[10:11], s[38:39]
	s_nor_b64 s[10:11], s[2:3], s[10:11]
	s_and_saveexec_b64 s[12:13], s[10:11]
	s_xor_b64 s[12:13], exec, s[12:13]
	s_cbranch_execz .LBB78_33
; %bb.32:                               ;   in Loop: Header=BB78_7 Depth=2
	v_mov_b32_e32 v3, s21
	v_add_co_u32_e64 v2, s[10:11], s20, v53
	v_addc_co_u32_e64 v3, s[10:11], v54, v3, s[10:11]
	global_load_dwordx2 v[2:3], v[2:3], off offset:128
	s_waitcnt vmcnt(0)
	ds_write_b64 v51, v[2:3] offset:4224
.LBB78_33:                              ;   in Loop: Header=BB78_7 Depth=2
	s_andn2_saveexec_b64 s[10:11], s[12:13]
	s_cbranch_execz .LBB78_39
; %bb.34:                               ;   in Loop: Header=BB78_7 Depth=2
	s_and_saveexec_b64 s[12:13], s[28:29]
	s_xor_b64 s[12:13], exec, s[12:13]
; %bb.35:                               ;   in Loop: Header=BB78_7 Depth=2
	v_mov_b32_e32 v2, v39
	v_mov_b32_e32 v3, v39
	ds_write_b64 v51, v[2:3] offset:4224
; %bb.36:                               ;   in Loop: Header=BB78_7 Depth=2
	s_andn2_saveexec_b64 s[12:13], s[12:13]
; %bb.37:                               ;   in Loop: Header=BB78_7 Depth=2
	ds_write_b64 v51, v[38:39] offset:4224
; %bb.38:                               ;   in Loop: Header=BB78_7 Depth=2
	s_or_b64 exec, exec, s[12:13]
.LBB78_39:                              ;   in Loop: Header=BB78_7 Depth=2
	s_or_b64 exec, exec, s[10:11]
	v_mov_b32_e32 v3, s27
	v_add_co_u32_e64 v2, s[10:11], s26, v0
	v_addc_co_u32_e64 v3, s[10:11], 0, v3, s[10:11]
	v_cmp_gt_i64_e64 s[10:11], s[42:43], v[2:3]
	s_and_b64 s[12:13], vcc, s[10:11]
	s_xor_b64 s[12:13], s[12:13], -1
	s_and_saveexec_b64 s[16:17], s[12:13]
	s_xor_b64 s[12:13], exec, s[16:17]
; %bb.40:                               ;   in Loop: Header=BB78_7 Depth=2
	v_mov_b32_e32 v4, v39
	v_mov_b32_e32 v5, v39
	ds_write_b64 v55, v[4:5]
; %bb.41:                               ;   in Loop: Header=BB78_7 Depth=2
	s_or_saveexec_b64 s[16:17], s[12:13]
	v_mov_b32_e32 v5, s21
	v_add_co_u32_e64 v4, s[12:13], s20, v44
	v_addc_co_u32_e64 v5, s[12:13], v45, v5, s[12:13]
	s_xor_b64 exec, exec, s[16:17]
	s_cbranch_execz .LBB78_43
; %bb.42:                               ;   in Loop: Header=BB78_7 Depth=2
	global_load_dwordx2 v[6:7], v[4:5], off offset:-128
	s_waitcnt vmcnt(0)
	ds_write_b64 v55, v[6:7]
.LBB78_43:                              ;   in Loop: Header=BB78_7 Depth=2
	s_or_b64 exec, exec, s[16:17]
	v_cmp_gt_i64_e64 s[12:13], s[46:47], v[2:3]
	s_and_b64 s[16:17], vcc, s[12:13]
	s_xor_b64 s[16:17], s[16:17], -1
	s_and_saveexec_b64 s[18:19], s[16:17]
	s_xor_b64 s[16:17], exec, s[18:19]
; %bb.44:                               ;   in Loop: Header=BB78_7 Depth=2
	v_mov_b32_e32 v2, v39
	v_mov_b32_e32 v3, v39
	ds_write_b64 v55, v[2:3] offset:128
                                        ; implicit-def: $vgpr4_vgpr5
; %bb.45:                               ;   in Loop: Header=BB78_7 Depth=2
	s_andn2_saveexec_b64 s[16:17], s[16:17]
	s_cbranch_execz .LBB78_47
; %bb.46:                               ;   in Loop: Header=BB78_7 Depth=2
	global_load_dwordx2 v[2:3], v[4:5], off
	s_waitcnt vmcnt(0)
	ds_write_b64 v55, v[2:3] offset:128
.LBB78_47:                              ;   in Loop: Header=BB78_7 Depth=2
	s_or_b64 exec, exec, s[16:17]
	s_and_b64 s[10:11], s[8:9], s[10:11]
	s_xor_b64 s[10:11], s[10:11], -1
	s_and_saveexec_b64 s[16:17], s[10:11]
	s_xor_b64 s[10:11], exec, s[16:17]
; %bb.48:                               ;   in Loop: Header=BB78_7 Depth=2
	v_mov_b32_e32 v2, v39
	v_mov_b32_e32 v3, v39
	ds_write_b64 v55, v[2:3] offset:4096
; %bb.49:                               ;   in Loop: Header=BB78_7 Depth=2
	s_or_saveexec_b64 s[16:17], s[10:11]
	v_mov_b32_e32 v3, s21
	v_add_co_u32_e64 v2, s[10:11], s20, v46
	v_addc_co_u32_e64 v3, s[10:11], v47, v3, s[10:11]
	s_xor_b64 exec, exec, s[16:17]
	s_cbranch_execz .LBB78_51
; %bb.50:                               ;   in Loop: Header=BB78_7 Depth=2
	global_load_dwordx2 v[4:5], v[2:3], off
	s_waitcnt vmcnt(0)
	ds_write_b64 v55, v[4:5] offset:4096
.LBB78_51:                              ;   in Loop: Header=BB78_7 Depth=2
	s_or_b64 exec, exec, s[16:17]
	s_and_b64 s[10:11], s[8:9], s[12:13]
	s_xor_b64 s[10:11], s[10:11], -1
	s_and_saveexec_b64 s[12:13], s[10:11]
	s_xor_b64 s[10:11], exec, s[12:13]
; %bb.52:                               ;   in Loop: Header=BB78_7 Depth=2
	v_mov_b32_e32 v2, v39
	v_mov_b32_e32 v3, v39
	ds_write_b64 v55, v[2:3] offset:4224
                                        ; implicit-def: $vgpr2_vgpr3
; %bb.53:                               ;   in Loop: Header=BB78_7 Depth=2
	s_andn2_saveexec_b64 s[10:11], s[10:11]
	s_cbranch_execz .LBB78_6
; %bb.54:                               ;   in Loop: Header=BB78_7 Depth=2
	global_load_dwordx2 v[2:3], v[2:3], off offset:128
	s_waitcnt vmcnt(0)
	ds_write_b64 v55, v[2:3] offset:4224
	s_branch .LBB78_6
.LBB78_55:                              ;   in Loop: Header=BB78_4 Depth=1
	v_mul_lo_u32 v4, s45, v56
	v_mul_lo_u32 v5, s44, v57
	v_mad_u64_u32 v[2:3], s[8:9], s44, v56, 0
	v_cmp_gt_i32_e32 vcc, s30, v56
	v_add3_u32 v3, v3, v5, v4
	v_lshlrev_b64 v[2:3], 3, v[2:3]
	v_mov_b32_e32 v4, s51
	v_add_co_u32_e64 v2, s[8:9], s50, v2
	v_addc_co_u32_e64 v3, s[8:9], v4, v3, s[8:9]
	s_and_b64 s[8:9], s[4:5], vcc
	s_and_saveexec_b64 s[10:11], s[8:9]
	s_cbranch_execz .LBB78_57
; %bb.56:                               ;   in Loop: Header=BB78_4 Depth=1
	v_lshlrev_b64 v[4:5], 3, v[22:23]
	v_mul_f32_e32 v8, s35, v21
	v_add_co_u32_e64 v4, s[8:9], v2, v4
	v_addc_co_u32_e64 v5, s[8:9], v3, v5, s[8:9]
	global_load_dwordx2 v[6:7], v[4:5], off
	v_mul_f32_e32 v9, s34, v21
	v_fma_f32 v8, v20, s34, -v8
	v_fmac_f32_e32 v9, s35, v20
	s_waitcnt vmcnt(0)
	v_add_f32_e32 v6, v6, v8
	v_add_f32_e32 v7, v9, v7
	global_store_dwordx2 v[4:5], v[6:7], off
.LBB78_57:                              ;   in Loop: Header=BB78_4 Depth=1
	s_or_b64 exec, exec, s[10:11]
	s_and_b64 s[10:11], s[14:15], vcc
	s_and_saveexec_b64 s[8:9], s[10:11]
	s_cbranch_execz .LBB78_59
; %bb.58:                               ;   in Loop: Header=BB78_4 Depth=1
	v_add_co_u32_e32 v2, vcc, v2, v40
	v_addc_co_u32_e32 v3, vcc, v3, v41, vcc
	global_load_dwordx2 v[4:5], v[2:3], off
	v_mul_f32_e32 v6, s35, v19
	v_mul_f32_e32 v7, s34, v19
	v_fma_f32 v6, v18, s34, -v6
	v_fmac_f32_e32 v7, s35, v18
	s_waitcnt vmcnt(0)
	v_add_f32_e32 v4, v4, v6
	v_add_f32_e32 v5, v7, v5
	global_store_dwordx2 v[2:3], v[4:5], off
.LBB78_59:                              ;   in Loop: Header=BB78_4 Depth=1
	s_or_b64 exec, exec, s[8:9]
	v_add_u32_e32 v4, 16, v56
	v_ashrrev_i32_e32 v2, 31, v4
	v_mul_lo_u32 v5, s44, v2
	v_mul_lo_u32 v6, s45, v4
	v_mad_u64_u32 v[2:3], s[8:9], s44, v4, 0
	v_cmp_gt_i32_e32 vcc, s30, v4
	v_mov_b32_e32 v4, s51
	v_add3_u32 v3, v3, v5, v6
	v_lshlrev_b64 v[2:3], 3, v[2:3]
	v_add_co_u32_e64 v2, s[8:9], s50, v2
	v_addc_co_u32_e64 v3, s[8:9], v4, v3, s[8:9]
	s_and_b64 s[8:9], s[4:5], vcc
	s_and_saveexec_b64 s[10:11], s[8:9]
	s_cbranch_execz .LBB78_61
; %bb.60:                               ;   in Loop: Header=BB78_4 Depth=1
	v_lshlrev_b64 v[4:5], 3, v[22:23]
	v_mul_f32_e32 v8, s35, v17
	v_add_co_u32_e64 v4, s[8:9], v2, v4
	v_addc_co_u32_e64 v5, s[8:9], v3, v5, s[8:9]
	global_load_dwordx2 v[6:7], v[4:5], off
	v_mul_f32_e32 v9, s34, v17
	v_fma_f32 v8, v16, s34, -v8
	v_fmac_f32_e32 v9, s35, v16
	s_waitcnt vmcnt(0)
	v_add_f32_e32 v6, v6, v8
	v_add_f32_e32 v7, v9, v7
	global_store_dwordx2 v[4:5], v[6:7], off
.LBB78_61:                              ;   in Loop: Header=BB78_4 Depth=1
	s_or_b64 exec, exec, s[10:11]
	s_and_b64 s[10:11], s[14:15], vcc
	s_and_saveexec_b64 s[8:9], s[10:11]
	s_cbranch_execz .LBB78_3
; %bb.62:                               ;   in Loop: Header=BB78_4 Depth=1
	v_add_co_u32_e32 v2, vcc, v2, v40
	v_addc_co_u32_e32 v3, vcc, v3, v41, vcc
	global_load_dwordx2 v[4:5], v[2:3], off
	v_mul_f32_e32 v6, s35, v14
	v_mul_f32_e32 v7, s34, v14
	v_fma_f32 v6, v15, s34, -v6
	v_fmac_f32_e32 v7, s35, v15
	s_waitcnt vmcnt(0)
	v_add_f32_e32 v4, v4, v6
	v_add_f32_e32 v5, v7, v5
	global_store_dwordx2 v[2:3], v[4:5], off
	s_branch .LBB78_3
.LBB78_63:
	s_endpgm
	.section	.rodata,"a",@progbits
	.p2align	6, 0x0
	.amdhsa_kernel _ZL30rocblas_trmm_outofplace_kernelI19rocblas_complex_numIfELi32ELi2ELb1ELb1ELb1ELb0EPKS1_S2_S1_Ev17rocblas_diagonal_iiT6_lPT7_lllS7_lllPT8_llli
		.amdhsa_group_segment_fixed_size 16384
		.amdhsa_private_segment_fixed_size 20
		.amdhsa_kernarg_size 392
		.amdhsa_user_sgpr_count 6
		.amdhsa_user_sgpr_private_segment_buffer 1
		.amdhsa_user_sgpr_dispatch_ptr 0
		.amdhsa_user_sgpr_queue_ptr 0
		.amdhsa_user_sgpr_kernarg_segment_ptr 1
		.amdhsa_user_sgpr_dispatch_id 0
		.amdhsa_user_sgpr_flat_scratch_init 0
		.amdhsa_user_sgpr_private_segment_size 0
		.amdhsa_uses_dynamic_stack 0
		.amdhsa_system_sgpr_private_segment_wavefront_offset 1
		.amdhsa_system_sgpr_workgroup_id_x 1
		.amdhsa_system_sgpr_workgroup_id_y 1
		.amdhsa_system_sgpr_workgroup_id_z 1
		.amdhsa_system_sgpr_workgroup_info 0
		.amdhsa_system_vgpr_workitem_id 1
		.amdhsa_next_free_vgpr 64
		.amdhsa_next_free_sgpr 61
		.amdhsa_reserve_vcc 1
		.amdhsa_reserve_flat_scratch 0
		.amdhsa_float_round_mode_32 0
		.amdhsa_float_round_mode_16_64 0
		.amdhsa_float_denorm_mode_32 3
		.amdhsa_float_denorm_mode_16_64 3
		.amdhsa_dx10_clamp 1
		.amdhsa_ieee_mode 1
		.amdhsa_fp16_overflow 0
		.amdhsa_exception_fp_ieee_invalid_op 0
		.amdhsa_exception_fp_denorm_src 0
		.amdhsa_exception_fp_ieee_div_zero 0
		.amdhsa_exception_fp_ieee_overflow 0
		.amdhsa_exception_fp_ieee_underflow 0
		.amdhsa_exception_fp_ieee_inexact 0
		.amdhsa_exception_int_div_zero 0
	.end_amdhsa_kernel
	.section	.text._ZL30rocblas_trmm_outofplace_kernelI19rocblas_complex_numIfELi32ELi2ELb1ELb1ELb1ELb0EPKS1_S2_S1_Ev17rocblas_diagonal_iiT6_lPT7_lllS7_lllPT8_llli,"axG",@progbits,_ZL30rocblas_trmm_outofplace_kernelI19rocblas_complex_numIfELi32ELi2ELb1ELb1ELb1ELb0EPKS1_S2_S1_Ev17rocblas_diagonal_iiT6_lPT7_lllS7_lllPT8_llli,comdat
.Lfunc_end78:
	.size	_ZL30rocblas_trmm_outofplace_kernelI19rocblas_complex_numIfELi32ELi2ELb1ELb1ELb1ELb0EPKS1_S2_S1_Ev17rocblas_diagonal_iiT6_lPT7_lllS7_lllPT8_llli, .Lfunc_end78-_ZL30rocblas_trmm_outofplace_kernelI19rocblas_complex_numIfELi32ELi2ELb1ELb1ELb1ELb0EPKS1_S2_S1_Ev17rocblas_diagonal_iiT6_lPT7_lllS7_lllPT8_llli
                                        ; -- End function
	.set _ZL30rocblas_trmm_outofplace_kernelI19rocblas_complex_numIfELi32ELi2ELb1ELb1ELb1ELb0EPKS1_S2_S1_Ev17rocblas_diagonal_iiT6_lPT7_lllS7_lllPT8_llli.num_vgpr, 64
	.set _ZL30rocblas_trmm_outofplace_kernelI19rocblas_complex_numIfELi32ELi2ELb1ELb1ELb1ELb0EPKS1_S2_S1_Ev17rocblas_diagonal_iiT6_lPT7_lllS7_lllPT8_llli.num_agpr, 0
	.set _ZL30rocblas_trmm_outofplace_kernelI19rocblas_complex_numIfELi32ELi2ELb1ELb1ELb1ELb0EPKS1_S2_S1_Ev17rocblas_diagonal_iiT6_lPT7_lllS7_lllPT8_llli.numbered_sgpr, 60
	.set _ZL30rocblas_trmm_outofplace_kernelI19rocblas_complex_numIfELi32ELi2ELb1ELb1ELb1ELb0EPKS1_S2_S1_Ev17rocblas_diagonal_iiT6_lPT7_lllS7_lllPT8_llli.num_named_barrier, 0
	.set _ZL30rocblas_trmm_outofplace_kernelI19rocblas_complex_numIfELi32ELi2ELb1ELb1ELb1ELb0EPKS1_S2_S1_Ev17rocblas_diagonal_iiT6_lPT7_lllS7_lllPT8_llli.private_seg_size, 20
	.set _ZL30rocblas_trmm_outofplace_kernelI19rocblas_complex_numIfELi32ELi2ELb1ELb1ELb1ELb0EPKS1_S2_S1_Ev17rocblas_diagonal_iiT6_lPT7_lllS7_lllPT8_llli.uses_vcc, 1
	.set _ZL30rocblas_trmm_outofplace_kernelI19rocblas_complex_numIfELi32ELi2ELb1ELb1ELb1ELb0EPKS1_S2_S1_Ev17rocblas_diagonal_iiT6_lPT7_lllS7_lllPT8_llli.uses_flat_scratch, 0
	.set _ZL30rocblas_trmm_outofplace_kernelI19rocblas_complex_numIfELi32ELi2ELb1ELb1ELb1ELb0EPKS1_S2_S1_Ev17rocblas_diagonal_iiT6_lPT7_lllS7_lllPT8_llli.has_dyn_sized_stack, 0
	.set _ZL30rocblas_trmm_outofplace_kernelI19rocblas_complex_numIfELi32ELi2ELb1ELb1ELb1ELb0EPKS1_S2_S1_Ev17rocblas_diagonal_iiT6_lPT7_lllS7_lllPT8_llli.has_recursion, 0
	.set _ZL30rocblas_trmm_outofplace_kernelI19rocblas_complex_numIfELi32ELi2ELb1ELb1ELb1ELb0EPKS1_S2_S1_Ev17rocblas_diagonal_iiT6_lPT7_lllS7_lllPT8_llli.has_indirect_call, 0
	.section	.AMDGPU.csdata,"",@progbits
; Kernel info:
; codeLenInByte = 6668
; TotalNumSgprs: 64
; NumVgprs: 64
; ScratchSize: 20
; MemoryBound: 1
; FloatMode: 240
; IeeeMode: 1
; LDSByteSize: 16384 bytes/workgroup (compile time only)
; SGPRBlocks: 8
; VGPRBlocks: 15
; NumSGPRsForWavesPerEU: 65
; NumVGPRsForWavesPerEU: 64
; Occupancy: 4
; WaveLimiterHint : 0
; COMPUTE_PGM_RSRC2:SCRATCH_EN: 1
; COMPUTE_PGM_RSRC2:USER_SGPR: 6
; COMPUTE_PGM_RSRC2:TRAP_HANDLER: 0
; COMPUTE_PGM_RSRC2:TGID_X_EN: 1
; COMPUTE_PGM_RSRC2:TGID_Y_EN: 1
; COMPUTE_PGM_RSRC2:TGID_Z_EN: 1
; COMPUTE_PGM_RSRC2:TIDIG_COMP_CNT: 1
	.section	.text._ZL30rocblas_trmm_outofplace_kernelI19rocblas_complex_numIfELi32ELi2ELb1ELb1ELb1ELb0ES1_KS1_S1_Ev17rocblas_diagonal_iiT6_lPT7_lllS6_lllPT8_llli,"axG",@progbits,_ZL30rocblas_trmm_outofplace_kernelI19rocblas_complex_numIfELi32ELi2ELb1ELb1ELb1ELb0ES1_KS1_S1_Ev17rocblas_diagonal_iiT6_lPT7_lllS6_lllPT8_llli,comdat
	.globl	_ZL30rocblas_trmm_outofplace_kernelI19rocblas_complex_numIfELi32ELi2ELb1ELb1ELb1ELb0ES1_KS1_S1_Ev17rocblas_diagonal_iiT6_lPT7_lllS6_lllPT8_llli ; -- Begin function _ZL30rocblas_trmm_outofplace_kernelI19rocblas_complex_numIfELi32ELi2ELb1ELb1ELb1ELb0ES1_KS1_S1_Ev17rocblas_diagonal_iiT6_lPT7_lllS6_lllPT8_llli
	.p2align	8
	.type	_ZL30rocblas_trmm_outofplace_kernelI19rocblas_complex_numIfELi32ELi2ELb1ELb1ELb1ELb0ES1_KS1_S1_Ev17rocblas_diagonal_iiT6_lPT7_lllS6_lllPT8_llli,@function
_ZL30rocblas_trmm_outofplace_kernelI19rocblas_complex_numIfELi32ELi2ELb1ELb1ELb1ELb0ES1_KS1_S1_Ev17rocblas_diagonal_iiT6_lPT7_lllS6_lllPT8_llli: ; @_ZL30rocblas_trmm_outofplace_kernelI19rocblas_complex_numIfELi32ELi2ELb1ELb1ELb1ELb0ES1_KS1_S1_Ev17rocblas_diagonal_iiT6_lPT7_lllS6_lllPT8_llli
; %bb.0:
	s_load_dwordx4 s[28:31], s[4:5], 0x0
	s_load_dword s33, s[4:5], 0x10
	s_mov_b64 s[58:59], s[2:3]
	s_mov_b64 s[56:57], s[0:1]
	s_add_u32 s56, s56, s9
	s_addc_u32 s57, s57, 0
	s_waitcnt lgkmcnt(0)
	s_or_b32 s0, s31, s33
	s_bitset0_b32 s0, 31
	s_cmp_eq_u32 s0, 0
	s_cbranch_scc1 .LBB79_63
; %bb.1:
	s_add_i32 s0, s30, -1
	s_ashr_i32 s1, s0, 31
	s_lshr_b32 s1, s1, 27
	s_add_i32 s0, s0, s1
	s_ashr_i32 s48, s0, 5
	s_cmp_gt_i32 s7, s48
	s_cbranch_scc1 .LBB79_63
; %bb.2:
	s_load_dwordx16 s[12:27], s[4:5], 0x20
	s_load_dwordx8 s[36:43], s[4:5], 0x60
	v_lshlrev_b32_e32 v6, 3, v1
	s_load_dword s53, s[4:5], 0x8c
	v_lshlrev_b32_e32 v50, 3, v0
	s_waitcnt lgkmcnt(0)
	s_mul_i32 s1, s19, s8
	s_mul_hi_u32 s2, s18, s8
	s_mul_i32 s0, s18, s8
	s_add_i32 s1, s2, s1
	s_lshl_b64 s[10:11], s[0:1], 3
	s_add_u32 s0, s12, s10
	s_addc_u32 s1, s13, s11
	s_lshl_b64 s[18:19], s[14:15], 3
	s_add_u32 s2, s0, s18
	s_addc_u32 s3, s1, s19
	s_mul_i32 s0, s43, s8
	s_mul_hi_u32 s1, s42, s8
	s_add_i32 s1, s1, s0
	s_mul_i32 s0, s42, s8
	s_lshl_b64 s[0:1], s[0:1], 3
	s_add_u32 s9, s36, s0
	s_addc_u32 s14, s37, s1
	s_lshl_b64 s[0:1], s[38:39], 3
	s_add_u32 s49, s9, s0
	s_addc_u32 s50, s14, s1
	s_lshl_b32 s51, s6, 5
	v_add_u32_e32 v22, s51, v0
	v_ashrrev_i32_e32 v23, 31, v22
	v_mul_lo_u32 v4, s16, v23
	v_mul_lo_u32 v5, s17, v22
	v_mad_u64_u32 v[2:3], s[0:1], s16, v22, 0
	s_cmp_gt_i32 s6, -1
	s_cselect_b64 s[34:35], -1, 0
	v_add3_u32 v3, v3, v4, v5
	v_lshlrev_b64 v[2:3], 3, v[2:3]
	v_mov_b32_e32 v4, s3
	v_add_co_u32_e32 v2, vcc, s2, v2
	v_addc_co_u32_e32 v3, vcc, v4, v3, vcc
	s_cmpk_eq_i32 s28, 0x84
	v_add_co_u32_e32 v48, vcc, v2, v6
	s_cselect_b64 s[36:37], -1, 0
	s_ashr_i32 s39, s29, 31
	s_ashr_i32 s6, s30, 31
	v_addc_co_u32_e32 v49, vcc, 0, v3, vcc
	s_add_u32 s42, s29, -16
	s_mul_i32 s9, s27, s8
	s_mul_hi_u32 s27, s26, s8
	v_add_co_u32_e32 v24, vcc, 16, v22
	s_addc_u32 s43, s39, -1
	s_add_i32 s9, s27, s9
	s_mul_i32 s8, s26, s8
	v_addc_co_u32_e32 v25, vcc, 0, v23, vcc
	s_lshl_b64 s[8:9], s[8:9], 3
	s_lshl_b64 s[22:23], s[22:23], 3
	v_sub_co_u32_e32 v26, vcc, v22, v1
	s_add_u32 s8, s8, s22
	v_subbrev_co_u32_e32 v27, vcc, 0, v23, vcc
	s_addc_u32 s9, s9, s23
	v_add_co_u32_e32 v28, vcc, 16, v26
	s_add_u32 s8, s20, s8
	v_addc_co_u32_e32 v29, vcc, 0, v27, vcc
	s_addc_u32 s9, s21, s9
	v_mov_b32_e32 v4, s9
	v_add_co_u32_e32 v9, vcc, s8, v50
	v_addc_co_u32_e32 v10, vcc, 0, v4, vcc
	v_lshlrev_b64 v[4:5], 3, v[22:23]
	s_movk_i32 s22, 0x80
	s_lshl_b64 s[20:21], s[24:25], 3
	s_lshl_b32 s54, s53, 5
	v_add_co_u32_e32 v7, vcc, s22, v4
	s_add_u32 s8, s18, s10
	v_addc_co_u32_e32 v8, vcc, 0, v5, vcc
	s_addc_u32 s9, s19, s11
	v_mov_b32_e32 v4, s8
	v_mov_b32_e32 v5, s9
	v_mad_u64_u32 v[4:5], s[8:9], s16, v7, v[4:5]
	v_mul_lo_u32 v8, s16, v8
	v_mul_lo_u32 v7, s17, v7
	v_add_co_u32_e32 v34, vcc, -16, v26
	v_addc_co_u32_e32 v35, vcc, -1, v27, vcc
	v_add3_u32 v5, v7, v5, v8
	v_add_co_u32_e32 v7, vcc, s22, v9
	buffer_store_dword v9, off, s[56:59], 0 ; 4-byte Folded Spill
	s_nop 0
	buffer_store_dword v10, off, s[56:59], 0 offset:4 ; 4-byte Folded Spill
	v_lshlrev_b32_e32 v2, 8, v1
	v_add_u32_e32 v51, v50, v2
	v_add_u32_e32 v52, 0x2000, v2
	;; [unrolled: 1-line block ×3, first 2 shown]
	s_mov_b32 s38, s29
	v_ashrrev_i32_e32 v3, 31, v2
	v_cmp_le_i64_e64 s[2:3], s[38:39], v[24:25]
	v_lshlrev_b64 v[40:41], 3, v[2:3]
	s_mov_b32 s52, s30
	v_cmp_le_i32_e64 s[0:1], s29, v22
	v_cmp_gt_i32_e64 s[4:5], s29, v22
	v_cmp_gt_i32_e64 s[14:15], s29, v2
	v_mov_b32_e32 v39, 0
	v_mov_b32_e32 v38, 1.0
	v_add_u32_e32 v55, v52, v50
	v_lshl_add_u32 v42, s7, 5, v1
	v_addc_co_u32_e32 v8, vcc, 0, v10, vcc
	v_add_co_u32_e32 v4, vcc, v4, v6
	v_addc_co_u32_e32 v5, vcc, 0, v5, vcc
	v_mov_b32_e32 v6, s13
	v_add_co_u32_e32 v53, vcc, s12, v4
	v_addc_co_u32_e32 v54, vcc, v6, v5, vcc
	buffer_store_dword v7, off, s[56:59], 0 offset:8 ; 4-byte Folded Spill
	s_nop 0
	buffer_store_dword v8, off, s[56:59], 0 offset:12 ; 4-byte Folded Spill
	s_branch .LBB79_4
.LBB79_3:                               ;   in Loop: Header=BB79_4 Depth=1
	s_or_b64 exec, exec, s[8:9]
	s_add_i32 s7, s53, s7
	s_cmp_le_i32 s7, s48
	v_add_u32_e32 v42, s54, v42
	s_cbranch_scc0 .LBB79_63
.LBB79_4:                               ; =>This Loop Header: Depth=1
                                        ;     Child Loop BB79_7 Depth 2
	v_lshl_add_u32 v56, s7, 5, v1
	v_ashrrev_i32_e32 v57, 31, v56
	s_andn2_b64 vcc, exec, s[34:35]
	v_mov_b32_e32 v20, v39
	v_mov_b32_e32 v21, v39
	;; [unrolled: 1-line block ×8, first 2 shown]
	s_cbranch_vccnz .LBB79_55
; %bb.5:                                ;   in Loop: Header=BB79_4 Depth=1
	buffer_load_dword v2, off, s[56:59], 0 offset:8 ; 4-byte Folded Reload
	buffer_load_dword v3, off, s[56:59], 0 offset:12 ; 4-byte Folded Reload
	buffer_load_dword v7, off, s[56:59], 0  ; 4-byte Folded Reload
	buffer_load_dword v8, off, s[56:59], 0 offset:4 ; 4-byte Folded Reload
	v_ashrrev_i32_e32 v43, 31, v42
	v_mul_lo_u32 v4, s21, v42
	v_mul_lo_u32 v5, s20, v43
	s_mov_b64 s[22:23], 0
	v_mov_b32_e32 v14, 0
	s_mov_b64 s[26:27], 0
	v_mov_b32_e32 v15, 0
	v_mov_b32_e32 v17, 0
	;; [unrolled: 1-line block ×7, first 2 shown]
	s_waitcnt vmcnt(2)
	v_mad_u64_u32 v[44:45], s[8:9], s20, v42, v[2:3]
	v_lshlrev_b64 v[2:3], 3, v[42:43]
	v_add_co_u32_e32 v2, vcc, 0x80, v2
	v_addc_co_u32_e32 v3, vcc, 0, v3, vcc
	v_mul_lo_u32 v3, s24, v3
	v_mul_lo_u32 v6, s25, v2
	s_waitcnt vmcnt(0)
	v_mad_u64_u32 v[46:47], s[8:9], s24, v2, v[7:8]
	v_sub_co_u32_e32 v2, vcc, s52, v56
	v_add3_u32 v47, v6, v47, v3
	v_mov_b32_e32 v3, s6
	v_subb_co_u32_e32 v3, vcc, v3, v57, vcc
	v_cmp_lt_i64_e32 vcc, 0, v[2:3]
	v_cmp_lt_i64_e64 s[8:9], 16, v[2:3]
	v_add3_u32 v45, v4, v45, v5
	s_branch .LBB79_7
.LBB79_6:                               ;   in Loop: Header=BB79_7 Depth=2
	s_or_b64 exec, exec, s[10:11]
	s_waitcnt lgkmcnt(0)
	s_barrier
	ds_read_b128 v[58:61], v52
	ds_read_b128 v[10:13], v52 offset:16
	ds_read_b128 v[6:9], v52 offset:32
	;; [unrolled: 1-line block ×3, first 2 shown]
	ds_read2_b64 v[30:33], v50 offset1:16
	s_add_u32 s26, s26, 32
	s_addc_u32 s27, s27, 0
	s_sub_i32 s10, s26, 32
	s_add_u32 s22, s22, 0x100
	s_waitcnt lgkmcnt(0)
	v_mul_f32_e32 v43, v59, v31
	v_mul_f32_e32 v62, v58, v31
	v_fma_f32 v43, v58, v30, -v43
	v_fmac_f32_e32 v62, v59, v30
	v_add_f32_e32 v43, v20, v43
	v_add_f32_e32 v62, v21, v62
	v_mul_f32_e32 v20, v59, v33
	v_mul_f32_e32 v21, v58, v33
	v_fma_f32 v20, v58, v32, -v20
	v_fmac_f32_e32 v21, v59, v32
	v_add_f32_e32 v58, v18, v20
	v_add_f32_e32 v59, v19, v21
	ds_read_b128 v[18:21], v52 offset:4096
	s_addc_u32 s23, s23, 0
	s_cmp_ge_i32 s10, s51
	s_waitcnt lgkmcnt(0)
	v_mul_f32_e32 v63, v19, v31
	v_mul_f32_e32 v31, v18, v31
	v_fma_f32 v63, v18, v30, -v63
	v_fmac_f32_e32 v31, v19, v30
	v_add_f32_e32 v30, v16, v63
	v_add_f32_e32 v31, v17, v31
	v_mul_f32_e32 v16, v19, v33
	v_mul_f32_e32 v17, v18, v33
	v_fma_f32 v16, v18, v32, -v16
	v_fmac_f32_e32 v17, v19, v32
	v_add_f32_e32 v18, v15, v16
	v_add_f32_e32 v19, v14, v17
	ds_read2_b64 v[14:17], v50 offset0:32 offset1:48
	s_waitcnt lgkmcnt(0)
	v_mul_f32_e32 v32, v61, v15
	v_fma_f32 v32, v60, v14, -v32
	v_add_f32_e32 v32, v43, v32
	v_mul_f32_e32 v43, v61, v17
	v_mul_f32_e32 v33, v60, v15
	v_fma_f32 v43, v60, v16, -v43
	v_mul_f32_e32 v60, v60, v17
	v_mul_f32_e32 v37, v21, v15
	;; [unrolled: 1-line block ×3, first 2 shown]
	v_fmac_f32_e32 v60, v61, v16
	v_fmac_f32_e32 v15, v21, v14
	;; [unrolled: 1-line block ×3, first 2 shown]
	v_add_f32_e32 v36, v59, v60
	v_fma_f32 v37, v20, v14, -v37
	v_add_f32_e32 v60, v31, v15
	v_mul_f32_e32 v14, v21, v17
	v_mul_f32_e32 v15, v20, v17
	v_fma_f32 v14, v20, v16, -v14
	v_fmac_f32_e32 v15, v21, v16
	v_add_f32_e32 v33, v62, v33
	v_add_f32_e32 v61, v18, v14
	;; [unrolled: 1-line block ×3, first 2 shown]
	ds_read2_b64 v[14:17], v50 offset0:64 offset1:80
	v_add_f32_e32 v63, v58, v43
	v_add_f32_e32 v59, v30, v37
	s_waitcnt lgkmcnt(0)
	v_mul_f32_e32 v18, v11, v15
	v_mul_f32_e32 v19, v10, v15
	v_fma_f32 v18, v10, v14, -v18
	v_fmac_f32_e32 v19, v11, v14
	v_add_f32_e32 v43, v32, v18
	v_add_f32_e32 v58, v33, v19
	v_mul_f32_e32 v18, v11, v17
	v_mul_f32_e32 v19, v10, v17
	v_fma_f32 v18, v10, v16, -v18
	v_fmac_f32_e32 v19, v11, v16
	v_add_f32_e32 v10, v63, v18
	v_add_f32_e32 v11, v36, v19
	ds_read_b128 v[18:21], v52 offset:4112
	s_waitcnt lgkmcnt(0)
	v_mul_f32_e32 v30, v19, v15
	v_mul_f32_e32 v15, v18, v15
	v_fmac_f32_e32 v15, v19, v14
	v_fma_f32 v30, v18, v14, -v30
	v_add_f32_e32 v31, v60, v15
	v_mul_f32_e32 v14, v19, v17
	v_mul_f32_e32 v15, v18, v17
	v_fma_f32 v14, v18, v16, -v14
	v_fmac_f32_e32 v15, v19, v16
	v_add_f32_e32 v18, v61, v14
	v_add_f32_e32 v19, v62, v15
	ds_read2_b64 v[14:17], v50 offset0:96 offset1:112
	v_add_f32_e32 v30, v59, v30
	s_waitcnt lgkmcnt(0)
	v_mul_f32_e32 v32, v13, v15
	v_mul_f32_e32 v36, v13, v17
	v_fma_f32 v32, v12, v14, -v32
	v_mul_f32_e32 v33, v12, v15
	v_fma_f32 v36, v12, v16, -v36
	v_mul_f32_e32 v12, v12, v17
	v_fmac_f32_e32 v12, v13, v16
	v_add_f32_e32 v36, v10, v36
	v_add_f32_e32 v37, v11, v12
	v_mul_f32_e32 v10, v21, v15
	v_mul_f32_e32 v11, v20, v15
	v_fma_f32 v10, v20, v14, -v10
	v_fmac_f32_e32 v11, v21, v14
	v_fmac_f32_e32 v33, v13, v14
	v_add_f32_e32 v14, v30, v10
	v_add_f32_e32 v15, v31, v11
	v_mul_f32_e32 v10, v21, v17
	v_mul_f32_e32 v11, v20, v17
	v_fma_f32 v10, v20, v16, -v10
	v_fmac_f32_e32 v11, v21, v16
	v_add_f32_e32 v20, v18, v10
	v_add_f32_e32 v21, v19, v11
	ds_read2_b64 v[10:13], v50 offset0:128 offset1:144
	v_add_f32_e32 v32, v43, v32
	v_add_f32_e32 v33, v58, v33
	s_waitcnt lgkmcnt(0)
	v_mul_f32_e32 v16, v7, v11
	v_fma_f32 v16, v6, v10, -v16
	v_mul_f32_e32 v17, v6, v11
	v_add_f32_e32 v30, v32, v16
	v_mul_f32_e32 v16, v7, v13
	v_fmac_f32_e32 v17, v7, v10
	v_fma_f32 v16, v6, v12, -v16
	v_mul_f32_e32 v6, v6, v13
	v_add_f32_e32 v31, v33, v17
	v_fmac_f32_e32 v6, v7, v12
	v_add_f32_e32 v7, v36, v16
	ds_read_b128 v[16:19], v52 offset:4128
	v_add_f32_e32 v6, v37, v6
	s_waitcnt lgkmcnt(0)
	v_mul_f32_e32 v32, v17, v11
	v_mul_f32_e32 v11, v16, v11
	v_fmac_f32_e32 v11, v17, v10
	v_fma_f32 v32, v16, v10, -v32
	v_add_f32_e32 v15, v15, v11
	v_mul_f32_e32 v10, v17, v13
	v_mul_f32_e32 v11, v16, v13
	v_fma_f32 v10, v16, v12, -v10
	v_fmac_f32_e32 v11, v17, v12
	v_add_f32_e32 v20, v20, v10
	v_add_f32_e32 v21, v21, v11
	ds_read2_b64 v[10:13], v50 offset0:160 offset1:176
	v_add_f32_e32 v14, v14, v32
	s_waitcnt lgkmcnt(0)
	v_mul_f32_e32 v16, v9, v11
	v_fma_f32 v16, v8, v10, -v16
	v_add_f32_e32 v30, v30, v16
	v_mul_f32_e32 v16, v9, v13
	v_mul_f32_e32 v17, v8, v11
	v_fma_f32 v16, v8, v12, -v16
	v_mul_f32_e32 v8, v8, v13
	v_fmac_f32_e32 v8, v9, v12
	v_add_f32_e32 v32, v7, v16
	v_add_f32_e32 v33, v6, v8
	v_mul_f32_e32 v6, v19, v11
	v_mul_f32_e32 v7, v18, v11
	v_fmac_f32_e32 v17, v9, v10
	v_fma_f32 v6, v18, v10, -v6
	v_fmac_f32_e32 v7, v19, v10
	v_add_f32_e32 v31, v31, v17
	v_add_f32_e32 v16, v14, v6
	;; [unrolled: 1-line block ×3, first 2 shown]
	v_mul_f32_e32 v6, v19, v13
	v_mul_f32_e32 v7, v18, v13
	v_fma_f32 v6, v18, v12, -v6
	v_fmac_f32_e32 v7, v19, v12
	v_add_f32_e32 v18, v20, v6
	v_add_f32_e32 v19, v21, v7
	ds_read2_b64 v[6:9], v50 offset0:192 offset1:208
	s_waitcnt lgkmcnt(0)
	v_mul_f32_e32 v10, v3, v7
	v_mul_f32_e32 v11, v2, v7
	v_fma_f32 v10, v2, v6, -v10
	v_fmac_f32_e32 v11, v3, v6
	v_add_f32_e32 v14, v30, v10
	v_add_f32_e32 v15, v31, v11
	v_mul_f32_e32 v10, v3, v9
	v_mul_f32_e32 v11, v2, v9
	v_fma_f32 v10, v2, v8, -v10
	v_fmac_f32_e32 v11, v3, v8
	v_add_f32_e32 v2, v32, v10
	v_add_f32_e32 v3, v33, v11
	ds_read_b128 v[10:13], v52 offset:4144
	s_waitcnt lgkmcnt(0)
	v_mul_f32_e32 v20, v11, v7
	v_mul_f32_e32 v7, v10, v7
	v_fmac_f32_e32 v7, v11, v6
	v_fma_f32 v20, v10, v6, -v20
	v_add_f32_e32 v17, v17, v7
	v_mul_f32_e32 v6, v11, v9
	v_mul_f32_e32 v7, v10, v9
	v_fma_f32 v6, v10, v8, -v6
	v_fmac_f32_e32 v7, v11, v8
	v_add_f32_e32 v10, v18, v6
	v_add_f32_e32 v11, v19, v7
	ds_read2_b64 v[6:9], v50 offset0:224 offset1:240
	v_add_f32_e32 v16, v16, v20
	s_waitcnt lgkmcnt(0)
	v_mul_f32_e32 v18, v5, v7
	v_fma_f32 v18, v4, v6, -v18
	v_add_f32_e32 v18, v14, v18
	v_mul_f32_e32 v14, v5, v9
	v_mul_f32_e32 v19, v4, v7
	v_fma_f32 v14, v4, v8, -v14
	v_mul_f32_e32 v4, v4, v9
	v_fmac_f32_e32 v19, v5, v6
	v_fmac_f32_e32 v4, v5, v8
	v_add_f32_e32 v15, v15, v19
	v_add_f32_e32 v19, v2, v14
	;; [unrolled: 1-line block ×3, first 2 shown]
	v_mul_f32_e32 v2, v13, v7
	v_mul_f32_e32 v3, v12, v7
	v_fma_f32 v2, v12, v6, -v2
	v_fmac_f32_e32 v3, v13, v6
	v_add_f32_e32 v21, v16, v2
	v_add_f32_e32 v30, v17, v3
	v_mul_f32_e32 v2, v13, v9
	v_mul_f32_e32 v3, v12, v9
	v_fma_f32 v2, v12, v8, -v2
	v_fmac_f32_e32 v3, v13, v8
	v_add_u32_e32 v14, 0x800, v50
	v_add_f32_e32 v10, v10, v2
	v_add_f32_e32 v11, v11, v3
	ds_read_b128 v[2:5], v52 offset:64
	ds_read2_b64 v[6:9], v14 offset1:16
	s_waitcnt lgkmcnt(0)
	v_mul_f32_e32 v13, v2, v7
	v_fmac_f32_e32 v13, v3, v6
	v_mul_f32_e32 v12, v3, v7
	v_add_f32_e32 v13, v15, v13
	v_mul_f32_e32 v15, v3, v9
	v_fma_f32 v12, v2, v6, -v12
	v_fma_f32 v15, v2, v8, -v15
	v_mul_f32_e32 v2, v2, v9
	v_add_f32_e32 v12, v18, v12
	v_fmac_f32_e32 v2, v3, v8
	v_add_f32_e32 v3, v19, v15
	ds_read_b128 v[15:18], v52 offset:4160
	v_add_f32_e32 v2, v20, v2
	s_waitcnt lgkmcnt(0)
	v_mul_f32_e32 v19, v16, v7
	v_mul_f32_e32 v7, v15, v7
	v_fmac_f32_e32 v7, v16, v6
	v_fma_f32 v19, v15, v6, -v19
	v_add_f32_e32 v20, v30, v7
	v_mul_f32_e32 v6, v16, v9
	v_mul_f32_e32 v7, v15, v9
	v_fma_f32 v6, v15, v8, -v6
	v_fmac_f32_e32 v7, v16, v8
	v_add_f32_e32 v19, v21, v19
	v_add_f32_e32 v21, v10, v6
	;; [unrolled: 1-line block ×3, first 2 shown]
	ds_read2_b64 v[6:9], v14 offset0:32 offset1:48
	s_waitcnt lgkmcnt(0)
	v_mul_f32_e32 v10, v5, v7
	v_fma_f32 v10, v4, v6, -v10
	v_add_f32_e32 v10, v12, v10
	v_mul_f32_e32 v12, v5, v9
	v_mul_f32_e32 v11, v4, v7
	v_fma_f32 v12, v4, v8, -v12
	v_mul_f32_e32 v4, v4, v9
	v_fmac_f32_e32 v11, v5, v6
	v_fmac_f32_e32 v4, v5, v8
	v_add_f32_e32 v11, v13, v11
	v_add_f32_e32 v12, v3, v12
	;; [unrolled: 1-line block ×3, first 2 shown]
	v_mul_f32_e32 v2, v18, v7
	v_mul_f32_e32 v3, v17, v7
	v_fma_f32 v2, v17, v6, -v2
	v_fmac_f32_e32 v3, v18, v6
	v_add_f32_e32 v15, v19, v2
	v_add_f32_e32 v16, v20, v3
	v_mul_f32_e32 v2, v18, v9
	v_mul_f32_e32 v3, v17, v9
	v_fma_f32 v2, v17, v8, -v2
	v_fmac_f32_e32 v3, v18, v8
	v_add_f32_e32 v17, v21, v2
	v_add_f32_e32 v18, v30, v3
	ds_read_b128 v[2:5], v52 offset:80
	ds_read2_b64 v[6:9], v14 offset0:64 offset1:80
	s_waitcnt lgkmcnt(0)
	v_mul_f32_e32 v19, v3, v7
	v_mul_f32_e32 v20, v2, v7
	v_fma_f32 v19, v2, v6, -v19
	v_fmac_f32_e32 v20, v3, v6
	v_add_f32_e32 v19, v10, v19
	v_add_f32_e32 v20, v11, v20
	v_mul_f32_e32 v10, v3, v9
	v_mul_f32_e32 v11, v2, v9
	v_fma_f32 v10, v2, v8, -v10
	v_fmac_f32_e32 v11, v3, v8
	v_add_f32_e32 v2, v12, v10
	v_add_f32_e32 v3, v13, v11
	ds_read_b128 v[10:13], v52 offset:4176
	s_waitcnt lgkmcnt(0)
	v_mul_f32_e32 v21, v11, v7
	v_mul_f32_e32 v7, v10, v7
	v_fmac_f32_e32 v7, v11, v6
	v_fma_f32 v21, v10, v6, -v21
	v_add_f32_e32 v16, v16, v7
	v_mul_f32_e32 v6, v11, v9
	v_mul_f32_e32 v7, v10, v9
	v_fma_f32 v6, v10, v8, -v6
	v_fmac_f32_e32 v7, v11, v8
	v_add_f32_e32 v10, v17, v6
	v_add_f32_e32 v11, v18, v7
	ds_read2_b64 v[6:9], v14 offset0:96 offset1:112
	v_add_f32_e32 v15, v15, v21
	s_waitcnt lgkmcnt(0)
	v_mul_f32_e32 v17, v5, v7
	v_fma_f32 v17, v4, v6, -v17
	v_add_f32_e32 v17, v19, v17
	v_mul_f32_e32 v19, v5, v9
	v_mul_f32_e32 v18, v4, v7
	v_fma_f32 v19, v4, v8, -v19
	v_mul_f32_e32 v4, v4, v9
	v_fmac_f32_e32 v18, v5, v6
	v_fmac_f32_e32 v4, v5, v8
	v_add_f32_e32 v18, v20, v18
	v_add_f32_e32 v19, v2, v19
	;; [unrolled: 1-line block ×3, first 2 shown]
	v_mul_f32_e32 v2, v13, v7
	v_mul_f32_e32 v3, v12, v7
	v_fma_f32 v2, v12, v6, -v2
	v_fmac_f32_e32 v3, v13, v6
	v_add_f32_e32 v21, v15, v2
	v_add_f32_e32 v30, v16, v3
	v_mul_f32_e32 v2, v13, v9
	v_mul_f32_e32 v3, v12, v9
	v_fma_f32 v2, v12, v8, -v2
	v_fmac_f32_e32 v3, v13, v8
	v_add_f32_e32 v10, v10, v2
	v_add_f32_e32 v11, v11, v3
	ds_read_b128 v[2:5], v52 offset:96
	ds_read2_b64 v[6:9], v14 offset0:128 offset1:144
	s_waitcnt lgkmcnt(0)
	v_mul_f32_e32 v12, v3, v7
	v_mul_f32_e32 v13, v2, v7
	;; [unrolled: 1-line block ×3, first 2 shown]
	v_fma_f32 v12, v2, v6, -v12
	v_fmac_f32_e32 v13, v3, v6
	v_fma_f32 v15, v2, v8, -v15
	v_mul_f32_e32 v2, v2, v9
	v_add_f32_e32 v12, v17, v12
	v_add_f32_e32 v13, v18, v13
	v_fmac_f32_e32 v2, v3, v8
	v_add_f32_e32 v3, v19, v15
	ds_read_b128 v[15:18], v52 offset:4192
	v_add_f32_e32 v2, v20, v2
	s_waitcnt lgkmcnt(0)
	v_mul_f32_e32 v19, v16, v7
	v_mul_f32_e32 v7, v15, v7
	v_fmac_f32_e32 v7, v16, v6
	v_fma_f32 v19, v15, v6, -v19
	v_add_f32_e32 v20, v30, v7
	v_mul_f32_e32 v6, v16, v9
	v_mul_f32_e32 v7, v15, v9
	v_fma_f32 v6, v15, v8, -v6
	v_fmac_f32_e32 v7, v16, v8
	v_add_f32_e32 v19, v21, v19
	v_add_f32_e32 v21, v10, v6
	;; [unrolled: 1-line block ×3, first 2 shown]
	ds_read2_b64 v[6:9], v14 offset0:160 offset1:176
	s_waitcnt lgkmcnt(0)
	v_mul_f32_e32 v10, v5, v7
	v_fma_f32 v10, v4, v6, -v10
	v_add_f32_e32 v10, v12, v10
	v_mul_f32_e32 v12, v5, v9
	v_mul_f32_e32 v11, v4, v7
	v_fma_f32 v12, v4, v8, -v12
	v_mul_f32_e32 v4, v4, v9
	v_fmac_f32_e32 v11, v5, v6
	v_fmac_f32_e32 v4, v5, v8
	v_add_f32_e32 v11, v13, v11
	v_add_f32_e32 v12, v3, v12
	v_add_f32_e32 v13, v2, v4
	v_mul_f32_e32 v2, v18, v7
	v_mul_f32_e32 v3, v17, v7
	v_fma_f32 v2, v17, v6, -v2
	v_fmac_f32_e32 v3, v18, v6
	v_add_f32_e32 v15, v19, v2
	v_add_f32_e32 v16, v20, v3
	v_mul_f32_e32 v2, v18, v9
	v_mul_f32_e32 v3, v17, v9
	v_fma_f32 v2, v17, v8, -v2
	v_fmac_f32_e32 v3, v18, v8
	v_add_f32_e32 v17, v21, v2
	v_add_f32_e32 v18, v30, v3
	ds_read_b128 v[2:5], v52 offset:112
	ds_read2_b64 v[6:9], v14 offset0:192 offset1:208
	s_waitcnt lgkmcnt(0)
	v_mul_f32_e32 v19, v3, v7
	v_mul_f32_e32 v20, v2, v7
	v_fma_f32 v19, v2, v6, -v19
	v_fmac_f32_e32 v20, v3, v6
	v_add_f32_e32 v19, v10, v19
	v_add_f32_e32 v20, v11, v20
	v_mul_f32_e32 v10, v3, v9
	v_mul_f32_e32 v11, v2, v9
	v_fma_f32 v10, v2, v8, -v10
	v_fmac_f32_e32 v11, v3, v8
	v_add_f32_e32 v2, v12, v10
	v_add_f32_e32 v3, v13, v11
	ds_read_b128 v[10:13], v52 offset:4208
	s_waitcnt lgkmcnt(0)
	v_mul_f32_e32 v21, v11, v7
	v_mul_f32_e32 v7, v10, v7
	v_fmac_f32_e32 v7, v11, v6
	v_fma_f32 v21, v10, v6, -v21
	v_add_f32_e32 v16, v16, v7
	v_mul_f32_e32 v6, v11, v9
	v_mul_f32_e32 v7, v10, v9
	v_fma_f32 v6, v10, v8, -v6
	v_fmac_f32_e32 v7, v11, v8
	v_add_f32_e32 v10, v17, v6
	v_add_f32_e32 v11, v18, v7
	ds_read2_b64 v[6:9], v14 offset0:224 offset1:240
	v_add_f32_e32 v15, v15, v21
	s_waitcnt lgkmcnt(0)
	v_mul_f32_e32 v14, v5, v7
	v_fma_f32 v14, v4, v6, -v14
	v_add_f32_e32 v18, v19, v14
	v_mul_f32_e32 v14, v5, v9
	v_mul_f32_e32 v17, v4, v7
	v_fma_f32 v14, v4, v8, -v14
	v_mul_f32_e32 v4, v4, v9
	v_fmac_f32_e32 v17, v5, v6
	v_fmac_f32_e32 v4, v5, v8
	v_add_f32_e32 v17, v20, v17
	v_add_f32_e32 v19, v2, v14
	;; [unrolled: 1-line block ×3, first 2 shown]
	v_mul_f32_e32 v2, v13, v7
	v_mul_f32_e32 v3, v12, v7
	v_fma_f32 v2, v12, v6, -v2
	v_fmac_f32_e32 v3, v13, v6
	v_add_f32_e32 v21, v15, v2
	v_add_f32_e32 v30, v16, v3
	v_mul_f32_e32 v2, v13, v9
	v_mul_f32_e32 v3, v12, v9
	v_fma_f32 v2, v12, v8, -v2
	v_fmac_f32_e32 v3, v13, v8
	v_add_u32_e32 v14, 0x1000, v50
	v_add_f32_e32 v10, v10, v2
	v_add_f32_e32 v11, v11, v3
	ds_read_b128 v[2:5], v52 offset:128
	ds_read2_b64 v[6:9], v14 offset1:16
	s_waitcnt lgkmcnt(0)
	v_mul_f32_e32 v12, v3, v7
	v_mul_f32_e32 v13, v2, v7
	;; [unrolled: 1-line block ×3, first 2 shown]
	v_fma_f32 v12, v2, v6, -v12
	v_fmac_f32_e32 v13, v3, v6
	v_fma_f32 v15, v2, v8, -v15
	v_mul_f32_e32 v2, v2, v9
	v_add_f32_e32 v12, v18, v12
	v_add_f32_e32 v13, v17, v13
	v_fmac_f32_e32 v2, v3, v8
	v_add_f32_e32 v3, v19, v15
	ds_read_b128 v[15:18], v52 offset:4224
	v_add_f32_e32 v2, v20, v2
	s_waitcnt lgkmcnt(0)
	v_mul_f32_e32 v19, v16, v7
	v_mul_f32_e32 v7, v15, v7
	v_fmac_f32_e32 v7, v16, v6
	v_fma_f32 v19, v15, v6, -v19
	v_add_f32_e32 v20, v30, v7
	v_mul_f32_e32 v6, v16, v9
	v_mul_f32_e32 v7, v15, v9
	v_fma_f32 v6, v15, v8, -v6
	v_fmac_f32_e32 v7, v16, v8
	v_add_f32_e32 v19, v21, v19
	v_add_f32_e32 v21, v10, v6
	;; [unrolled: 1-line block ×3, first 2 shown]
	ds_read2_b64 v[6:9], v14 offset0:32 offset1:48
	s_waitcnt lgkmcnt(0)
	v_mul_f32_e32 v10, v5, v7
	v_fma_f32 v10, v4, v6, -v10
	v_add_f32_e32 v10, v12, v10
	v_mul_f32_e32 v12, v5, v9
	v_mul_f32_e32 v11, v4, v7
	v_fma_f32 v12, v4, v8, -v12
	v_mul_f32_e32 v4, v4, v9
	v_fmac_f32_e32 v11, v5, v6
	v_fmac_f32_e32 v4, v5, v8
	v_add_f32_e32 v11, v13, v11
	v_add_f32_e32 v12, v3, v12
	;; [unrolled: 1-line block ×3, first 2 shown]
	v_mul_f32_e32 v2, v18, v7
	v_mul_f32_e32 v3, v17, v7
	v_fma_f32 v2, v17, v6, -v2
	v_fmac_f32_e32 v3, v18, v6
	v_add_f32_e32 v15, v19, v2
	v_add_f32_e32 v16, v20, v3
	v_mul_f32_e32 v2, v18, v9
	v_mul_f32_e32 v3, v17, v9
	v_fma_f32 v2, v17, v8, -v2
	v_fmac_f32_e32 v3, v18, v8
	v_add_f32_e32 v17, v21, v2
	v_add_f32_e32 v18, v30, v3
	ds_read_b128 v[2:5], v52 offset:144
	ds_read2_b64 v[6:9], v14 offset0:64 offset1:80
	s_waitcnt lgkmcnt(0)
	v_mul_f32_e32 v19, v3, v7
	v_mul_f32_e32 v20, v2, v7
	v_fma_f32 v19, v2, v6, -v19
	v_fmac_f32_e32 v20, v3, v6
	v_add_f32_e32 v19, v10, v19
	v_add_f32_e32 v20, v11, v20
	v_mul_f32_e32 v10, v3, v9
	v_mul_f32_e32 v11, v2, v9
	v_fma_f32 v10, v2, v8, -v10
	v_fmac_f32_e32 v11, v3, v8
	v_add_f32_e32 v2, v12, v10
	v_add_f32_e32 v3, v13, v11
	ds_read_b128 v[10:13], v52 offset:4240
	s_waitcnt lgkmcnt(0)
	v_mul_f32_e32 v21, v11, v7
	v_mul_f32_e32 v7, v10, v7
	v_fmac_f32_e32 v7, v11, v6
	v_fma_f32 v21, v10, v6, -v21
	v_add_f32_e32 v16, v16, v7
	v_mul_f32_e32 v6, v11, v9
	v_mul_f32_e32 v7, v10, v9
	v_fma_f32 v6, v10, v8, -v6
	v_fmac_f32_e32 v7, v11, v8
	v_add_f32_e32 v10, v17, v6
	v_add_f32_e32 v11, v18, v7
	ds_read2_b64 v[6:9], v14 offset0:96 offset1:112
	v_add_f32_e32 v15, v15, v21
	s_waitcnt lgkmcnt(0)
	v_mul_f32_e32 v17, v5, v7
	v_fma_f32 v17, v4, v6, -v17
	v_add_f32_e32 v17, v19, v17
	v_mul_f32_e32 v19, v5, v9
	v_mul_f32_e32 v18, v4, v7
	v_fma_f32 v19, v4, v8, -v19
	v_mul_f32_e32 v4, v4, v9
	v_fmac_f32_e32 v18, v5, v6
	v_fmac_f32_e32 v4, v5, v8
	v_add_f32_e32 v18, v20, v18
	v_add_f32_e32 v19, v2, v19
	;; [unrolled: 1-line block ×3, first 2 shown]
	v_mul_f32_e32 v2, v13, v7
	v_mul_f32_e32 v3, v12, v7
	v_fma_f32 v2, v12, v6, -v2
	v_fmac_f32_e32 v3, v13, v6
	v_add_f32_e32 v21, v15, v2
	v_add_f32_e32 v30, v16, v3
	v_mul_f32_e32 v2, v13, v9
	v_mul_f32_e32 v3, v12, v9
	v_fma_f32 v2, v12, v8, -v2
	v_fmac_f32_e32 v3, v13, v8
	v_add_f32_e32 v10, v10, v2
	v_add_f32_e32 v11, v11, v3
	ds_read_b128 v[2:5], v52 offset:160
	ds_read2_b64 v[6:9], v14 offset0:128 offset1:144
	s_waitcnt lgkmcnt(0)
	v_mul_f32_e32 v12, v3, v7
	v_mul_f32_e32 v13, v2, v7
	;; [unrolled: 1-line block ×3, first 2 shown]
	v_fma_f32 v12, v2, v6, -v12
	v_fmac_f32_e32 v13, v3, v6
	v_fma_f32 v15, v2, v8, -v15
	v_mul_f32_e32 v2, v2, v9
	v_add_f32_e32 v12, v17, v12
	v_add_f32_e32 v13, v18, v13
	v_fmac_f32_e32 v2, v3, v8
	v_add_f32_e32 v3, v19, v15
	ds_read_b128 v[15:18], v52 offset:4256
	v_add_f32_e32 v2, v20, v2
	s_waitcnt lgkmcnt(0)
	v_mul_f32_e32 v19, v16, v7
	v_mul_f32_e32 v7, v15, v7
	v_fmac_f32_e32 v7, v16, v6
	v_fma_f32 v19, v15, v6, -v19
	v_add_f32_e32 v20, v30, v7
	v_mul_f32_e32 v6, v16, v9
	v_mul_f32_e32 v7, v15, v9
	v_fma_f32 v6, v15, v8, -v6
	v_fmac_f32_e32 v7, v16, v8
	v_add_f32_e32 v19, v21, v19
	v_add_f32_e32 v21, v10, v6
	;; [unrolled: 1-line block ×3, first 2 shown]
	ds_read2_b64 v[6:9], v14 offset0:160 offset1:176
	s_waitcnt lgkmcnt(0)
	v_mul_f32_e32 v10, v5, v7
	v_fma_f32 v10, v4, v6, -v10
	v_add_f32_e32 v10, v12, v10
	v_mul_f32_e32 v12, v5, v9
	v_mul_f32_e32 v11, v4, v7
	v_fma_f32 v12, v4, v8, -v12
	v_mul_f32_e32 v4, v4, v9
	v_fmac_f32_e32 v11, v5, v6
	v_fmac_f32_e32 v4, v5, v8
	v_add_f32_e32 v11, v13, v11
	v_add_f32_e32 v12, v3, v12
	;; [unrolled: 1-line block ×3, first 2 shown]
	v_mul_f32_e32 v2, v18, v7
	v_mul_f32_e32 v3, v17, v7
	v_fma_f32 v2, v17, v6, -v2
	v_fmac_f32_e32 v3, v18, v6
	v_add_f32_e32 v15, v19, v2
	v_add_f32_e32 v16, v20, v3
	v_mul_f32_e32 v2, v18, v9
	v_mul_f32_e32 v3, v17, v9
	v_fma_f32 v2, v17, v8, -v2
	v_fmac_f32_e32 v3, v18, v8
	v_add_f32_e32 v17, v21, v2
	v_add_f32_e32 v18, v30, v3
	ds_read_b128 v[2:5], v52 offset:176
	ds_read2_b64 v[6:9], v14 offset0:192 offset1:208
	s_waitcnt lgkmcnt(0)
	v_mul_f32_e32 v19, v3, v7
	v_mul_f32_e32 v20, v2, v7
	v_fma_f32 v19, v2, v6, -v19
	v_fmac_f32_e32 v20, v3, v6
	v_add_f32_e32 v19, v10, v19
	v_add_f32_e32 v20, v11, v20
	v_mul_f32_e32 v10, v3, v9
	v_mul_f32_e32 v11, v2, v9
	v_fma_f32 v10, v2, v8, -v10
	v_fmac_f32_e32 v11, v3, v8
	v_add_f32_e32 v2, v12, v10
	v_add_f32_e32 v3, v13, v11
	ds_read_b128 v[10:13], v52 offset:4272
	s_waitcnt lgkmcnt(0)
	v_mul_f32_e32 v21, v11, v7
	v_mul_f32_e32 v7, v10, v7
	v_fmac_f32_e32 v7, v11, v6
	v_fma_f32 v21, v10, v6, -v21
	v_add_f32_e32 v16, v16, v7
	v_mul_f32_e32 v6, v11, v9
	v_mul_f32_e32 v7, v10, v9
	v_fma_f32 v6, v10, v8, -v6
	v_fmac_f32_e32 v7, v11, v8
	v_add_f32_e32 v10, v17, v6
	v_add_f32_e32 v11, v18, v7
	ds_read2_b64 v[6:9], v14 offset0:224 offset1:240
	v_add_f32_e32 v15, v15, v21
	s_waitcnt lgkmcnt(0)
	v_mul_f32_e32 v14, v5, v7
	v_fma_f32 v14, v4, v6, -v14
	v_add_f32_e32 v18, v19, v14
	v_mul_f32_e32 v14, v5, v9
	v_mul_f32_e32 v17, v4, v7
	v_fma_f32 v14, v4, v8, -v14
	v_mul_f32_e32 v4, v4, v9
	v_fmac_f32_e32 v17, v5, v6
	v_fmac_f32_e32 v4, v5, v8
	v_add_f32_e32 v17, v20, v17
	v_add_f32_e32 v19, v2, v14
	;; [unrolled: 1-line block ×3, first 2 shown]
	v_mul_f32_e32 v2, v13, v7
	v_mul_f32_e32 v3, v12, v7
	v_fma_f32 v2, v12, v6, -v2
	v_fmac_f32_e32 v3, v13, v6
	v_add_f32_e32 v21, v15, v2
	v_add_f32_e32 v30, v16, v3
	v_mul_f32_e32 v2, v13, v9
	v_mul_f32_e32 v3, v12, v9
	v_fma_f32 v2, v12, v8, -v2
	v_fmac_f32_e32 v3, v13, v8
	v_add_u32_e32 v14, 0x1800, v50
	v_add_f32_e32 v10, v10, v2
	v_add_f32_e32 v11, v11, v3
	ds_read_b128 v[2:5], v52 offset:192
	ds_read2_b64 v[6:9], v14 offset1:16
	s_waitcnt lgkmcnt(0)
	v_mul_f32_e32 v12, v3, v7
	v_mul_f32_e32 v13, v2, v7
	;; [unrolled: 1-line block ×3, first 2 shown]
	v_fma_f32 v12, v2, v6, -v12
	v_fmac_f32_e32 v13, v3, v6
	v_fma_f32 v15, v2, v8, -v15
	v_mul_f32_e32 v2, v2, v9
	v_add_f32_e32 v12, v18, v12
	v_add_f32_e32 v13, v17, v13
	v_fmac_f32_e32 v2, v3, v8
	v_add_f32_e32 v3, v19, v15
	ds_read_b128 v[15:18], v52 offset:4288
	v_add_f32_e32 v2, v20, v2
	s_waitcnt lgkmcnt(0)
	v_mul_f32_e32 v19, v16, v7
	v_mul_f32_e32 v7, v15, v7
	v_fmac_f32_e32 v7, v16, v6
	v_fma_f32 v19, v15, v6, -v19
	v_add_f32_e32 v20, v30, v7
	v_mul_f32_e32 v6, v16, v9
	v_mul_f32_e32 v7, v15, v9
	v_fma_f32 v6, v15, v8, -v6
	v_fmac_f32_e32 v7, v16, v8
	v_add_f32_e32 v19, v21, v19
	v_add_f32_e32 v21, v10, v6
	;; [unrolled: 1-line block ×3, first 2 shown]
	ds_read2_b64 v[6:9], v14 offset0:32 offset1:48
	s_waitcnt lgkmcnt(0)
	v_mul_f32_e32 v10, v5, v7
	v_fma_f32 v10, v4, v6, -v10
	v_add_f32_e32 v10, v12, v10
	v_mul_f32_e32 v12, v5, v9
	v_mul_f32_e32 v11, v4, v7
	v_fma_f32 v12, v4, v8, -v12
	v_mul_f32_e32 v4, v4, v9
	v_fmac_f32_e32 v11, v5, v6
	v_fmac_f32_e32 v4, v5, v8
	v_add_f32_e32 v11, v13, v11
	v_add_f32_e32 v12, v3, v12
	;; [unrolled: 1-line block ×3, first 2 shown]
	v_mul_f32_e32 v2, v18, v7
	v_mul_f32_e32 v3, v17, v7
	v_fma_f32 v2, v17, v6, -v2
	v_fmac_f32_e32 v3, v18, v6
	v_add_f32_e32 v15, v19, v2
	v_add_f32_e32 v16, v20, v3
	v_mul_f32_e32 v2, v18, v9
	v_mul_f32_e32 v3, v17, v9
	v_fma_f32 v2, v17, v8, -v2
	v_fmac_f32_e32 v3, v18, v8
	v_add_f32_e32 v17, v21, v2
	v_add_f32_e32 v18, v30, v3
	ds_read_b128 v[2:5], v52 offset:208
	ds_read2_b64 v[6:9], v14 offset0:64 offset1:80
	s_waitcnt lgkmcnt(0)
	v_mul_f32_e32 v19, v3, v7
	v_mul_f32_e32 v20, v2, v7
	v_fma_f32 v19, v2, v6, -v19
	v_fmac_f32_e32 v20, v3, v6
	v_add_f32_e32 v19, v10, v19
	v_add_f32_e32 v20, v11, v20
	v_mul_f32_e32 v10, v3, v9
	v_mul_f32_e32 v11, v2, v9
	v_fma_f32 v10, v2, v8, -v10
	v_fmac_f32_e32 v11, v3, v8
	v_add_f32_e32 v2, v12, v10
	v_add_f32_e32 v3, v13, v11
	ds_read_b128 v[10:13], v52 offset:4304
	s_waitcnt lgkmcnt(0)
	v_mul_f32_e32 v21, v11, v7
	v_mul_f32_e32 v7, v10, v7
	v_fmac_f32_e32 v7, v11, v6
	v_fma_f32 v21, v10, v6, -v21
	v_add_f32_e32 v16, v16, v7
	v_mul_f32_e32 v6, v11, v9
	v_mul_f32_e32 v7, v10, v9
	v_fma_f32 v6, v10, v8, -v6
	v_fmac_f32_e32 v7, v11, v8
	v_add_f32_e32 v10, v17, v6
	v_add_f32_e32 v11, v18, v7
	ds_read2_b64 v[6:9], v14 offset0:96 offset1:112
	v_add_f32_e32 v15, v15, v21
	s_waitcnt lgkmcnt(0)
	v_mul_f32_e32 v17, v5, v7
	v_fma_f32 v17, v4, v6, -v17
	v_add_f32_e32 v17, v19, v17
	v_mul_f32_e32 v19, v5, v9
	v_mul_f32_e32 v18, v4, v7
	v_fma_f32 v19, v4, v8, -v19
	v_mul_f32_e32 v4, v4, v9
	v_fmac_f32_e32 v18, v5, v6
	v_fmac_f32_e32 v4, v5, v8
	v_add_f32_e32 v18, v20, v18
	v_add_f32_e32 v19, v2, v19
	v_add_f32_e32 v20, v3, v4
	v_mul_f32_e32 v2, v13, v7
	v_mul_f32_e32 v3, v12, v7
	v_fma_f32 v2, v12, v6, -v2
	v_fmac_f32_e32 v3, v13, v6
	v_add_f32_e32 v21, v15, v2
	v_add_f32_e32 v30, v16, v3
	v_mul_f32_e32 v2, v13, v9
	v_mul_f32_e32 v3, v12, v9
	v_fma_f32 v2, v12, v8, -v2
	v_fmac_f32_e32 v3, v13, v8
	v_add_f32_e32 v10, v10, v2
	v_add_f32_e32 v11, v11, v3
	ds_read_b128 v[2:5], v52 offset:224
	ds_read2_b64 v[6:9], v14 offset0:128 offset1:144
	s_waitcnt lgkmcnt(0)
	v_mul_f32_e32 v12, v3, v7
	v_mul_f32_e32 v13, v2, v7
	;; [unrolled: 1-line block ×3, first 2 shown]
	v_fma_f32 v12, v2, v6, -v12
	v_fmac_f32_e32 v13, v3, v6
	v_fma_f32 v15, v2, v8, -v15
	v_mul_f32_e32 v2, v2, v9
	v_add_f32_e32 v12, v17, v12
	v_add_f32_e32 v13, v18, v13
	v_fmac_f32_e32 v2, v3, v8
	v_add_f32_e32 v3, v19, v15
	ds_read_b128 v[15:18], v52 offset:4320
	v_add_f32_e32 v2, v20, v2
	s_waitcnt lgkmcnt(0)
	v_mul_f32_e32 v19, v16, v7
	v_mul_f32_e32 v7, v15, v7
	v_fmac_f32_e32 v7, v16, v6
	v_fma_f32 v19, v15, v6, -v19
	v_add_f32_e32 v20, v30, v7
	v_mul_f32_e32 v6, v16, v9
	v_mul_f32_e32 v7, v15, v9
	v_fma_f32 v6, v15, v8, -v6
	v_fmac_f32_e32 v7, v16, v8
	v_add_f32_e32 v19, v21, v19
	v_add_f32_e32 v21, v10, v6
	v_add_f32_e32 v30, v11, v7
	ds_read2_b64 v[6:9], v14 offset0:160 offset1:176
	s_waitcnt lgkmcnt(0)
	v_mul_f32_e32 v10, v5, v7
	v_fma_f32 v10, v4, v6, -v10
	v_add_f32_e32 v10, v12, v10
	v_mul_f32_e32 v12, v5, v9
	v_mul_f32_e32 v11, v4, v7
	v_fma_f32 v12, v4, v8, -v12
	v_mul_f32_e32 v4, v4, v9
	v_fmac_f32_e32 v11, v5, v6
	v_fmac_f32_e32 v4, v5, v8
	v_add_f32_e32 v11, v13, v11
	v_add_f32_e32 v12, v3, v12
	;; [unrolled: 1-line block ×3, first 2 shown]
	v_mul_f32_e32 v2, v18, v7
	v_mul_f32_e32 v3, v17, v7
	v_fma_f32 v2, v17, v6, -v2
	v_fmac_f32_e32 v3, v18, v6
	v_add_f32_e32 v15, v19, v2
	v_add_f32_e32 v16, v20, v3
	v_mul_f32_e32 v2, v18, v9
	v_mul_f32_e32 v3, v17, v9
	v_fma_f32 v2, v17, v8, -v2
	v_fmac_f32_e32 v3, v18, v8
	v_add_f32_e32 v17, v21, v2
	v_add_f32_e32 v18, v30, v3
	ds_read_b128 v[2:5], v52 offset:240
	ds_read2_b64 v[6:9], v14 offset0:192 offset1:208
	s_waitcnt lgkmcnt(0)
	v_mul_f32_e32 v19, v3, v7
	v_mul_f32_e32 v20, v2, v7
	v_fma_f32 v19, v2, v6, -v19
	v_fmac_f32_e32 v20, v3, v6
	v_add_f32_e32 v19, v10, v19
	v_add_f32_e32 v21, v11, v20
	v_mul_f32_e32 v10, v3, v9
	v_mul_f32_e32 v11, v2, v9
	v_fma_f32 v10, v2, v8, -v10
	v_fmac_f32_e32 v11, v3, v8
	v_add_f32_e32 v2, v12, v10
	v_add_f32_e32 v3, v13, v11
	ds_read_b128 v[10:13], v52 offset:4336
	s_waitcnt lgkmcnt(0)
	v_mul_f32_e32 v20, v11, v7
	v_mul_f32_e32 v7, v10, v7
	v_fmac_f32_e32 v7, v11, v6
	v_fma_f32 v20, v10, v6, -v20
	v_add_f32_e32 v30, v16, v7
	v_mul_f32_e32 v6, v11, v9
	v_mul_f32_e32 v7, v10, v9
	v_fma_f32 v6, v10, v8, -v6
	v_fmac_f32_e32 v7, v11, v8
	v_add_f32_e32 v10, v17, v6
	v_add_f32_e32 v11, v18, v7
	ds_read2_b64 v[6:9], v14 offset0:224 offset1:240
	v_add_f32_e32 v15, v15, v20
	s_waitcnt lgkmcnt(0)
	s_barrier
	v_mul_f32_e32 v14, v5, v7
	v_fma_f32 v14, v4, v6, -v14
	v_add_f32_e32 v20, v19, v14
	v_mul_f32_e32 v14, v5, v9
	v_mul_f32_e32 v16, v4, v7
	v_fma_f32 v14, v4, v8, -v14
	v_mul_f32_e32 v4, v4, v9
	v_fmac_f32_e32 v4, v5, v8
	v_add_f32_e32 v18, v2, v14
	v_add_f32_e32 v19, v3, v4
	v_mul_f32_e32 v2, v13, v7
	v_mul_f32_e32 v3, v12, v7
	v_fmac_f32_e32 v16, v5, v6
	v_fma_f32 v2, v12, v6, -v2
	v_fmac_f32_e32 v3, v13, v6
	v_add_f32_e32 v21, v21, v16
	v_add_f32_e32 v16, v15, v2
	v_add_f32_e32 v17, v30, v3
	v_mul_f32_e32 v2, v13, v9
	v_mul_f32_e32 v3, v12, v9
	v_fma_f32 v2, v12, v8, -v2
	v_fmac_f32_e32 v3, v13, v8
	v_add_f32_e32 v15, v10, v2
	v_add_f32_e32 v14, v11, v3
	s_cbranch_scc1 .LBB79_55
.LBB79_7:                               ;   Parent Loop BB79_4 Depth=1
                                        ; =>  This Inner Loop Header: Depth=2
	v_mov_b32_e32 v2, s27
	v_add_co_u32_e64 v4, s[10:11], s26, v1
	v_addc_co_u32_e64 v5, s[10:11], 0, v2, s[10:11]
	v_mov_b32_e32 v3, s23
	v_add_co_u32_e64 v2, s[10:11], s22, v48
	v_addc_co_u32_e64 v3, s[10:11], v49, v3, s[10:11]
	v_cmp_le_i64_e64 s[12:13], s[38:39], v[4:5]
	v_cmp_eq_u64_e64 s[16:17], s[26:27], v[26:27]
	v_cmp_gt_i64_e64 s[10:11], v[4:5], v[22:23]
	s_and_b64 s[44:45], s[36:37], s[16:17]
	s_or_b64 s[16:17], s[12:13], s[10:11]
	s_or_b64 s[16:17], s[16:17], s[44:45]
	s_nor_b64 s[16:17], s[0:1], s[16:17]
	s_and_saveexec_b64 s[18:19], s[16:17]
	s_xor_b64 s[16:17], exec, s[18:19]
	s_cbranch_execz .LBB79_9
; %bb.8:                                ;   in Loop: Header=BB79_7 Depth=2
	global_load_dwordx2 v[6:7], v[2:3], off
	s_waitcnt vmcnt(0)
	ds_write_b64 v51, v[6:7]
.LBB79_9:                               ;   in Loop: Header=BB79_7 Depth=2
	s_or_saveexec_b64 s[16:17], s[16:17]
	s_xor_b64 s[28:29], s[44:45], -1
	s_xor_b64 exec, exec, s[16:17]
	s_cbranch_execz .LBB79_15
; %bb.10:                               ;   in Loop: Header=BB79_7 Depth=2
	s_and_saveexec_b64 s[18:19], s[28:29]
	s_xor_b64 s[18:19], exec, s[18:19]
; %bb.11:                               ;   in Loop: Header=BB79_7 Depth=2
	v_mov_b32_e32 v6, v39
	v_mov_b32_e32 v7, v39
	ds_write_b64 v51, v[6:7]
; %bb.12:                               ;   in Loop: Header=BB79_7 Depth=2
	s_andn2_saveexec_b64 s[18:19], s[18:19]
; %bb.13:                               ;   in Loop: Header=BB79_7 Depth=2
	ds_write_b64 v51, v[38:39]
; %bb.14:                               ;   in Loop: Header=BB79_7 Depth=2
	s_or_b64 exec, exec, s[18:19]
.LBB79_15:                              ;   in Loop: Header=BB79_7 Depth=2
	s_or_b64 exec, exec, s[16:17]
	v_cmp_eq_u64_e64 s[16:17], s[26:27], v[28:29]
	v_cmp_lt_i64_e64 s[18:19], v[24:25], v[4:5]
	s_and_b64 s[16:17], s[36:37], s[16:17]
	s_or_b64 s[12:13], s[12:13], s[18:19]
	s_or_b64 s[12:13], s[12:13], s[16:17]
	s_nor_b64 s[12:13], s[2:3], s[12:13]
	s_and_saveexec_b64 s[18:19], s[12:13]
	s_xor_b64 s[18:19], exec, s[18:19]
	s_cbranch_execz .LBB79_17
; %bb.16:                               ;   in Loop: Header=BB79_7 Depth=2
	v_mov_b32_e32 v7, s23
	v_add_co_u32_e64 v6, s[12:13], s22, v53
	v_addc_co_u32_e64 v7, s[12:13], v54, v7, s[12:13]
	global_load_dwordx2 v[6:7], v[6:7], off
	s_waitcnt vmcnt(0)
	ds_write_b64 v51, v[6:7] offset:128
.LBB79_17:                              ;   in Loop: Header=BB79_7 Depth=2
	s_andn2_saveexec_b64 s[12:13], s[18:19]
	s_cbranch_execz .LBB79_23
; %bb.18:                               ;   in Loop: Header=BB79_7 Depth=2
	s_xor_b64 s[16:17], s[16:17], -1
	s_and_saveexec_b64 s[18:19], s[16:17]
	s_xor_b64 s[16:17], exec, s[18:19]
; %bb.19:                               ;   in Loop: Header=BB79_7 Depth=2
	v_mov_b32_e32 v6, v39
	v_mov_b32_e32 v7, v39
	ds_write_b64 v51, v[6:7] offset:128
; %bb.20:                               ;   in Loop: Header=BB79_7 Depth=2
	s_andn2_saveexec_b64 s[16:17], s[16:17]
; %bb.21:                               ;   in Loop: Header=BB79_7 Depth=2
	ds_write_b64 v51, v[38:39] offset:128
; %bb.22:                               ;   in Loop: Header=BB79_7 Depth=2
	s_or_b64 exec, exec, s[16:17]
.LBB79_23:                              ;   in Loop: Header=BB79_7 Depth=2
	s_or_b64 exec, exec, s[12:13]
	v_add_co_u32_e64 v4, s[12:13], 16, v4
	v_addc_co_u32_e64 v5, s[12:13], 0, v5, s[12:13]
	v_cmp_le_i64_e64 s[12:13], s[38:39], v[4:5]
	v_cmp_eq_u64_e64 s[16:17], s[26:27], v[34:35]
	v_cmp_gt_i64_e64 s[18:19], v[4:5], v[22:23]
	s_and_b64 s[46:47], s[36:37], s[16:17]
	s_or_b64 s[16:17], s[12:13], s[18:19]
	s_or_b64 s[16:17], s[16:17], s[46:47]
	s_nor_b64 s[16:17], s[0:1], s[16:17]
	s_and_saveexec_b64 s[18:19], s[16:17]
	s_xor_b64 s[16:17], exec, s[18:19]
	s_cbranch_execz .LBB79_25
; %bb.24:                               ;   in Loop: Header=BB79_7 Depth=2
	global_load_dwordx2 v[2:3], v[2:3], off offset:128
	s_waitcnt vmcnt(0)
	ds_write_b64 v51, v[2:3] offset:4096
.LBB79_25:                              ;   in Loop: Header=BB79_7 Depth=2
	s_andn2_saveexec_b64 s[16:17], s[16:17]
	s_cbranch_execz .LBB79_31
; %bb.26:                               ;   in Loop: Header=BB79_7 Depth=2
	s_xor_b64 s[18:19], s[46:47], -1
	s_and_saveexec_b64 s[46:47], s[18:19]
	s_xor_b64 s[18:19], exec, s[46:47]
; %bb.27:                               ;   in Loop: Header=BB79_7 Depth=2
	v_mov_b32_e32 v2, v39
	v_mov_b32_e32 v3, v39
	ds_write_b64 v51, v[2:3] offset:4096
; %bb.28:                               ;   in Loop: Header=BB79_7 Depth=2
	s_andn2_saveexec_b64 s[18:19], s[18:19]
; %bb.29:                               ;   in Loop: Header=BB79_7 Depth=2
	ds_write_b64 v51, v[38:39] offset:4096
; %bb.30:                               ;   in Loop: Header=BB79_7 Depth=2
	s_or_b64 exec, exec, s[18:19]
.LBB79_31:                              ;   in Loop: Header=BB79_7 Depth=2
	s_or_b64 exec, exec, s[16:17]
	s_or_b64 s[10:11], s[12:13], s[10:11]
	s_or_b64 s[10:11], s[10:11], s[44:45]
	s_nor_b64 s[10:11], s[2:3], s[10:11]
	s_and_saveexec_b64 s[12:13], s[10:11]
	s_xor_b64 s[12:13], exec, s[12:13]
	s_cbranch_execz .LBB79_33
; %bb.32:                               ;   in Loop: Header=BB79_7 Depth=2
	v_mov_b32_e32 v3, s23
	v_add_co_u32_e64 v2, s[10:11], s22, v53
	v_addc_co_u32_e64 v3, s[10:11], v54, v3, s[10:11]
	global_load_dwordx2 v[2:3], v[2:3], off offset:128
	s_waitcnt vmcnt(0)
	ds_write_b64 v51, v[2:3] offset:4224
.LBB79_33:                              ;   in Loop: Header=BB79_7 Depth=2
	s_andn2_saveexec_b64 s[10:11], s[12:13]
	s_cbranch_execz .LBB79_39
; %bb.34:                               ;   in Loop: Header=BB79_7 Depth=2
	s_and_saveexec_b64 s[12:13], s[28:29]
	s_xor_b64 s[12:13], exec, s[12:13]
; %bb.35:                               ;   in Loop: Header=BB79_7 Depth=2
	v_mov_b32_e32 v2, v39
	v_mov_b32_e32 v3, v39
	ds_write_b64 v51, v[2:3] offset:4224
; %bb.36:                               ;   in Loop: Header=BB79_7 Depth=2
	s_andn2_saveexec_b64 s[12:13], s[12:13]
; %bb.37:                               ;   in Loop: Header=BB79_7 Depth=2
	ds_write_b64 v51, v[38:39] offset:4224
; %bb.38:                               ;   in Loop: Header=BB79_7 Depth=2
	s_or_b64 exec, exec, s[12:13]
.LBB79_39:                              ;   in Loop: Header=BB79_7 Depth=2
	s_or_b64 exec, exec, s[10:11]
	v_mov_b32_e32 v3, s27
	v_add_co_u32_e64 v2, s[10:11], s26, v0
	v_addc_co_u32_e64 v3, s[10:11], 0, v3, s[10:11]
	v_cmp_gt_i64_e64 s[10:11], s[38:39], v[2:3]
	s_and_b64 s[12:13], vcc, s[10:11]
	s_xor_b64 s[12:13], s[12:13], -1
	s_and_saveexec_b64 s[16:17], s[12:13]
	s_xor_b64 s[12:13], exec, s[16:17]
; %bb.40:                               ;   in Loop: Header=BB79_7 Depth=2
	v_mov_b32_e32 v4, v39
	v_mov_b32_e32 v5, v39
	ds_write_b64 v55, v[4:5]
; %bb.41:                               ;   in Loop: Header=BB79_7 Depth=2
	s_or_saveexec_b64 s[16:17], s[12:13]
	v_mov_b32_e32 v5, s23
	v_add_co_u32_e64 v4, s[12:13], s22, v44
	v_addc_co_u32_e64 v5, s[12:13], v45, v5, s[12:13]
	s_xor_b64 exec, exec, s[16:17]
	s_cbranch_execz .LBB79_43
; %bb.42:                               ;   in Loop: Header=BB79_7 Depth=2
	global_load_dwordx2 v[6:7], v[4:5], off offset:-128
	s_waitcnt vmcnt(0)
	ds_write_b64 v55, v[6:7]
.LBB79_43:                              ;   in Loop: Header=BB79_7 Depth=2
	s_or_b64 exec, exec, s[16:17]
	v_cmp_gt_i64_e64 s[12:13], s[42:43], v[2:3]
	s_and_b64 s[16:17], vcc, s[12:13]
	s_xor_b64 s[16:17], s[16:17], -1
	s_and_saveexec_b64 s[18:19], s[16:17]
	s_xor_b64 s[16:17], exec, s[18:19]
; %bb.44:                               ;   in Loop: Header=BB79_7 Depth=2
	v_mov_b32_e32 v2, v39
	v_mov_b32_e32 v3, v39
	ds_write_b64 v55, v[2:3] offset:128
                                        ; implicit-def: $vgpr4_vgpr5
; %bb.45:                               ;   in Loop: Header=BB79_7 Depth=2
	s_andn2_saveexec_b64 s[16:17], s[16:17]
	s_cbranch_execz .LBB79_47
; %bb.46:                               ;   in Loop: Header=BB79_7 Depth=2
	global_load_dwordx2 v[2:3], v[4:5], off
	s_waitcnt vmcnt(0)
	ds_write_b64 v55, v[2:3] offset:128
.LBB79_47:                              ;   in Loop: Header=BB79_7 Depth=2
	s_or_b64 exec, exec, s[16:17]
	s_and_b64 s[10:11], s[8:9], s[10:11]
	s_xor_b64 s[10:11], s[10:11], -1
	s_and_saveexec_b64 s[16:17], s[10:11]
	s_xor_b64 s[10:11], exec, s[16:17]
; %bb.48:                               ;   in Loop: Header=BB79_7 Depth=2
	v_mov_b32_e32 v2, v39
	v_mov_b32_e32 v3, v39
	ds_write_b64 v55, v[2:3] offset:4096
; %bb.49:                               ;   in Loop: Header=BB79_7 Depth=2
	s_or_saveexec_b64 s[16:17], s[10:11]
	v_mov_b32_e32 v3, s23
	v_add_co_u32_e64 v2, s[10:11], s22, v46
	v_addc_co_u32_e64 v3, s[10:11], v47, v3, s[10:11]
	s_xor_b64 exec, exec, s[16:17]
	s_cbranch_execz .LBB79_51
; %bb.50:                               ;   in Loop: Header=BB79_7 Depth=2
	global_load_dwordx2 v[4:5], v[2:3], off
	s_waitcnt vmcnt(0)
	ds_write_b64 v55, v[4:5] offset:4096
.LBB79_51:                              ;   in Loop: Header=BB79_7 Depth=2
	s_or_b64 exec, exec, s[16:17]
	s_and_b64 s[10:11], s[8:9], s[12:13]
	s_xor_b64 s[10:11], s[10:11], -1
	s_and_saveexec_b64 s[12:13], s[10:11]
	s_xor_b64 s[10:11], exec, s[12:13]
; %bb.52:                               ;   in Loop: Header=BB79_7 Depth=2
	v_mov_b32_e32 v2, v39
	v_mov_b32_e32 v3, v39
	ds_write_b64 v55, v[2:3] offset:4224
                                        ; implicit-def: $vgpr2_vgpr3
; %bb.53:                               ;   in Loop: Header=BB79_7 Depth=2
	s_andn2_saveexec_b64 s[10:11], s[10:11]
	s_cbranch_execz .LBB79_6
; %bb.54:                               ;   in Loop: Header=BB79_7 Depth=2
	global_load_dwordx2 v[2:3], v[2:3], off offset:128
	s_waitcnt vmcnt(0)
	ds_write_b64 v55, v[2:3] offset:4224
	s_branch .LBB79_6
.LBB79_55:                              ;   in Loop: Header=BB79_4 Depth=1
	v_mul_lo_u32 v4, s41, v56
	v_mul_lo_u32 v5, s40, v57
	v_mad_u64_u32 v[2:3], s[8:9], s40, v56, 0
	v_cmp_gt_i32_e32 vcc, s30, v56
	v_add3_u32 v3, v3, v5, v4
	v_lshlrev_b64 v[2:3], 3, v[2:3]
	v_mov_b32_e32 v4, s50
	v_add_co_u32_e64 v2, s[8:9], s49, v2
	v_addc_co_u32_e64 v3, s[8:9], v4, v3, s[8:9]
	s_and_b64 s[8:9], s[4:5], vcc
	s_and_saveexec_b64 s[10:11], s[8:9]
	s_cbranch_execz .LBB79_57
; %bb.56:                               ;   in Loop: Header=BB79_4 Depth=1
	v_lshlrev_b64 v[4:5], 3, v[22:23]
	v_mul_f32_e32 v8, s33, v21
	v_add_co_u32_e64 v4, s[8:9], v2, v4
	v_addc_co_u32_e64 v5, s[8:9], v3, v5, s[8:9]
	global_load_dwordx2 v[6:7], v[4:5], off
	v_mul_f32_e32 v9, s31, v21
	v_fma_f32 v8, v20, s31, -v8
	v_fmac_f32_e32 v9, s33, v20
	s_waitcnt vmcnt(0)
	v_add_f32_e32 v6, v6, v8
	v_add_f32_e32 v7, v9, v7
	global_store_dwordx2 v[4:5], v[6:7], off
.LBB79_57:                              ;   in Loop: Header=BB79_4 Depth=1
	s_or_b64 exec, exec, s[10:11]
	s_and_b64 s[10:11], s[14:15], vcc
	s_and_saveexec_b64 s[8:9], s[10:11]
	s_cbranch_execz .LBB79_59
; %bb.58:                               ;   in Loop: Header=BB79_4 Depth=1
	v_add_co_u32_e32 v2, vcc, v2, v40
	v_addc_co_u32_e32 v3, vcc, v3, v41, vcc
	global_load_dwordx2 v[4:5], v[2:3], off
	v_mul_f32_e32 v6, s33, v19
	v_mul_f32_e32 v7, s31, v19
	v_fma_f32 v6, v18, s31, -v6
	v_fmac_f32_e32 v7, s33, v18
	s_waitcnt vmcnt(0)
	v_add_f32_e32 v4, v4, v6
	v_add_f32_e32 v5, v7, v5
	global_store_dwordx2 v[2:3], v[4:5], off
.LBB79_59:                              ;   in Loop: Header=BB79_4 Depth=1
	s_or_b64 exec, exec, s[8:9]
	v_add_u32_e32 v4, 16, v56
	v_ashrrev_i32_e32 v2, 31, v4
	v_mul_lo_u32 v5, s40, v2
	v_mul_lo_u32 v6, s41, v4
	v_mad_u64_u32 v[2:3], s[8:9], s40, v4, 0
	v_cmp_gt_i32_e32 vcc, s30, v4
	v_mov_b32_e32 v4, s50
	v_add3_u32 v3, v3, v5, v6
	v_lshlrev_b64 v[2:3], 3, v[2:3]
	v_add_co_u32_e64 v2, s[8:9], s49, v2
	v_addc_co_u32_e64 v3, s[8:9], v4, v3, s[8:9]
	s_and_b64 s[8:9], s[4:5], vcc
	s_and_saveexec_b64 s[10:11], s[8:9]
	s_cbranch_execz .LBB79_61
; %bb.60:                               ;   in Loop: Header=BB79_4 Depth=1
	v_lshlrev_b64 v[4:5], 3, v[22:23]
	v_mul_f32_e32 v8, s33, v17
	v_add_co_u32_e64 v4, s[8:9], v2, v4
	v_addc_co_u32_e64 v5, s[8:9], v3, v5, s[8:9]
	global_load_dwordx2 v[6:7], v[4:5], off
	v_mul_f32_e32 v9, s31, v17
	v_fma_f32 v8, v16, s31, -v8
	v_fmac_f32_e32 v9, s33, v16
	s_waitcnt vmcnt(0)
	v_add_f32_e32 v6, v6, v8
	v_add_f32_e32 v7, v9, v7
	global_store_dwordx2 v[4:5], v[6:7], off
.LBB79_61:                              ;   in Loop: Header=BB79_4 Depth=1
	s_or_b64 exec, exec, s[10:11]
	s_and_b64 s[10:11], s[14:15], vcc
	s_and_saveexec_b64 s[8:9], s[10:11]
	s_cbranch_execz .LBB79_3
; %bb.62:                               ;   in Loop: Header=BB79_4 Depth=1
	v_add_co_u32_e32 v2, vcc, v2, v40
	v_addc_co_u32_e32 v3, vcc, v3, v41, vcc
	global_load_dwordx2 v[4:5], v[2:3], off
	v_mul_f32_e32 v6, s33, v14
	v_mul_f32_e32 v7, s31, v14
	v_fma_f32 v6, v15, s31, -v6
	v_fmac_f32_e32 v7, s33, v15
	s_waitcnt vmcnt(0)
	v_add_f32_e32 v4, v4, v6
	v_add_f32_e32 v5, v7, v5
	global_store_dwordx2 v[2:3], v[4:5], off
	s_branch .LBB79_3
.LBB79_63:
	s_endpgm
	.section	.rodata,"a",@progbits
	.p2align	6, 0x0
	.amdhsa_kernel _ZL30rocblas_trmm_outofplace_kernelI19rocblas_complex_numIfELi32ELi2ELb1ELb1ELb1ELb0ES1_KS1_S1_Ev17rocblas_diagonal_iiT6_lPT7_lllS6_lllPT8_llli
		.amdhsa_group_segment_fixed_size 16384
		.amdhsa_private_segment_fixed_size 20
		.amdhsa_kernarg_size 392
		.amdhsa_user_sgpr_count 6
		.amdhsa_user_sgpr_private_segment_buffer 1
		.amdhsa_user_sgpr_dispatch_ptr 0
		.amdhsa_user_sgpr_queue_ptr 0
		.amdhsa_user_sgpr_kernarg_segment_ptr 1
		.amdhsa_user_sgpr_dispatch_id 0
		.amdhsa_user_sgpr_flat_scratch_init 0
		.amdhsa_user_sgpr_private_segment_size 0
		.amdhsa_uses_dynamic_stack 0
		.amdhsa_system_sgpr_private_segment_wavefront_offset 1
		.amdhsa_system_sgpr_workgroup_id_x 1
		.amdhsa_system_sgpr_workgroup_id_y 1
		.amdhsa_system_sgpr_workgroup_id_z 1
		.amdhsa_system_sgpr_workgroup_info 0
		.amdhsa_system_vgpr_workitem_id 1
		.amdhsa_next_free_vgpr 64
		.amdhsa_next_free_sgpr 61
		.amdhsa_reserve_vcc 1
		.amdhsa_reserve_flat_scratch 0
		.amdhsa_float_round_mode_32 0
		.amdhsa_float_round_mode_16_64 0
		.amdhsa_float_denorm_mode_32 3
		.amdhsa_float_denorm_mode_16_64 3
		.amdhsa_dx10_clamp 1
		.amdhsa_ieee_mode 1
		.amdhsa_fp16_overflow 0
		.amdhsa_exception_fp_ieee_invalid_op 0
		.amdhsa_exception_fp_denorm_src 0
		.amdhsa_exception_fp_ieee_div_zero 0
		.amdhsa_exception_fp_ieee_overflow 0
		.amdhsa_exception_fp_ieee_underflow 0
		.amdhsa_exception_fp_ieee_inexact 0
		.amdhsa_exception_int_div_zero 0
	.end_amdhsa_kernel
	.section	.text._ZL30rocblas_trmm_outofplace_kernelI19rocblas_complex_numIfELi32ELi2ELb1ELb1ELb1ELb0ES1_KS1_S1_Ev17rocblas_diagonal_iiT6_lPT7_lllS6_lllPT8_llli,"axG",@progbits,_ZL30rocblas_trmm_outofplace_kernelI19rocblas_complex_numIfELi32ELi2ELb1ELb1ELb1ELb0ES1_KS1_S1_Ev17rocblas_diagonal_iiT6_lPT7_lllS6_lllPT8_llli,comdat
.Lfunc_end79:
	.size	_ZL30rocblas_trmm_outofplace_kernelI19rocblas_complex_numIfELi32ELi2ELb1ELb1ELb1ELb0ES1_KS1_S1_Ev17rocblas_diagonal_iiT6_lPT7_lllS6_lllPT8_llli, .Lfunc_end79-_ZL30rocblas_trmm_outofplace_kernelI19rocblas_complex_numIfELi32ELi2ELb1ELb1ELb1ELb0ES1_KS1_S1_Ev17rocblas_diagonal_iiT6_lPT7_lllS6_lllPT8_llli
                                        ; -- End function
	.set _ZL30rocblas_trmm_outofplace_kernelI19rocblas_complex_numIfELi32ELi2ELb1ELb1ELb1ELb0ES1_KS1_S1_Ev17rocblas_diagonal_iiT6_lPT7_lllS6_lllPT8_llli.num_vgpr, 64
	.set _ZL30rocblas_trmm_outofplace_kernelI19rocblas_complex_numIfELi32ELi2ELb1ELb1ELb1ELb0ES1_KS1_S1_Ev17rocblas_diagonal_iiT6_lPT7_lllS6_lllPT8_llli.num_agpr, 0
	.set _ZL30rocblas_trmm_outofplace_kernelI19rocblas_complex_numIfELi32ELi2ELb1ELb1ELb1ELb0ES1_KS1_S1_Ev17rocblas_diagonal_iiT6_lPT7_lllS6_lllPT8_llli.numbered_sgpr, 60
	.set _ZL30rocblas_trmm_outofplace_kernelI19rocblas_complex_numIfELi32ELi2ELb1ELb1ELb1ELb0ES1_KS1_S1_Ev17rocblas_diagonal_iiT6_lPT7_lllS6_lllPT8_llli.num_named_barrier, 0
	.set _ZL30rocblas_trmm_outofplace_kernelI19rocblas_complex_numIfELi32ELi2ELb1ELb1ELb1ELb0ES1_KS1_S1_Ev17rocblas_diagonal_iiT6_lPT7_lllS6_lllPT8_llli.private_seg_size, 20
	.set _ZL30rocblas_trmm_outofplace_kernelI19rocblas_complex_numIfELi32ELi2ELb1ELb1ELb1ELb0ES1_KS1_S1_Ev17rocblas_diagonal_iiT6_lPT7_lllS6_lllPT8_llli.uses_vcc, 1
	.set _ZL30rocblas_trmm_outofplace_kernelI19rocblas_complex_numIfELi32ELi2ELb1ELb1ELb1ELb0ES1_KS1_S1_Ev17rocblas_diagonal_iiT6_lPT7_lllS6_lllPT8_llli.uses_flat_scratch, 0
	.set _ZL30rocblas_trmm_outofplace_kernelI19rocblas_complex_numIfELi32ELi2ELb1ELb1ELb1ELb0ES1_KS1_S1_Ev17rocblas_diagonal_iiT6_lPT7_lllS6_lllPT8_llli.has_dyn_sized_stack, 0
	.set _ZL30rocblas_trmm_outofplace_kernelI19rocblas_complex_numIfELi32ELi2ELb1ELb1ELb1ELb0ES1_KS1_S1_Ev17rocblas_diagonal_iiT6_lPT7_lllS6_lllPT8_llli.has_recursion, 0
	.set _ZL30rocblas_trmm_outofplace_kernelI19rocblas_complex_numIfELi32ELi2ELb1ELb1ELb1ELb0ES1_KS1_S1_Ev17rocblas_diagonal_iiT6_lPT7_lllS6_lllPT8_llli.has_indirect_call, 0
	.section	.AMDGPU.csdata,"",@progbits
; Kernel info:
; codeLenInByte = 6624
; TotalNumSgprs: 64
; NumVgprs: 64
; ScratchSize: 20
; MemoryBound: 1
; FloatMode: 240
; IeeeMode: 1
; LDSByteSize: 16384 bytes/workgroup (compile time only)
; SGPRBlocks: 8
; VGPRBlocks: 15
; NumSGPRsForWavesPerEU: 65
; NumVGPRsForWavesPerEU: 64
; Occupancy: 4
; WaveLimiterHint : 0
; COMPUTE_PGM_RSRC2:SCRATCH_EN: 1
; COMPUTE_PGM_RSRC2:USER_SGPR: 6
; COMPUTE_PGM_RSRC2:TRAP_HANDLER: 0
; COMPUTE_PGM_RSRC2:TGID_X_EN: 1
; COMPUTE_PGM_RSRC2:TGID_Y_EN: 1
; COMPUTE_PGM_RSRC2:TGID_Z_EN: 1
; COMPUTE_PGM_RSRC2:TIDIG_COMP_CNT: 1
	.section	.text._ZL30rocblas_trmm_outofplace_kernelI19rocblas_complex_numIfELi32ELi2ELb1ELb0ELb1ELb1EPKS1_S2_S1_Ev17rocblas_diagonal_iiT6_lPT7_lllS7_lllPT8_llli,"axG",@progbits,_ZL30rocblas_trmm_outofplace_kernelI19rocblas_complex_numIfELi32ELi2ELb1ELb0ELb1ELb1EPKS1_S2_S1_Ev17rocblas_diagonal_iiT6_lPT7_lllS7_lllPT8_llli,comdat
	.globl	_ZL30rocblas_trmm_outofplace_kernelI19rocblas_complex_numIfELi32ELi2ELb1ELb0ELb1ELb1EPKS1_S2_S1_Ev17rocblas_diagonal_iiT6_lPT7_lllS7_lllPT8_llli ; -- Begin function _ZL30rocblas_trmm_outofplace_kernelI19rocblas_complex_numIfELi32ELi2ELb1ELb0ELb1ELb1EPKS1_S2_S1_Ev17rocblas_diagonal_iiT6_lPT7_lllS7_lllPT8_llli
	.p2align	8
	.type	_ZL30rocblas_trmm_outofplace_kernelI19rocblas_complex_numIfELi32ELi2ELb1ELb0ELb1ELb1EPKS1_S2_S1_Ev17rocblas_diagonal_iiT6_lPT7_lllS7_lllPT8_llli,@function
_ZL30rocblas_trmm_outofplace_kernelI19rocblas_complex_numIfELi32ELi2ELb1ELb0ELb1ELb1EPKS1_S2_S1_Ev17rocblas_diagonal_iiT6_lPT7_lllS7_lllPT8_llli: ; @_ZL30rocblas_trmm_outofplace_kernelI19rocblas_complex_numIfELi32ELi2ELb1ELb0ELb1ELb1EPKS1_S2_S1_Ev17rocblas_diagonal_iiT6_lPT7_lllS7_lllPT8_llli
; %bb.0:
	s_load_dwordx16 s[12:27], s[4:5], 0x10
	s_mov_b64 s[58:59], s[2:3]
	s_mov_b64 s[56:57], s[0:1]
	s_add_u32 s56, s56, s9
	s_addc_u32 s57, s57, 0
	s_waitcnt lgkmcnt(0)
	s_mul_i32 s0, s15, s8
	s_mul_hi_u32 s1, s14, s8
	s_add_i32 s1, s1, s0
	s_mul_i32 s0, s14, s8
	s_lshl_b64 s[0:1], s[0:1], 3
	s_add_u32 s0, s12, s0
	s_addc_u32 s1, s13, s1
	s_load_dwordx2 s[34:35], s[0:1], 0x0
	s_waitcnt lgkmcnt(0)
	s_or_b32 s0, s34, s35
	s_bitset0_b32 s0, 31
	s_cmp_eq_u32 s0, 0
	s_cbranch_scc1 .LBB80_64
; %bb.1:
	s_load_dwordx4 s[28:31], s[4:5], 0x0
	s_waitcnt lgkmcnt(0)
	s_add_i32 s0, s30, -1
	s_ashr_i32 s1, s0, 31
	s_lshr_b32 s1, s1, 27
	s_add_i32 s0, s0, s1
	s_ashr_i32 s31, s0, 5
	s_cmp_gt_i32 s7, s31
	s_cbranch_scc1 .LBB80_64
; %bb.2:
	s_mul_i32 s0, s23, s8
	s_mul_hi_u32 s1, s22, s8
	s_load_dwordx8 s[36:43], s[4:5], 0x50
	s_load_dwordx4 s[44:47], s[4:5], 0x70
	s_add_i32 s1, s1, s0
	s_mul_i32 s0, s22, s8
	s_lshl_b64 s[10:11], s[0:1], 3
	s_add_u32 s0, s16, s10
	s_addc_u32 s1, s17, s11
	s_lshl_b64 s[12:13], s[18:19], 3
	s_add_u32 s2, s0, s12
	s_addc_u32 s3, s1, s13
	s_waitcnt lgkmcnt(0)
	s_mul_i32 s0, s47, s8
	s_mul_hi_u32 s1, s46, s8
	s_add_i32 s1, s1, s0
	s_mul_i32 s0, s46, s8
	s_lshl_b64 s[0:1], s[0:1], 3
	s_load_dword s33, s[4:5], 0x8c
	s_add_u32 s4, s40, s0
	s_addc_u32 s5, s41, s1
	s_lshl_b64 s[0:1], s[42:43], 3
	s_add_u32 s50, s4, s0
	s_addc_u32 s51, s5, s1
	s_lshl_b32 s4, s6, 5
	v_add_u32_e32 v22, s4, v0
	v_ashrrev_i32_e32 v23, 31, v22
	v_mul_lo_u32 v4, s20, v23
	v_mul_lo_u32 v5, s21, v22
	v_mad_u64_u32 v[2:3], s[0:1], s20, v22, 0
	v_add_u32_e32 v24, s4, v1
	v_ashrrev_i32_e32 v25, 31, v24
	v_add3_u32 v3, v3, v4, v5
	v_lshlrev_b64 v[2:3], 3, v[2:3]
	v_mov_b32_e32 v4, s3
	v_add_co_u32_e32 v5, vcc, s2, v2
	v_addc_co_u32_e32 v4, vcc, v4, v3, vcc
	v_lshlrev_b64 v[2:3], 3, v[24:25]
	s_sub_i32 s6, s29, s4
	v_add_co_u32_e32 v50, vcc, v5, v2
	v_addc_co_u32_e32 v51, vcc, v4, v3, vcc
	s_cmp_gt_i32 s6, 0
	v_add_co_u32_e32 v26, vcc, 16, v22
	s_cselect_b64 s[22:23], -1, 0
	s_cmpk_eq_i32 s28, 0x84
	v_addc_co_u32_e32 v27, vcc, 0, v23, vcc
	s_cselect_b64 s[40:41], -1, 0
	s_ashr_i32 s43, s29, 31
	s_ashr_i32 s52, s30, 31
	v_sub_co_u32_e32 v30, vcc, v22, v24
	s_add_u32 s46, s29, -16
	v_subb_co_u32_e32 v31, vcc, v23, v25, vcc
	s_addc_u32 s47, s43, -1
	v_add_co_u32_e32 v32, vcc, 16, v30
	v_lshlrev_b64 v[8:9], 3, v[22:23]
	v_lshlrev_b32_e32 v4, 8, v1
	v_lshlrev_b32_e32 v0, 3, v0
	v_addc_co_u32_e32 v33, vcc, 0, v31, vcc
	s_movk_i32 s9, 0x80
	s_add_u32 s10, s12, s10
	v_add_u32_e32 v52, v0, v4
	v_add_u32_e32 v53, 0x2000, v4
	v_add_co_u32_e32 v6, vcc, s9, v8
	s_addc_u32 s11, s13, s11
	v_mov_b32_e32 v4, s10
	v_addc_co_u32_e32 v7, vcc, 0, v9, vcc
	v_mov_b32_e32 v5, s11
	v_mad_u64_u32 v[4:5], s[10:11], s20, v6, v[4:5]
	v_mul_lo_u32 v7, s20, v7
	v_mul_lo_u32 v6, s21, v6
	s_mul_i32 s9, s39, s8
	s_mul_hi_u32 s10, s38, s8
	v_add_co_u32_e32 v36, vcc, -16, v30
	s_add_i32 s9, s10, s9
	s_mul_i32 s8, s38, s8
	v_addc_co_u32_e32 v37, vcc, -1, v31, vcc
	s_lshl_b64 s[8:9], s[8:9], 3
	s_lshl_b64 s[10:11], s[26:27], 3
	v_add3_u32 v5, v6, v5, v7
	v_add_co_u32_e32 v2, vcc, v4, v2
	s_add_u32 s8, s8, s10
	v_addc_co_u32_e32 v3, vcc, v5, v3, vcc
	s_addc_u32 s9, s9, s11
	v_mov_b32_e32 v4, s17
	v_add_co_u32_e32 v54, vcc, s16, v2
	s_add_u32 s8, s24, s8
	v_addc_co_u32_e32 v55, vcc, v4, v3, vcc
	s_addc_u32 s9, s25, s9
	v_mov_b32_e32 v2, s9
	v_add_co_u32_e32 v3, vcc, s8, v8
	v_addc_co_u32_e32 v4, vcc, v2, v9, vcc
	v_add_co_u32_e32 v2, vcc, 0x80, v3
	buffer_store_dword v3, off, s[56:59], 0 ; 4-byte Folded Spill
	s_nop 0
	buffer_store_dword v4, off, s[56:59], 0 offset:4 ; 4-byte Folded Spill
	s_mov_b32 s42, s29
	v_cmp_le_i64_e64 s[2:3], s[42:43], v[26:27]
	v_add_u32_e32 v28, 16, v22
	v_cmp_le_i32_e64 s[0:1], s29, v22
	v_cmp_gt_i32_e64 s[4:5], s29, v22
	v_cmp_gt_i32_e64 s[14:15], s29, v28
	v_ashrrev_i32_e32 v29, 31, v28
	s_lshl_b64 s[20:21], s[36:37], 3
	s_waitcnt lgkmcnt(0)
	s_lshl_b32 s53, s33, 5
	v_mov_b32_e32 v43, 0
	v_mov_b32_e32 v42, 1.0
	v_add_u32_e32 v56, v53, v0
	v_lshl_add_u32 v44, s7, 5, v1
	v_addc_co_u32_e32 v3, vcc, 0, v4, vcc
	buffer_store_dword v2, off, s[56:59], 0 offset:8 ; 4-byte Folded Spill
	s_nop 0
	buffer_store_dword v3, off, s[56:59], 0 offset:12 ; 4-byte Folded Spill
	s_branch .LBB80_4
.LBB80_3:                               ;   in Loop: Header=BB80_4 Depth=1
	s_or_b64 exec, exec, s[8:9]
	s_add_i32 s7, s33, s7
	s_cmp_le_i32 s7, s31
	v_add_u32_e32 v44, s53, v44
	s_cbranch_scc0 .LBB80_64
.LBB80_4:                               ; =>This Loop Header: Depth=1
                                        ;     Child Loop BB80_7 Depth 2
	v_lshl_add_u32 v57, s7, 5, v1
	s_andn2_b64 vcc, exec, s[22:23]
	v_ashrrev_i32_e32 v58, 31, v57
	s_cbranch_vccnz .LBB80_55
; %bb.5:                                ;   in Loop: Header=BB80_4 Depth=1
	buffer_load_dword v2, off, s[56:59], 0 offset:8 ; 4-byte Folded Reload
	buffer_load_dword v3, off, s[56:59], 0 offset:12 ; 4-byte Folded Reload
	buffer_load_dword v7, off, s[56:59], 0  ; 4-byte Folded Reload
	buffer_load_dword v8, off, s[56:59], 0 offset:4 ; 4-byte Folded Reload
	v_ashrrev_i32_e32 v45, 31, v44
	v_mul_lo_u32 v4, s21, v44
	v_mul_lo_u32 v5, s20, v45
	s_mov_b64 s[24:25], 0
	v_mov_b32_e32 v14, 0
	s_mov_b64 s[26:27], 0
	v_mov_b32_e32 v15, 0
	v_mov_b32_e32 v17, 0
	;; [unrolled: 1-line block ×7, first 2 shown]
	s_waitcnt vmcnt(2)
	v_mad_u64_u32 v[46:47], s[8:9], s20, v44, v[2:3]
	v_lshlrev_b64 v[2:3], 3, v[44:45]
	v_add_co_u32_e32 v2, vcc, 0x80, v2
	v_addc_co_u32_e32 v3, vcc, 0, v3, vcc
	v_mul_lo_u32 v3, s36, v3
	v_mul_lo_u32 v6, s37, v2
	s_waitcnt vmcnt(0)
	v_mad_u64_u32 v[48:49], s[8:9], s36, v2, v[7:8]
	v_sub_co_u32_e32 v2, vcc, s30, v57
	v_add3_u32 v49, v6, v49, v3
	v_mov_b32_e32 v3, s52
	v_subb_co_u32_e32 v3, vcc, v3, v58, vcc
	v_cmp_lt_i64_e32 vcc, 0, v[2:3]
	v_cmp_lt_i64_e64 s[8:9], 16, v[2:3]
	v_add3_u32 v47, v4, v47, v5
	s_branch .LBB80_7
.LBB80_6:                               ;   in Loop: Header=BB80_7 Depth=2
	s_or_b64 exec, exec, s[10:11]
	s_waitcnt lgkmcnt(0)
	s_barrier
	ds_read_b128 v[59:62], v53
	ds_read_b128 v[10:13], v53 offset:16
	ds_read_b128 v[6:9], v53 offset:32
	;; [unrolled: 1-line block ×3, first 2 shown]
	ds_read2_b64 v[38:41], v0 offset1:16
	s_add_u32 s26, s26, 32
	s_addc_u32 s27, s27, 0
	s_add_u32 s24, s24, 0x100
	s_addc_u32 s25, s25, 0
	s_waitcnt lgkmcnt(0)
	v_mul_f32_e32 v45, v60, v39
	v_mul_f32_e32 v63, v59, v39
	v_fma_f32 v45, v59, v38, -v45
	v_fmac_f32_e32 v63, v60, v38
	v_add_f32_e32 v45, v20, v45
	v_add_f32_e32 v63, v21, v63
	v_mul_f32_e32 v20, v60, v41
	v_mul_f32_e32 v21, v59, v41
	v_fma_f32 v20, v59, v40, -v20
	v_fmac_f32_e32 v21, v60, v40
	v_add_f32_e32 v59, v18, v20
	v_add_f32_e32 v60, v19, v21
	ds_read_b128 v[18:21], v53 offset:4096
	s_cmp_ge_i32 s26, s6
	s_waitcnt lgkmcnt(0)
	v_mul_f32_e32 v34, v19, v39
	v_mul_f32_e32 v35, v18, v39
	v_fma_f32 v34, v18, v38, -v34
	v_fmac_f32_e32 v35, v19, v38
	v_add_f32_e32 v34, v16, v34
	v_add_f32_e32 v35, v17, v35
	v_mul_f32_e32 v16, v19, v41
	v_mul_f32_e32 v17, v18, v41
	v_fma_f32 v16, v18, v40, -v16
	v_fmac_f32_e32 v17, v19, v40
	v_add_f32_e32 v18, v15, v16
	v_add_f32_e32 v19, v14, v17
	ds_read2_b64 v[14:17], v0 offset0:32 offset1:48
	s_waitcnt lgkmcnt(0)
	v_mul_f32_e32 v38, v62, v15
	v_fma_f32 v38, v61, v14, -v38
	v_mul_f32_e32 v39, v61, v15
	v_add_f32_e32 v38, v45, v38
	v_mul_f32_e32 v45, v21, v15
	v_mul_f32_e32 v15, v20, v15
	;; [unrolled: 1-line block ×3, first 2 shown]
	v_fmac_f32_e32 v15, v21, v14
	v_fmac_f32_e32 v39, v62, v14
	v_fma_f32 v40, v61, v16, -v40
	v_mul_f32_e32 v41, v61, v17
	v_fma_f32 v45, v20, v14, -v45
	v_add_f32_e32 v61, v35, v15
	v_mul_f32_e32 v14, v21, v17
	v_mul_f32_e32 v15, v20, v17
	v_fma_f32 v14, v20, v16, -v14
	v_fmac_f32_e32 v15, v21, v16
	v_add_f32_e32 v39, v63, v39
	v_fmac_f32_e32 v41, v62, v16
	v_add_f32_e32 v62, v18, v14
	v_add_f32_e32 v63, v19, v15
	ds_read2_b64 v[14:17], v0 offset0:64 offset1:80
	v_add_f32_e32 v40, v59, v40
	v_add_f32_e32 v41, v60, v41
	;; [unrolled: 1-line block ×3, first 2 shown]
	s_waitcnt lgkmcnt(0)
	v_mul_f32_e32 v18, v11, v15
	v_mul_f32_e32 v19, v10, v15
	v_fma_f32 v18, v10, v14, -v18
	v_fmac_f32_e32 v19, v11, v14
	v_add_f32_e32 v45, v38, v18
	v_add_f32_e32 v59, v39, v19
	v_mul_f32_e32 v18, v11, v17
	v_mul_f32_e32 v19, v10, v17
	v_fma_f32 v18, v10, v16, -v18
	v_fmac_f32_e32 v19, v11, v16
	v_add_f32_e32 v10, v40, v18
	v_add_f32_e32 v11, v41, v19
	ds_read_b128 v[18:21], v53 offset:4112
	s_waitcnt lgkmcnt(0)
	v_mul_f32_e32 v34, v19, v15
	v_mul_f32_e32 v15, v18, v15
	v_fmac_f32_e32 v15, v19, v14
	v_fma_f32 v34, v18, v14, -v34
	v_add_f32_e32 v35, v61, v15
	v_mul_f32_e32 v14, v19, v17
	v_mul_f32_e32 v15, v18, v17
	v_fma_f32 v14, v18, v16, -v14
	v_fmac_f32_e32 v15, v19, v16
	v_add_f32_e32 v18, v62, v14
	v_add_f32_e32 v19, v63, v15
	ds_read2_b64 v[14:17], v0 offset0:96 offset1:112
	v_add_f32_e32 v34, v60, v34
	s_waitcnt lgkmcnt(0)
	v_mul_f32_e32 v38, v13, v15
	v_mul_f32_e32 v40, v13, v17
	v_fma_f32 v38, v12, v14, -v38
	v_mul_f32_e32 v39, v12, v15
	v_fma_f32 v40, v12, v16, -v40
	v_mul_f32_e32 v12, v12, v17
	v_fmac_f32_e32 v12, v13, v16
	v_add_f32_e32 v40, v10, v40
	v_add_f32_e32 v41, v11, v12
	v_mul_f32_e32 v10, v21, v15
	v_mul_f32_e32 v11, v20, v15
	v_fma_f32 v10, v20, v14, -v10
	v_fmac_f32_e32 v11, v21, v14
	v_fmac_f32_e32 v39, v13, v14
	v_add_f32_e32 v14, v34, v10
	v_add_f32_e32 v15, v35, v11
	v_mul_f32_e32 v10, v21, v17
	v_mul_f32_e32 v11, v20, v17
	v_fma_f32 v10, v20, v16, -v10
	v_fmac_f32_e32 v11, v21, v16
	v_add_f32_e32 v20, v18, v10
	v_add_f32_e32 v21, v19, v11
	ds_read2_b64 v[10:13], v0 offset0:128 offset1:144
	v_add_f32_e32 v38, v45, v38
	v_add_f32_e32 v39, v59, v39
	s_waitcnt lgkmcnt(0)
	v_mul_f32_e32 v16, v7, v11
	v_fma_f32 v16, v6, v10, -v16
	v_mul_f32_e32 v17, v6, v11
	v_add_f32_e32 v34, v38, v16
	v_mul_f32_e32 v16, v7, v13
	v_fmac_f32_e32 v17, v7, v10
	v_fma_f32 v16, v6, v12, -v16
	v_mul_f32_e32 v6, v6, v13
	v_add_f32_e32 v35, v39, v17
	v_fmac_f32_e32 v6, v7, v12
	v_add_f32_e32 v7, v40, v16
	ds_read_b128 v[16:19], v53 offset:4128
	v_add_f32_e32 v6, v41, v6
	s_waitcnt lgkmcnt(0)
	v_mul_f32_e32 v38, v17, v11
	v_mul_f32_e32 v11, v16, v11
	v_fmac_f32_e32 v11, v17, v10
	v_fma_f32 v38, v16, v10, -v38
	v_add_f32_e32 v15, v15, v11
	v_mul_f32_e32 v10, v17, v13
	v_mul_f32_e32 v11, v16, v13
	v_fma_f32 v10, v16, v12, -v10
	v_fmac_f32_e32 v11, v17, v12
	v_add_f32_e32 v20, v20, v10
	v_add_f32_e32 v21, v21, v11
	ds_read2_b64 v[10:13], v0 offset0:160 offset1:176
	v_add_f32_e32 v14, v14, v38
	s_waitcnt lgkmcnt(0)
	v_mul_f32_e32 v16, v9, v11
	v_fma_f32 v16, v8, v10, -v16
	v_add_f32_e32 v34, v34, v16
	v_mul_f32_e32 v16, v9, v13
	v_mul_f32_e32 v17, v8, v11
	v_fma_f32 v16, v8, v12, -v16
	v_mul_f32_e32 v8, v8, v13
	v_fmac_f32_e32 v8, v9, v12
	v_add_f32_e32 v38, v7, v16
	v_add_f32_e32 v39, v6, v8
	v_mul_f32_e32 v6, v19, v11
	v_mul_f32_e32 v7, v18, v11
	v_fmac_f32_e32 v17, v9, v10
	v_fma_f32 v6, v18, v10, -v6
	v_fmac_f32_e32 v7, v19, v10
	v_add_f32_e32 v35, v35, v17
	v_add_f32_e32 v16, v14, v6
	;; [unrolled: 1-line block ×3, first 2 shown]
	v_mul_f32_e32 v6, v19, v13
	v_mul_f32_e32 v7, v18, v13
	v_fma_f32 v6, v18, v12, -v6
	v_fmac_f32_e32 v7, v19, v12
	v_add_f32_e32 v18, v20, v6
	v_add_f32_e32 v19, v21, v7
	ds_read2_b64 v[6:9], v0 offset0:192 offset1:208
	s_waitcnt lgkmcnt(0)
	v_mul_f32_e32 v10, v3, v7
	v_mul_f32_e32 v11, v2, v7
	v_fma_f32 v10, v2, v6, -v10
	v_fmac_f32_e32 v11, v3, v6
	v_add_f32_e32 v14, v34, v10
	v_add_f32_e32 v15, v35, v11
	v_mul_f32_e32 v10, v3, v9
	v_mul_f32_e32 v11, v2, v9
	v_fma_f32 v10, v2, v8, -v10
	v_fmac_f32_e32 v11, v3, v8
	v_add_f32_e32 v2, v38, v10
	v_add_f32_e32 v3, v39, v11
	ds_read_b128 v[10:13], v53 offset:4144
	s_waitcnt lgkmcnt(0)
	v_mul_f32_e32 v20, v11, v7
	v_mul_f32_e32 v7, v10, v7
	v_fmac_f32_e32 v7, v11, v6
	v_fma_f32 v20, v10, v6, -v20
	v_add_f32_e32 v17, v17, v7
	v_mul_f32_e32 v6, v11, v9
	v_mul_f32_e32 v7, v10, v9
	v_fma_f32 v6, v10, v8, -v6
	v_fmac_f32_e32 v7, v11, v8
	v_add_f32_e32 v10, v18, v6
	v_add_f32_e32 v11, v19, v7
	ds_read2_b64 v[6:9], v0 offset0:224 offset1:240
	v_add_f32_e32 v16, v16, v20
	s_waitcnt lgkmcnt(0)
	v_mul_f32_e32 v18, v5, v7
	v_fma_f32 v18, v4, v6, -v18
	v_add_f32_e32 v18, v14, v18
	v_mul_f32_e32 v14, v5, v9
	v_mul_f32_e32 v19, v4, v7
	v_fma_f32 v14, v4, v8, -v14
	v_mul_f32_e32 v4, v4, v9
	v_fmac_f32_e32 v19, v5, v6
	v_fmac_f32_e32 v4, v5, v8
	v_add_f32_e32 v15, v15, v19
	v_add_f32_e32 v19, v2, v14
	;; [unrolled: 1-line block ×3, first 2 shown]
	v_mul_f32_e32 v2, v13, v7
	v_mul_f32_e32 v3, v12, v7
	v_fma_f32 v2, v12, v6, -v2
	v_fmac_f32_e32 v3, v13, v6
	v_add_f32_e32 v21, v16, v2
	v_add_f32_e32 v34, v17, v3
	v_mul_f32_e32 v2, v13, v9
	v_mul_f32_e32 v3, v12, v9
	v_fma_f32 v2, v12, v8, -v2
	v_fmac_f32_e32 v3, v13, v8
	v_add_u32_e32 v14, 0x800, v0
	v_add_f32_e32 v10, v10, v2
	v_add_f32_e32 v11, v11, v3
	ds_read_b128 v[2:5], v53 offset:64
	ds_read2_b64 v[6:9], v14 offset1:16
	s_waitcnt lgkmcnt(0)
	v_mul_f32_e32 v13, v2, v7
	v_fmac_f32_e32 v13, v3, v6
	v_mul_f32_e32 v12, v3, v7
	v_add_f32_e32 v13, v15, v13
	v_mul_f32_e32 v15, v3, v9
	v_fma_f32 v12, v2, v6, -v12
	v_fma_f32 v15, v2, v8, -v15
	v_mul_f32_e32 v2, v2, v9
	v_add_f32_e32 v12, v18, v12
	v_fmac_f32_e32 v2, v3, v8
	v_add_f32_e32 v3, v19, v15
	ds_read_b128 v[15:18], v53 offset:4160
	v_add_f32_e32 v2, v20, v2
	s_waitcnt lgkmcnt(0)
	v_mul_f32_e32 v19, v16, v7
	v_mul_f32_e32 v7, v15, v7
	v_fmac_f32_e32 v7, v16, v6
	v_fma_f32 v19, v15, v6, -v19
	v_add_f32_e32 v20, v34, v7
	v_mul_f32_e32 v6, v16, v9
	v_mul_f32_e32 v7, v15, v9
	v_fma_f32 v6, v15, v8, -v6
	v_fmac_f32_e32 v7, v16, v8
	v_add_f32_e32 v19, v21, v19
	v_add_f32_e32 v21, v10, v6
	v_add_f32_e32 v34, v11, v7
	ds_read2_b64 v[6:9], v14 offset0:32 offset1:48
	s_waitcnt lgkmcnt(0)
	v_mul_f32_e32 v10, v5, v7
	v_fma_f32 v10, v4, v6, -v10
	v_add_f32_e32 v10, v12, v10
	v_mul_f32_e32 v12, v5, v9
	v_mul_f32_e32 v11, v4, v7
	v_fma_f32 v12, v4, v8, -v12
	v_mul_f32_e32 v4, v4, v9
	v_fmac_f32_e32 v11, v5, v6
	v_fmac_f32_e32 v4, v5, v8
	v_add_f32_e32 v11, v13, v11
	v_add_f32_e32 v12, v3, v12
	;; [unrolled: 1-line block ×3, first 2 shown]
	v_mul_f32_e32 v2, v18, v7
	v_mul_f32_e32 v3, v17, v7
	v_fma_f32 v2, v17, v6, -v2
	v_fmac_f32_e32 v3, v18, v6
	v_add_f32_e32 v15, v19, v2
	v_add_f32_e32 v16, v20, v3
	v_mul_f32_e32 v2, v18, v9
	v_mul_f32_e32 v3, v17, v9
	v_fma_f32 v2, v17, v8, -v2
	v_fmac_f32_e32 v3, v18, v8
	v_add_f32_e32 v17, v21, v2
	v_add_f32_e32 v18, v34, v3
	ds_read_b128 v[2:5], v53 offset:80
	ds_read2_b64 v[6:9], v14 offset0:64 offset1:80
	s_waitcnt lgkmcnt(0)
	v_mul_f32_e32 v19, v3, v7
	v_mul_f32_e32 v20, v2, v7
	v_fma_f32 v19, v2, v6, -v19
	v_fmac_f32_e32 v20, v3, v6
	v_add_f32_e32 v19, v10, v19
	v_add_f32_e32 v20, v11, v20
	v_mul_f32_e32 v10, v3, v9
	v_mul_f32_e32 v11, v2, v9
	v_fma_f32 v10, v2, v8, -v10
	v_fmac_f32_e32 v11, v3, v8
	v_add_f32_e32 v2, v12, v10
	v_add_f32_e32 v3, v13, v11
	ds_read_b128 v[10:13], v53 offset:4176
	s_waitcnt lgkmcnt(0)
	v_mul_f32_e32 v21, v11, v7
	v_mul_f32_e32 v7, v10, v7
	v_fmac_f32_e32 v7, v11, v6
	v_fma_f32 v21, v10, v6, -v21
	v_add_f32_e32 v16, v16, v7
	v_mul_f32_e32 v6, v11, v9
	v_mul_f32_e32 v7, v10, v9
	v_fma_f32 v6, v10, v8, -v6
	v_fmac_f32_e32 v7, v11, v8
	v_add_f32_e32 v10, v17, v6
	v_add_f32_e32 v11, v18, v7
	ds_read2_b64 v[6:9], v14 offset0:96 offset1:112
	v_add_f32_e32 v15, v15, v21
	s_waitcnt lgkmcnt(0)
	v_mul_f32_e32 v17, v5, v7
	v_fma_f32 v17, v4, v6, -v17
	v_add_f32_e32 v17, v19, v17
	v_mul_f32_e32 v19, v5, v9
	v_mul_f32_e32 v18, v4, v7
	v_fma_f32 v19, v4, v8, -v19
	v_mul_f32_e32 v4, v4, v9
	v_fmac_f32_e32 v18, v5, v6
	v_fmac_f32_e32 v4, v5, v8
	v_add_f32_e32 v18, v20, v18
	v_add_f32_e32 v19, v2, v19
	;; [unrolled: 1-line block ×3, first 2 shown]
	v_mul_f32_e32 v2, v13, v7
	v_mul_f32_e32 v3, v12, v7
	v_fma_f32 v2, v12, v6, -v2
	v_fmac_f32_e32 v3, v13, v6
	v_add_f32_e32 v21, v15, v2
	v_add_f32_e32 v34, v16, v3
	v_mul_f32_e32 v2, v13, v9
	v_mul_f32_e32 v3, v12, v9
	v_fma_f32 v2, v12, v8, -v2
	v_fmac_f32_e32 v3, v13, v8
	v_add_f32_e32 v10, v10, v2
	v_add_f32_e32 v11, v11, v3
	ds_read_b128 v[2:5], v53 offset:96
	ds_read2_b64 v[6:9], v14 offset0:128 offset1:144
	s_waitcnt lgkmcnt(0)
	v_mul_f32_e32 v12, v3, v7
	v_mul_f32_e32 v13, v2, v7
	;; [unrolled: 1-line block ×3, first 2 shown]
	v_fma_f32 v12, v2, v6, -v12
	v_fmac_f32_e32 v13, v3, v6
	v_fma_f32 v15, v2, v8, -v15
	v_mul_f32_e32 v2, v2, v9
	v_add_f32_e32 v12, v17, v12
	v_add_f32_e32 v13, v18, v13
	v_fmac_f32_e32 v2, v3, v8
	v_add_f32_e32 v3, v19, v15
	ds_read_b128 v[15:18], v53 offset:4192
	v_add_f32_e32 v2, v20, v2
	s_waitcnt lgkmcnt(0)
	v_mul_f32_e32 v19, v16, v7
	v_mul_f32_e32 v7, v15, v7
	v_fmac_f32_e32 v7, v16, v6
	v_fma_f32 v19, v15, v6, -v19
	v_add_f32_e32 v20, v34, v7
	v_mul_f32_e32 v6, v16, v9
	v_mul_f32_e32 v7, v15, v9
	v_fma_f32 v6, v15, v8, -v6
	v_fmac_f32_e32 v7, v16, v8
	v_add_f32_e32 v19, v21, v19
	v_add_f32_e32 v21, v10, v6
	;; [unrolled: 1-line block ×3, first 2 shown]
	ds_read2_b64 v[6:9], v14 offset0:160 offset1:176
	s_waitcnt lgkmcnt(0)
	v_mul_f32_e32 v10, v5, v7
	v_fma_f32 v10, v4, v6, -v10
	v_add_f32_e32 v10, v12, v10
	v_mul_f32_e32 v12, v5, v9
	v_mul_f32_e32 v11, v4, v7
	v_fma_f32 v12, v4, v8, -v12
	v_mul_f32_e32 v4, v4, v9
	v_fmac_f32_e32 v11, v5, v6
	v_fmac_f32_e32 v4, v5, v8
	v_add_f32_e32 v11, v13, v11
	v_add_f32_e32 v12, v3, v12
	;; [unrolled: 1-line block ×3, first 2 shown]
	v_mul_f32_e32 v2, v18, v7
	v_mul_f32_e32 v3, v17, v7
	v_fma_f32 v2, v17, v6, -v2
	v_fmac_f32_e32 v3, v18, v6
	v_add_f32_e32 v15, v19, v2
	v_add_f32_e32 v16, v20, v3
	v_mul_f32_e32 v2, v18, v9
	v_mul_f32_e32 v3, v17, v9
	v_fma_f32 v2, v17, v8, -v2
	v_fmac_f32_e32 v3, v18, v8
	v_add_f32_e32 v17, v21, v2
	v_add_f32_e32 v18, v34, v3
	ds_read_b128 v[2:5], v53 offset:112
	ds_read2_b64 v[6:9], v14 offset0:192 offset1:208
	s_waitcnt lgkmcnt(0)
	v_mul_f32_e32 v19, v3, v7
	v_mul_f32_e32 v20, v2, v7
	v_fma_f32 v19, v2, v6, -v19
	v_fmac_f32_e32 v20, v3, v6
	v_add_f32_e32 v19, v10, v19
	v_add_f32_e32 v20, v11, v20
	v_mul_f32_e32 v10, v3, v9
	v_mul_f32_e32 v11, v2, v9
	v_fma_f32 v10, v2, v8, -v10
	v_fmac_f32_e32 v11, v3, v8
	v_add_f32_e32 v2, v12, v10
	v_add_f32_e32 v3, v13, v11
	ds_read_b128 v[10:13], v53 offset:4208
	s_waitcnt lgkmcnt(0)
	v_mul_f32_e32 v21, v11, v7
	v_mul_f32_e32 v7, v10, v7
	v_fmac_f32_e32 v7, v11, v6
	v_fma_f32 v21, v10, v6, -v21
	v_add_f32_e32 v16, v16, v7
	v_mul_f32_e32 v6, v11, v9
	v_mul_f32_e32 v7, v10, v9
	v_fma_f32 v6, v10, v8, -v6
	v_fmac_f32_e32 v7, v11, v8
	v_add_f32_e32 v10, v17, v6
	v_add_f32_e32 v11, v18, v7
	ds_read2_b64 v[6:9], v14 offset0:224 offset1:240
	v_add_f32_e32 v15, v15, v21
	s_waitcnt lgkmcnt(0)
	v_mul_f32_e32 v14, v5, v7
	v_fma_f32 v14, v4, v6, -v14
	v_add_f32_e32 v18, v19, v14
	v_mul_f32_e32 v14, v5, v9
	v_mul_f32_e32 v17, v4, v7
	v_fma_f32 v14, v4, v8, -v14
	v_mul_f32_e32 v4, v4, v9
	v_fmac_f32_e32 v17, v5, v6
	v_fmac_f32_e32 v4, v5, v8
	v_add_f32_e32 v17, v20, v17
	v_add_f32_e32 v19, v2, v14
	;; [unrolled: 1-line block ×3, first 2 shown]
	v_mul_f32_e32 v2, v13, v7
	v_mul_f32_e32 v3, v12, v7
	v_fma_f32 v2, v12, v6, -v2
	v_fmac_f32_e32 v3, v13, v6
	v_add_f32_e32 v21, v15, v2
	v_add_f32_e32 v34, v16, v3
	v_mul_f32_e32 v2, v13, v9
	v_mul_f32_e32 v3, v12, v9
	v_fma_f32 v2, v12, v8, -v2
	v_fmac_f32_e32 v3, v13, v8
	v_add_u32_e32 v14, 0x1000, v0
	v_add_f32_e32 v10, v10, v2
	v_add_f32_e32 v11, v11, v3
	ds_read_b128 v[2:5], v53 offset:128
	ds_read2_b64 v[6:9], v14 offset1:16
	s_waitcnt lgkmcnt(0)
	v_mul_f32_e32 v12, v3, v7
	v_mul_f32_e32 v13, v2, v7
	;; [unrolled: 1-line block ×3, first 2 shown]
	v_fma_f32 v12, v2, v6, -v12
	v_fmac_f32_e32 v13, v3, v6
	v_fma_f32 v15, v2, v8, -v15
	v_mul_f32_e32 v2, v2, v9
	v_add_f32_e32 v12, v18, v12
	v_add_f32_e32 v13, v17, v13
	v_fmac_f32_e32 v2, v3, v8
	v_add_f32_e32 v3, v19, v15
	ds_read_b128 v[15:18], v53 offset:4224
	v_add_f32_e32 v2, v20, v2
	s_waitcnt lgkmcnt(0)
	v_mul_f32_e32 v19, v16, v7
	v_mul_f32_e32 v7, v15, v7
	v_fmac_f32_e32 v7, v16, v6
	v_fma_f32 v19, v15, v6, -v19
	v_add_f32_e32 v20, v34, v7
	v_mul_f32_e32 v6, v16, v9
	v_mul_f32_e32 v7, v15, v9
	v_fma_f32 v6, v15, v8, -v6
	v_fmac_f32_e32 v7, v16, v8
	v_add_f32_e32 v19, v21, v19
	v_add_f32_e32 v21, v10, v6
	;; [unrolled: 1-line block ×3, first 2 shown]
	ds_read2_b64 v[6:9], v14 offset0:32 offset1:48
	s_waitcnt lgkmcnt(0)
	v_mul_f32_e32 v10, v5, v7
	v_fma_f32 v10, v4, v6, -v10
	v_add_f32_e32 v10, v12, v10
	v_mul_f32_e32 v12, v5, v9
	v_mul_f32_e32 v11, v4, v7
	v_fma_f32 v12, v4, v8, -v12
	v_mul_f32_e32 v4, v4, v9
	v_fmac_f32_e32 v11, v5, v6
	v_fmac_f32_e32 v4, v5, v8
	v_add_f32_e32 v11, v13, v11
	v_add_f32_e32 v12, v3, v12
	;; [unrolled: 1-line block ×3, first 2 shown]
	v_mul_f32_e32 v2, v18, v7
	v_mul_f32_e32 v3, v17, v7
	v_fma_f32 v2, v17, v6, -v2
	v_fmac_f32_e32 v3, v18, v6
	v_add_f32_e32 v15, v19, v2
	v_add_f32_e32 v16, v20, v3
	v_mul_f32_e32 v2, v18, v9
	v_mul_f32_e32 v3, v17, v9
	v_fma_f32 v2, v17, v8, -v2
	v_fmac_f32_e32 v3, v18, v8
	v_add_f32_e32 v17, v21, v2
	v_add_f32_e32 v18, v34, v3
	ds_read_b128 v[2:5], v53 offset:144
	ds_read2_b64 v[6:9], v14 offset0:64 offset1:80
	s_waitcnt lgkmcnt(0)
	v_mul_f32_e32 v19, v3, v7
	v_mul_f32_e32 v20, v2, v7
	v_fma_f32 v19, v2, v6, -v19
	v_fmac_f32_e32 v20, v3, v6
	v_add_f32_e32 v19, v10, v19
	v_add_f32_e32 v20, v11, v20
	v_mul_f32_e32 v10, v3, v9
	v_mul_f32_e32 v11, v2, v9
	v_fma_f32 v10, v2, v8, -v10
	v_fmac_f32_e32 v11, v3, v8
	v_add_f32_e32 v2, v12, v10
	v_add_f32_e32 v3, v13, v11
	ds_read_b128 v[10:13], v53 offset:4240
	s_waitcnt lgkmcnt(0)
	v_mul_f32_e32 v21, v11, v7
	v_mul_f32_e32 v7, v10, v7
	v_fmac_f32_e32 v7, v11, v6
	v_fma_f32 v21, v10, v6, -v21
	v_add_f32_e32 v16, v16, v7
	v_mul_f32_e32 v6, v11, v9
	v_mul_f32_e32 v7, v10, v9
	v_fma_f32 v6, v10, v8, -v6
	v_fmac_f32_e32 v7, v11, v8
	v_add_f32_e32 v10, v17, v6
	v_add_f32_e32 v11, v18, v7
	ds_read2_b64 v[6:9], v14 offset0:96 offset1:112
	v_add_f32_e32 v15, v15, v21
	s_waitcnt lgkmcnt(0)
	v_mul_f32_e32 v17, v5, v7
	v_fma_f32 v17, v4, v6, -v17
	v_add_f32_e32 v17, v19, v17
	v_mul_f32_e32 v19, v5, v9
	v_mul_f32_e32 v18, v4, v7
	v_fma_f32 v19, v4, v8, -v19
	v_mul_f32_e32 v4, v4, v9
	v_fmac_f32_e32 v18, v5, v6
	v_fmac_f32_e32 v4, v5, v8
	v_add_f32_e32 v18, v20, v18
	v_add_f32_e32 v19, v2, v19
	;; [unrolled: 1-line block ×3, first 2 shown]
	v_mul_f32_e32 v2, v13, v7
	v_mul_f32_e32 v3, v12, v7
	v_fma_f32 v2, v12, v6, -v2
	v_fmac_f32_e32 v3, v13, v6
	v_add_f32_e32 v21, v15, v2
	v_add_f32_e32 v34, v16, v3
	v_mul_f32_e32 v2, v13, v9
	v_mul_f32_e32 v3, v12, v9
	v_fma_f32 v2, v12, v8, -v2
	v_fmac_f32_e32 v3, v13, v8
	v_add_f32_e32 v10, v10, v2
	v_add_f32_e32 v11, v11, v3
	ds_read_b128 v[2:5], v53 offset:160
	ds_read2_b64 v[6:9], v14 offset0:128 offset1:144
	s_waitcnt lgkmcnt(0)
	v_mul_f32_e32 v12, v3, v7
	v_mul_f32_e32 v13, v2, v7
	;; [unrolled: 1-line block ×3, first 2 shown]
	v_fma_f32 v12, v2, v6, -v12
	v_fmac_f32_e32 v13, v3, v6
	v_fma_f32 v15, v2, v8, -v15
	v_mul_f32_e32 v2, v2, v9
	v_add_f32_e32 v12, v17, v12
	v_add_f32_e32 v13, v18, v13
	v_fmac_f32_e32 v2, v3, v8
	v_add_f32_e32 v3, v19, v15
	ds_read_b128 v[15:18], v53 offset:4256
	v_add_f32_e32 v2, v20, v2
	s_waitcnt lgkmcnt(0)
	v_mul_f32_e32 v19, v16, v7
	v_mul_f32_e32 v7, v15, v7
	v_fmac_f32_e32 v7, v16, v6
	v_fma_f32 v19, v15, v6, -v19
	v_add_f32_e32 v20, v34, v7
	v_mul_f32_e32 v6, v16, v9
	v_mul_f32_e32 v7, v15, v9
	v_fma_f32 v6, v15, v8, -v6
	v_fmac_f32_e32 v7, v16, v8
	v_add_f32_e32 v19, v21, v19
	v_add_f32_e32 v21, v10, v6
	;; [unrolled: 1-line block ×3, first 2 shown]
	ds_read2_b64 v[6:9], v14 offset0:160 offset1:176
	s_waitcnt lgkmcnt(0)
	v_mul_f32_e32 v10, v5, v7
	v_fma_f32 v10, v4, v6, -v10
	v_add_f32_e32 v10, v12, v10
	v_mul_f32_e32 v12, v5, v9
	v_mul_f32_e32 v11, v4, v7
	v_fma_f32 v12, v4, v8, -v12
	v_mul_f32_e32 v4, v4, v9
	v_fmac_f32_e32 v11, v5, v6
	v_fmac_f32_e32 v4, v5, v8
	v_add_f32_e32 v11, v13, v11
	v_add_f32_e32 v12, v3, v12
	;; [unrolled: 1-line block ×3, first 2 shown]
	v_mul_f32_e32 v2, v18, v7
	v_mul_f32_e32 v3, v17, v7
	v_fma_f32 v2, v17, v6, -v2
	v_fmac_f32_e32 v3, v18, v6
	v_add_f32_e32 v15, v19, v2
	v_add_f32_e32 v16, v20, v3
	v_mul_f32_e32 v2, v18, v9
	v_mul_f32_e32 v3, v17, v9
	v_fma_f32 v2, v17, v8, -v2
	v_fmac_f32_e32 v3, v18, v8
	v_add_f32_e32 v17, v21, v2
	v_add_f32_e32 v18, v34, v3
	ds_read_b128 v[2:5], v53 offset:176
	ds_read2_b64 v[6:9], v14 offset0:192 offset1:208
	s_waitcnt lgkmcnt(0)
	v_mul_f32_e32 v19, v3, v7
	v_mul_f32_e32 v20, v2, v7
	v_fma_f32 v19, v2, v6, -v19
	v_fmac_f32_e32 v20, v3, v6
	v_add_f32_e32 v19, v10, v19
	v_add_f32_e32 v20, v11, v20
	v_mul_f32_e32 v10, v3, v9
	v_mul_f32_e32 v11, v2, v9
	v_fma_f32 v10, v2, v8, -v10
	v_fmac_f32_e32 v11, v3, v8
	v_add_f32_e32 v2, v12, v10
	v_add_f32_e32 v3, v13, v11
	ds_read_b128 v[10:13], v53 offset:4272
	s_waitcnt lgkmcnt(0)
	v_mul_f32_e32 v21, v11, v7
	v_mul_f32_e32 v7, v10, v7
	v_fmac_f32_e32 v7, v11, v6
	v_fma_f32 v21, v10, v6, -v21
	v_add_f32_e32 v16, v16, v7
	v_mul_f32_e32 v6, v11, v9
	v_mul_f32_e32 v7, v10, v9
	v_fma_f32 v6, v10, v8, -v6
	v_fmac_f32_e32 v7, v11, v8
	v_add_f32_e32 v10, v17, v6
	v_add_f32_e32 v11, v18, v7
	ds_read2_b64 v[6:9], v14 offset0:224 offset1:240
	v_add_f32_e32 v15, v15, v21
	s_waitcnt lgkmcnt(0)
	v_mul_f32_e32 v14, v5, v7
	v_fma_f32 v14, v4, v6, -v14
	v_add_f32_e32 v18, v19, v14
	v_mul_f32_e32 v14, v5, v9
	v_mul_f32_e32 v17, v4, v7
	v_fma_f32 v14, v4, v8, -v14
	v_mul_f32_e32 v4, v4, v9
	v_fmac_f32_e32 v17, v5, v6
	v_fmac_f32_e32 v4, v5, v8
	v_add_f32_e32 v17, v20, v17
	v_add_f32_e32 v19, v2, v14
	;; [unrolled: 1-line block ×3, first 2 shown]
	v_mul_f32_e32 v2, v13, v7
	v_mul_f32_e32 v3, v12, v7
	v_fma_f32 v2, v12, v6, -v2
	v_fmac_f32_e32 v3, v13, v6
	v_add_f32_e32 v21, v15, v2
	v_add_f32_e32 v34, v16, v3
	v_mul_f32_e32 v2, v13, v9
	v_mul_f32_e32 v3, v12, v9
	v_fma_f32 v2, v12, v8, -v2
	v_fmac_f32_e32 v3, v13, v8
	v_add_u32_e32 v14, 0x1800, v0
	v_add_f32_e32 v10, v10, v2
	v_add_f32_e32 v11, v11, v3
	ds_read_b128 v[2:5], v53 offset:192
	ds_read2_b64 v[6:9], v14 offset1:16
	s_waitcnt lgkmcnt(0)
	v_mul_f32_e32 v12, v3, v7
	v_mul_f32_e32 v13, v2, v7
	;; [unrolled: 1-line block ×3, first 2 shown]
	v_fma_f32 v12, v2, v6, -v12
	v_fmac_f32_e32 v13, v3, v6
	v_fma_f32 v15, v2, v8, -v15
	v_mul_f32_e32 v2, v2, v9
	v_add_f32_e32 v12, v18, v12
	v_add_f32_e32 v13, v17, v13
	v_fmac_f32_e32 v2, v3, v8
	v_add_f32_e32 v3, v19, v15
	ds_read_b128 v[15:18], v53 offset:4288
	v_add_f32_e32 v2, v20, v2
	s_waitcnt lgkmcnt(0)
	v_mul_f32_e32 v19, v16, v7
	v_mul_f32_e32 v7, v15, v7
	v_fmac_f32_e32 v7, v16, v6
	v_fma_f32 v19, v15, v6, -v19
	v_add_f32_e32 v20, v34, v7
	v_mul_f32_e32 v6, v16, v9
	v_mul_f32_e32 v7, v15, v9
	v_fma_f32 v6, v15, v8, -v6
	v_fmac_f32_e32 v7, v16, v8
	v_add_f32_e32 v19, v21, v19
	v_add_f32_e32 v21, v10, v6
	;; [unrolled: 1-line block ×3, first 2 shown]
	ds_read2_b64 v[6:9], v14 offset0:32 offset1:48
	s_waitcnt lgkmcnt(0)
	v_mul_f32_e32 v10, v5, v7
	v_fma_f32 v10, v4, v6, -v10
	v_add_f32_e32 v10, v12, v10
	v_mul_f32_e32 v12, v5, v9
	v_mul_f32_e32 v11, v4, v7
	v_fma_f32 v12, v4, v8, -v12
	v_mul_f32_e32 v4, v4, v9
	v_fmac_f32_e32 v11, v5, v6
	v_fmac_f32_e32 v4, v5, v8
	v_add_f32_e32 v11, v13, v11
	v_add_f32_e32 v12, v3, v12
	v_add_f32_e32 v13, v2, v4
	v_mul_f32_e32 v2, v18, v7
	v_mul_f32_e32 v3, v17, v7
	v_fma_f32 v2, v17, v6, -v2
	v_fmac_f32_e32 v3, v18, v6
	v_add_f32_e32 v15, v19, v2
	v_add_f32_e32 v16, v20, v3
	v_mul_f32_e32 v2, v18, v9
	v_mul_f32_e32 v3, v17, v9
	v_fma_f32 v2, v17, v8, -v2
	v_fmac_f32_e32 v3, v18, v8
	v_add_f32_e32 v17, v21, v2
	v_add_f32_e32 v18, v34, v3
	ds_read_b128 v[2:5], v53 offset:208
	ds_read2_b64 v[6:9], v14 offset0:64 offset1:80
	s_waitcnt lgkmcnt(0)
	v_mul_f32_e32 v19, v3, v7
	v_mul_f32_e32 v20, v2, v7
	v_fma_f32 v19, v2, v6, -v19
	v_fmac_f32_e32 v20, v3, v6
	v_add_f32_e32 v19, v10, v19
	v_add_f32_e32 v20, v11, v20
	v_mul_f32_e32 v10, v3, v9
	v_mul_f32_e32 v11, v2, v9
	v_fma_f32 v10, v2, v8, -v10
	v_fmac_f32_e32 v11, v3, v8
	v_add_f32_e32 v2, v12, v10
	v_add_f32_e32 v3, v13, v11
	ds_read_b128 v[10:13], v53 offset:4304
	s_waitcnt lgkmcnt(0)
	v_mul_f32_e32 v21, v11, v7
	v_mul_f32_e32 v7, v10, v7
	v_fmac_f32_e32 v7, v11, v6
	v_fma_f32 v21, v10, v6, -v21
	v_add_f32_e32 v16, v16, v7
	v_mul_f32_e32 v6, v11, v9
	v_mul_f32_e32 v7, v10, v9
	v_fma_f32 v6, v10, v8, -v6
	v_fmac_f32_e32 v7, v11, v8
	v_add_f32_e32 v10, v17, v6
	v_add_f32_e32 v11, v18, v7
	ds_read2_b64 v[6:9], v14 offset0:96 offset1:112
	v_add_f32_e32 v15, v15, v21
	s_waitcnt lgkmcnt(0)
	v_mul_f32_e32 v17, v5, v7
	v_fma_f32 v17, v4, v6, -v17
	v_add_f32_e32 v17, v19, v17
	v_mul_f32_e32 v19, v5, v9
	v_mul_f32_e32 v18, v4, v7
	v_fma_f32 v19, v4, v8, -v19
	v_mul_f32_e32 v4, v4, v9
	v_fmac_f32_e32 v18, v5, v6
	v_fmac_f32_e32 v4, v5, v8
	v_add_f32_e32 v18, v20, v18
	v_add_f32_e32 v19, v2, v19
	;; [unrolled: 1-line block ×3, first 2 shown]
	v_mul_f32_e32 v2, v13, v7
	v_mul_f32_e32 v3, v12, v7
	v_fma_f32 v2, v12, v6, -v2
	v_fmac_f32_e32 v3, v13, v6
	v_add_f32_e32 v21, v15, v2
	v_add_f32_e32 v34, v16, v3
	v_mul_f32_e32 v2, v13, v9
	v_mul_f32_e32 v3, v12, v9
	v_fma_f32 v2, v12, v8, -v2
	v_fmac_f32_e32 v3, v13, v8
	v_add_f32_e32 v10, v10, v2
	v_add_f32_e32 v11, v11, v3
	ds_read_b128 v[2:5], v53 offset:224
	ds_read2_b64 v[6:9], v14 offset0:128 offset1:144
	s_waitcnt lgkmcnt(0)
	v_mul_f32_e32 v12, v3, v7
	v_mul_f32_e32 v13, v2, v7
	v_mul_f32_e32 v15, v3, v9
	v_fma_f32 v12, v2, v6, -v12
	v_fmac_f32_e32 v13, v3, v6
	v_fma_f32 v15, v2, v8, -v15
	v_mul_f32_e32 v2, v2, v9
	v_add_f32_e32 v12, v17, v12
	v_add_f32_e32 v13, v18, v13
	v_fmac_f32_e32 v2, v3, v8
	v_add_f32_e32 v3, v19, v15
	ds_read_b128 v[15:18], v53 offset:4320
	v_add_f32_e32 v2, v20, v2
	s_waitcnt lgkmcnt(0)
	v_mul_f32_e32 v19, v16, v7
	v_mul_f32_e32 v7, v15, v7
	v_fmac_f32_e32 v7, v16, v6
	v_fma_f32 v19, v15, v6, -v19
	v_add_f32_e32 v20, v34, v7
	v_mul_f32_e32 v6, v16, v9
	v_mul_f32_e32 v7, v15, v9
	v_fma_f32 v6, v15, v8, -v6
	v_fmac_f32_e32 v7, v16, v8
	v_add_f32_e32 v19, v21, v19
	v_add_f32_e32 v21, v10, v6
	;; [unrolled: 1-line block ×3, first 2 shown]
	ds_read2_b64 v[6:9], v14 offset0:160 offset1:176
	s_waitcnt lgkmcnt(0)
	v_mul_f32_e32 v10, v5, v7
	v_fma_f32 v10, v4, v6, -v10
	v_add_f32_e32 v10, v12, v10
	v_mul_f32_e32 v12, v5, v9
	v_mul_f32_e32 v11, v4, v7
	v_fma_f32 v12, v4, v8, -v12
	v_mul_f32_e32 v4, v4, v9
	v_fmac_f32_e32 v11, v5, v6
	v_fmac_f32_e32 v4, v5, v8
	v_add_f32_e32 v11, v13, v11
	v_add_f32_e32 v12, v3, v12
	;; [unrolled: 1-line block ×3, first 2 shown]
	v_mul_f32_e32 v2, v18, v7
	v_mul_f32_e32 v3, v17, v7
	v_fma_f32 v2, v17, v6, -v2
	v_fmac_f32_e32 v3, v18, v6
	v_add_f32_e32 v15, v19, v2
	v_add_f32_e32 v16, v20, v3
	v_mul_f32_e32 v2, v18, v9
	v_mul_f32_e32 v3, v17, v9
	v_fma_f32 v2, v17, v8, -v2
	v_fmac_f32_e32 v3, v18, v8
	v_add_f32_e32 v17, v21, v2
	v_add_f32_e32 v18, v34, v3
	ds_read_b128 v[2:5], v53 offset:240
	ds_read2_b64 v[6:9], v14 offset0:192 offset1:208
	s_waitcnt lgkmcnt(0)
	v_mul_f32_e32 v19, v3, v7
	v_mul_f32_e32 v20, v2, v7
	v_fma_f32 v19, v2, v6, -v19
	v_fmac_f32_e32 v20, v3, v6
	v_add_f32_e32 v19, v10, v19
	v_add_f32_e32 v21, v11, v20
	v_mul_f32_e32 v10, v3, v9
	v_mul_f32_e32 v11, v2, v9
	v_fma_f32 v10, v2, v8, -v10
	v_fmac_f32_e32 v11, v3, v8
	v_add_f32_e32 v2, v12, v10
	v_add_f32_e32 v3, v13, v11
	ds_read_b128 v[10:13], v53 offset:4336
	s_waitcnt lgkmcnt(0)
	v_mul_f32_e32 v20, v11, v7
	v_mul_f32_e32 v7, v10, v7
	v_fmac_f32_e32 v7, v11, v6
	v_fma_f32 v20, v10, v6, -v20
	v_add_f32_e32 v34, v16, v7
	v_mul_f32_e32 v6, v11, v9
	v_mul_f32_e32 v7, v10, v9
	v_fma_f32 v6, v10, v8, -v6
	v_fmac_f32_e32 v7, v11, v8
	v_add_f32_e32 v10, v17, v6
	v_add_f32_e32 v11, v18, v7
	ds_read2_b64 v[6:9], v14 offset0:224 offset1:240
	v_add_f32_e32 v15, v15, v20
	s_waitcnt lgkmcnt(0)
	s_barrier
	v_mul_f32_e32 v14, v5, v7
	v_fma_f32 v14, v4, v6, -v14
	v_add_f32_e32 v20, v19, v14
	v_mul_f32_e32 v14, v5, v9
	v_mul_f32_e32 v16, v4, v7
	v_fma_f32 v14, v4, v8, -v14
	v_mul_f32_e32 v4, v4, v9
	v_fmac_f32_e32 v4, v5, v8
	v_add_f32_e32 v18, v2, v14
	v_add_f32_e32 v19, v3, v4
	v_mul_f32_e32 v2, v13, v7
	v_mul_f32_e32 v3, v12, v7
	v_fmac_f32_e32 v16, v5, v6
	v_fma_f32 v2, v12, v6, -v2
	v_fmac_f32_e32 v3, v13, v6
	v_add_f32_e32 v21, v21, v16
	v_add_f32_e32 v16, v15, v2
	v_add_f32_e32 v17, v34, v3
	v_mul_f32_e32 v2, v13, v9
	v_mul_f32_e32 v3, v12, v9
	v_fma_f32 v2, v12, v8, -v2
	v_fmac_f32_e32 v3, v13, v8
	v_add_f32_e32 v15, v10, v2
	v_add_f32_e32 v14, v11, v3
	s_cbranch_scc1 .LBB80_56
.LBB80_7:                               ;   Parent Loop BB80_4 Depth=1
                                        ; =>  This Inner Loop Header: Depth=2
	v_mov_b32_e32 v2, s27
	v_add_co_u32_e64 v4, s[10:11], s26, v24
	v_addc_co_u32_e64 v5, s[10:11], v25, v2, s[10:11]
	v_mov_b32_e32 v3, s25
	v_add_co_u32_e64 v2, s[10:11], s24, v50
	v_addc_co_u32_e64 v3, s[10:11], v51, v3, s[10:11]
	v_cmp_le_i64_e64 s[12:13], s[42:43], v[4:5]
	v_cmp_eq_u64_e64 s[16:17], s[26:27], v[30:31]
	v_cmp_lt_i64_e64 s[10:11], v[4:5], v[22:23]
	s_and_b64 s[38:39], s[40:41], s[16:17]
	s_or_b64 s[16:17], s[12:13], s[10:11]
	s_or_b64 s[16:17], s[16:17], s[38:39]
	s_nor_b64 s[16:17], s[0:1], s[16:17]
	s_and_saveexec_b64 s[18:19], s[16:17]
	s_xor_b64 s[16:17], exec, s[18:19]
	s_cbranch_execz .LBB80_9
; %bb.8:                                ;   in Loop: Header=BB80_7 Depth=2
	global_load_dwordx2 v[6:7], v[2:3], off
	s_waitcnt vmcnt(0)
	v_xor_b32_e32 v7, 0x80000000, v7
	ds_write_b64 v52, v[6:7]
.LBB80_9:                               ;   in Loop: Header=BB80_7 Depth=2
	s_or_saveexec_b64 s[16:17], s[16:17]
	s_xor_b64 s[28:29], s[38:39], -1
	s_xor_b64 exec, exec, s[16:17]
	s_cbranch_execz .LBB80_15
; %bb.10:                               ;   in Loop: Header=BB80_7 Depth=2
	s_and_saveexec_b64 s[18:19], s[28:29]
	s_xor_b64 s[18:19], exec, s[18:19]
; %bb.11:                               ;   in Loop: Header=BB80_7 Depth=2
	v_mov_b32_e32 v6, v43
	v_mov_b32_e32 v7, v43
	ds_write_b64 v52, v[6:7]
; %bb.12:                               ;   in Loop: Header=BB80_7 Depth=2
	s_andn2_saveexec_b64 s[18:19], s[18:19]
; %bb.13:                               ;   in Loop: Header=BB80_7 Depth=2
	ds_write_b64 v52, v[42:43]
; %bb.14:                               ;   in Loop: Header=BB80_7 Depth=2
	s_or_b64 exec, exec, s[18:19]
.LBB80_15:                              ;   in Loop: Header=BB80_7 Depth=2
	s_or_b64 exec, exec, s[16:17]
	v_cmp_eq_u64_e64 s[16:17], s[26:27], v[32:33]
	v_cmp_gt_i64_e64 s[18:19], v[26:27], v[4:5]
	s_and_b64 s[16:17], s[40:41], s[16:17]
	s_or_b64 s[12:13], s[12:13], s[18:19]
	s_or_b64 s[12:13], s[12:13], s[16:17]
	s_nor_b64 s[12:13], s[2:3], s[12:13]
	s_and_saveexec_b64 s[18:19], s[12:13]
	s_xor_b64 s[18:19], exec, s[18:19]
	s_cbranch_execz .LBB80_17
; %bb.16:                               ;   in Loop: Header=BB80_7 Depth=2
	v_mov_b32_e32 v7, s25
	v_add_co_u32_e64 v6, s[12:13], s24, v54
	v_addc_co_u32_e64 v7, s[12:13], v55, v7, s[12:13]
	global_load_dwordx2 v[6:7], v[6:7], off
	s_waitcnt vmcnt(0)
	v_xor_b32_e32 v7, 0x80000000, v7
	ds_write_b64 v52, v[6:7] offset:128
.LBB80_17:                              ;   in Loop: Header=BB80_7 Depth=2
	s_andn2_saveexec_b64 s[12:13], s[18:19]
	s_cbranch_execz .LBB80_23
; %bb.18:                               ;   in Loop: Header=BB80_7 Depth=2
	s_xor_b64 s[16:17], s[16:17], -1
	s_and_saveexec_b64 s[18:19], s[16:17]
	s_xor_b64 s[16:17], exec, s[18:19]
; %bb.19:                               ;   in Loop: Header=BB80_7 Depth=2
	v_mov_b32_e32 v6, v43
	v_mov_b32_e32 v7, v43
	ds_write_b64 v52, v[6:7] offset:128
; %bb.20:                               ;   in Loop: Header=BB80_7 Depth=2
	s_andn2_saveexec_b64 s[16:17], s[16:17]
; %bb.21:                               ;   in Loop: Header=BB80_7 Depth=2
	ds_write_b64 v52, v[42:43] offset:128
; %bb.22:                               ;   in Loop: Header=BB80_7 Depth=2
	s_or_b64 exec, exec, s[16:17]
.LBB80_23:                              ;   in Loop: Header=BB80_7 Depth=2
	s_or_b64 exec, exec, s[12:13]
	v_add_co_u32_e64 v4, s[12:13], 16, v4
	v_addc_co_u32_e64 v5, s[12:13], 0, v5, s[12:13]
	v_cmp_le_i64_e64 s[12:13], s[42:43], v[4:5]
	v_cmp_eq_u64_e64 s[16:17], s[26:27], v[36:37]
	v_cmp_lt_i64_e64 s[18:19], v[4:5], v[22:23]
	s_and_b64 s[48:49], s[40:41], s[16:17]
	s_or_b64 s[16:17], s[12:13], s[18:19]
	s_or_b64 s[16:17], s[16:17], s[48:49]
	s_nor_b64 s[16:17], s[0:1], s[16:17]
	s_and_saveexec_b64 s[18:19], s[16:17]
	s_xor_b64 s[16:17], exec, s[18:19]
	s_cbranch_execz .LBB80_25
; %bb.24:                               ;   in Loop: Header=BB80_7 Depth=2
	global_load_dwordx2 v[2:3], v[2:3], off offset:128
	s_waitcnt vmcnt(0)
	v_xor_b32_e32 v3, 0x80000000, v3
	ds_write_b64 v52, v[2:3] offset:4096
.LBB80_25:                              ;   in Loop: Header=BB80_7 Depth=2
	s_andn2_saveexec_b64 s[16:17], s[16:17]
	s_cbranch_execz .LBB80_31
; %bb.26:                               ;   in Loop: Header=BB80_7 Depth=2
	s_xor_b64 s[18:19], s[48:49], -1
	s_and_saveexec_b64 s[48:49], s[18:19]
	s_xor_b64 s[18:19], exec, s[48:49]
; %bb.27:                               ;   in Loop: Header=BB80_7 Depth=2
	v_mov_b32_e32 v2, v43
	v_mov_b32_e32 v3, v43
	ds_write_b64 v52, v[2:3] offset:4096
; %bb.28:                               ;   in Loop: Header=BB80_7 Depth=2
	s_andn2_saveexec_b64 s[18:19], s[18:19]
; %bb.29:                               ;   in Loop: Header=BB80_7 Depth=2
	ds_write_b64 v52, v[42:43] offset:4096
; %bb.30:                               ;   in Loop: Header=BB80_7 Depth=2
	s_or_b64 exec, exec, s[18:19]
.LBB80_31:                              ;   in Loop: Header=BB80_7 Depth=2
	s_or_b64 exec, exec, s[16:17]
	s_or_b64 s[10:11], s[12:13], s[10:11]
	s_or_b64 s[10:11], s[10:11], s[38:39]
	s_nor_b64 s[10:11], s[2:3], s[10:11]
	s_and_saveexec_b64 s[12:13], s[10:11]
	s_xor_b64 s[12:13], exec, s[12:13]
	s_cbranch_execz .LBB80_33
; %bb.32:                               ;   in Loop: Header=BB80_7 Depth=2
	v_mov_b32_e32 v3, s25
	v_add_co_u32_e64 v2, s[10:11], s24, v54
	v_addc_co_u32_e64 v3, s[10:11], v55, v3, s[10:11]
	global_load_dwordx2 v[2:3], v[2:3], off offset:128
	s_waitcnt vmcnt(0)
	v_xor_b32_e32 v3, 0x80000000, v3
	ds_write_b64 v52, v[2:3] offset:4224
.LBB80_33:                              ;   in Loop: Header=BB80_7 Depth=2
	s_andn2_saveexec_b64 s[10:11], s[12:13]
	s_cbranch_execz .LBB80_39
; %bb.34:                               ;   in Loop: Header=BB80_7 Depth=2
	s_and_saveexec_b64 s[12:13], s[28:29]
	s_xor_b64 s[12:13], exec, s[12:13]
; %bb.35:                               ;   in Loop: Header=BB80_7 Depth=2
	v_mov_b32_e32 v2, v43
	v_mov_b32_e32 v3, v43
	ds_write_b64 v52, v[2:3] offset:4224
; %bb.36:                               ;   in Loop: Header=BB80_7 Depth=2
	s_andn2_saveexec_b64 s[12:13], s[12:13]
; %bb.37:                               ;   in Loop: Header=BB80_7 Depth=2
	ds_write_b64 v52, v[42:43] offset:4224
; %bb.38:                               ;   in Loop: Header=BB80_7 Depth=2
	s_or_b64 exec, exec, s[12:13]
.LBB80_39:                              ;   in Loop: Header=BB80_7 Depth=2
	s_or_b64 exec, exec, s[10:11]
	v_mov_b32_e32 v3, s27
	v_add_co_u32_e64 v2, s[10:11], s26, v22
	v_addc_co_u32_e64 v3, s[10:11], v23, v3, s[10:11]
	v_cmp_gt_i64_e64 s[10:11], s[42:43], v[2:3]
	s_and_b64 s[12:13], vcc, s[10:11]
	s_xor_b64 s[12:13], s[12:13], -1
	s_and_saveexec_b64 s[16:17], s[12:13]
	s_xor_b64 s[12:13], exec, s[16:17]
; %bb.40:                               ;   in Loop: Header=BB80_7 Depth=2
	v_mov_b32_e32 v4, v43
	v_mov_b32_e32 v5, v43
	ds_write_b64 v56, v[4:5]
; %bb.41:                               ;   in Loop: Header=BB80_7 Depth=2
	s_or_saveexec_b64 s[16:17], s[12:13]
	v_mov_b32_e32 v5, s25
	v_add_co_u32_e64 v4, s[12:13], s24, v46
	v_addc_co_u32_e64 v5, s[12:13], v47, v5, s[12:13]
	s_xor_b64 exec, exec, s[16:17]
	s_cbranch_execz .LBB80_43
; %bb.42:                               ;   in Loop: Header=BB80_7 Depth=2
	global_load_dwordx2 v[6:7], v[4:5], off offset:-128
	s_waitcnt vmcnt(0)
	ds_write_b64 v56, v[6:7]
.LBB80_43:                              ;   in Loop: Header=BB80_7 Depth=2
	s_or_b64 exec, exec, s[16:17]
	v_cmp_gt_i64_e64 s[12:13], s[46:47], v[2:3]
	s_and_b64 s[16:17], vcc, s[12:13]
	s_xor_b64 s[16:17], s[16:17], -1
	s_and_saveexec_b64 s[18:19], s[16:17]
	s_xor_b64 s[16:17], exec, s[18:19]
; %bb.44:                               ;   in Loop: Header=BB80_7 Depth=2
	v_mov_b32_e32 v2, v43
	v_mov_b32_e32 v3, v43
	ds_write_b64 v56, v[2:3] offset:128
                                        ; implicit-def: $vgpr4_vgpr5
; %bb.45:                               ;   in Loop: Header=BB80_7 Depth=2
	s_andn2_saveexec_b64 s[16:17], s[16:17]
	s_cbranch_execz .LBB80_47
; %bb.46:                               ;   in Loop: Header=BB80_7 Depth=2
	global_load_dwordx2 v[2:3], v[4:5], off
	s_waitcnt vmcnt(0)
	ds_write_b64 v56, v[2:3] offset:128
.LBB80_47:                              ;   in Loop: Header=BB80_7 Depth=2
	s_or_b64 exec, exec, s[16:17]
	s_and_b64 s[10:11], s[8:9], s[10:11]
	s_xor_b64 s[10:11], s[10:11], -1
	s_and_saveexec_b64 s[16:17], s[10:11]
	s_xor_b64 s[10:11], exec, s[16:17]
; %bb.48:                               ;   in Loop: Header=BB80_7 Depth=2
	v_mov_b32_e32 v2, v43
	v_mov_b32_e32 v3, v43
	ds_write_b64 v56, v[2:3] offset:4096
; %bb.49:                               ;   in Loop: Header=BB80_7 Depth=2
	s_or_saveexec_b64 s[16:17], s[10:11]
	v_mov_b32_e32 v3, s25
	v_add_co_u32_e64 v2, s[10:11], s24, v48
	v_addc_co_u32_e64 v3, s[10:11], v49, v3, s[10:11]
	s_xor_b64 exec, exec, s[16:17]
	s_cbranch_execz .LBB80_51
; %bb.50:                               ;   in Loop: Header=BB80_7 Depth=2
	global_load_dwordx2 v[4:5], v[2:3], off
	s_waitcnt vmcnt(0)
	ds_write_b64 v56, v[4:5] offset:4096
.LBB80_51:                              ;   in Loop: Header=BB80_7 Depth=2
	s_or_b64 exec, exec, s[16:17]
	s_and_b64 s[10:11], s[8:9], s[12:13]
	s_xor_b64 s[10:11], s[10:11], -1
	s_and_saveexec_b64 s[12:13], s[10:11]
	s_xor_b64 s[10:11], exec, s[12:13]
; %bb.52:                               ;   in Loop: Header=BB80_7 Depth=2
	v_mov_b32_e32 v2, v43
	v_mov_b32_e32 v3, v43
	ds_write_b64 v56, v[2:3] offset:4224
                                        ; implicit-def: $vgpr2_vgpr3
; %bb.53:                               ;   in Loop: Header=BB80_7 Depth=2
	s_andn2_saveexec_b64 s[10:11], s[10:11]
	s_cbranch_execz .LBB80_6
; %bb.54:                               ;   in Loop: Header=BB80_7 Depth=2
	global_load_dwordx2 v[2:3], v[2:3], off offset:128
	s_waitcnt vmcnt(0)
	ds_write_b64 v56, v[2:3] offset:4224
	s_branch .LBB80_6
.LBB80_55:                              ;   in Loop: Header=BB80_4 Depth=1
	v_mov_b32_e32 v20, 0
	v_mov_b32_e32 v21, 0
	;; [unrolled: 1-line block ×8, first 2 shown]
.LBB80_56:                              ;   in Loop: Header=BB80_4 Depth=1
	v_mul_lo_u32 v4, s45, v57
	v_mul_lo_u32 v5, s44, v58
	v_mad_u64_u32 v[2:3], s[8:9], s44, v57, 0
	v_cmp_gt_i32_e32 vcc, s30, v57
	v_add3_u32 v3, v3, v5, v4
	v_lshlrev_b64 v[2:3], 3, v[2:3]
	v_mov_b32_e32 v4, s51
	v_add_co_u32_e64 v2, s[8:9], s50, v2
	v_addc_co_u32_e64 v3, s[8:9], v4, v3, s[8:9]
	s_and_b64 s[8:9], s[4:5], vcc
	s_and_saveexec_b64 s[10:11], s[8:9]
	s_cbranch_execz .LBB80_58
; %bb.57:                               ;   in Loop: Header=BB80_4 Depth=1
	v_lshlrev_b64 v[4:5], 3, v[22:23]
	v_mul_f32_e32 v8, s35, v21
	v_add_co_u32_e64 v4, s[8:9], v2, v4
	v_addc_co_u32_e64 v5, s[8:9], v3, v5, s[8:9]
	global_load_dwordx2 v[6:7], v[4:5], off
	v_mul_f32_e32 v9, s34, v21
	v_fma_f32 v8, v20, s34, -v8
	v_fmac_f32_e32 v9, s35, v20
	s_waitcnt vmcnt(0)
	v_add_f32_e32 v6, v6, v8
	v_add_f32_e32 v7, v9, v7
	global_store_dwordx2 v[4:5], v[6:7], off
.LBB80_58:                              ;   in Loop: Header=BB80_4 Depth=1
	s_or_b64 exec, exec, s[10:11]
	s_and_b64 s[10:11], s[14:15], vcc
	s_and_saveexec_b64 s[8:9], s[10:11]
	s_cbranch_execz .LBB80_60
; %bb.59:                               ;   in Loop: Header=BB80_4 Depth=1
	v_lshlrev_b64 v[4:5], 3, v[28:29]
	v_mul_f32_e32 v6, s35, v19
	v_add_co_u32_e32 v2, vcc, v2, v4
	v_addc_co_u32_e32 v3, vcc, v3, v5, vcc
	global_load_dwordx2 v[4:5], v[2:3], off
	v_mul_f32_e32 v7, s34, v19
	v_fma_f32 v6, v18, s34, -v6
	v_fmac_f32_e32 v7, s35, v18
	s_waitcnt vmcnt(0)
	v_add_f32_e32 v4, v4, v6
	v_add_f32_e32 v5, v7, v5
	global_store_dwordx2 v[2:3], v[4:5], off
.LBB80_60:                              ;   in Loop: Header=BB80_4 Depth=1
	s_or_b64 exec, exec, s[8:9]
	v_add_u32_e32 v4, 16, v57
	v_ashrrev_i32_e32 v2, 31, v4
	v_mul_lo_u32 v5, s44, v2
	v_mul_lo_u32 v6, s45, v4
	v_mad_u64_u32 v[2:3], s[8:9], s44, v4, 0
	v_cmp_gt_i32_e32 vcc, s30, v4
	v_mov_b32_e32 v4, s51
	v_add3_u32 v3, v3, v5, v6
	v_lshlrev_b64 v[2:3], 3, v[2:3]
	v_add_co_u32_e64 v2, s[8:9], s50, v2
	v_addc_co_u32_e64 v3, s[8:9], v4, v3, s[8:9]
	s_and_b64 s[8:9], s[4:5], vcc
	s_and_saveexec_b64 s[10:11], s[8:9]
	s_cbranch_execz .LBB80_62
; %bb.61:                               ;   in Loop: Header=BB80_4 Depth=1
	v_lshlrev_b64 v[4:5], 3, v[22:23]
	v_mul_f32_e32 v8, s35, v17
	v_add_co_u32_e64 v4, s[8:9], v2, v4
	v_addc_co_u32_e64 v5, s[8:9], v3, v5, s[8:9]
	global_load_dwordx2 v[6:7], v[4:5], off
	v_mul_f32_e32 v9, s34, v17
	v_fma_f32 v8, v16, s34, -v8
	v_fmac_f32_e32 v9, s35, v16
	s_waitcnt vmcnt(0)
	v_add_f32_e32 v6, v6, v8
	v_add_f32_e32 v7, v9, v7
	global_store_dwordx2 v[4:5], v[6:7], off
.LBB80_62:                              ;   in Loop: Header=BB80_4 Depth=1
	s_or_b64 exec, exec, s[10:11]
	s_and_b64 s[10:11], s[14:15], vcc
	s_and_saveexec_b64 s[8:9], s[10:11]
	s_cbranch_execz .LBB80_3
; %bb.63:                               ;   in Loop: Header=BB80_4 Depth=1
	v_lshlrev_b64 v[4:5], 3, v[28:29]
	v_mul_f32_e32 v6, s35, v14
	v_add_co_u32_e32 v2, vcc, v2, v4
	v_addc_co_u32_e32 v3, vcc, v3, v5, vcc
	global_load_dwordx2 v[4:5], v[2:3], off
	v_mul_f32_e32 v7, s34, v14
	v_fma_f32 v6, v15, s34, -v6
	v_fmac_f32_e32 v7, s35, v15
	s_waitcnt vmcnt(0)
	v_add_f32_e32 v4, v4, v6
	v_add_f32_e32 v5, v7, v5
	global_store_dwordx2 v[2:3], v[4:5], off
	s_branch .LBB80_3
.LBB80_64:
	s_endpgm
	.section	.rodata,"a",@progbits
	.p2align	6, 0x0
	.amdhsa_kernel _ZL30rocblas_trmm_outofplace_kernelI19rocblas_complex_numIfELi32ELi2ELb1ELb0ELb1ELb1EPKS1_S2_S1_Ev17rocblas_diagonal_iiT6_lPT7_lllS7_lllPT8_llli
		.amdhsa_group_segment_fixed_size 16384
		.amdhsa_private_segment_fixed_size 20
		.amdhsa_kernarg_size 392
		.amdhsa_user_sgpr_count 6
		.amdhsa_user_sgpr_private_segment_buffer 1
		.amdhsa_user_sgpr_dispatch_ptr 0
		.amdhsa_user_sgpr_queue_ptr 0
		.amdhsa_user_sgpr_kernarg_segment_ptr 1
		.amdhsa_user_sgpr_dispatch_id 0
		.amdhsa_user_sgpr_flat_scratch_init 0
		.amdhsa_user_sgpr_private_segment_size 0
		.amdhsa_uses_dynamic_stack 0
		.amdhsa_system_sgpr_private_segment_wavefront_offset 1
		.amdhsa_system_sgpr_workgroup_id_x 1
		.amdhsa_system_sgpr_workgroup_id_y 1
		.amdhsa_system_sgpr_workgroup_id_z 1
		.amdhsa_system_sgpr_workgroup_info 0
		.amdhsa_system_vgpr_workitem_id 1
		.amdhsa_next_free_vgpr 64
		.amdhsa_next_free_sgpr 61
		.amdhsa_reserve_vcc 1
		.amdhsa_reserve_flat_scratch 0
		.amdhsa_float_round_mode_32 0
		.amdhsa_float_round_mode_16_64 0
		.amdhsa_float_denorm_mode_32 3
		.amdhsa_float_denorm_mode_16_64 3
		.amdhsa_dx10_clamp 1
		.amdhsa_ieee_mode 1
		.amdhsa_fp16_overflow 0
		.amdhsa_exception_fp_ieee_invalid_op 0
		.amdhsa_exception_fp_denorm_src 0
		.amdhsa_exception_fp_ieee_div_zero 0
		.amdhsa_exception_fp_ieee_overflow 0
		.amdhsa_exception_fp_ieee_underflow 0
		.amdhsa_exception_fp_ieee_inexact 0
		.amdhsa_exception_int_div_zero 0
	.end_amdhsa_kernel
	.section	.text._ZL30rocblas_trmm_outofplace_kernelI19rocblas_complex_numIfELi32ELi2ELb1ELb0ELb1ELb1EPKS1_S2_S1_Ev17rocblas_diagonal_iiT6_lPT7_lllS7_lllPT8_llli,"axG",@progbits,_ZL30rocblas_trmm_outofplace_kernelI19rocblas_complex_numIfELi32ELi2ELb1ELb0ELb1ELb1EPKS1_S2_S1_Ev17rocblas_diagonal_iiT6_lPT7_lllS7_lllPT8_llli,comdat
.Lfunc_end80:
	.size	_ZL30rocblas_trmm_outofplace_kernelI19rocblas_complex_numIfELi32ELi2ELb1ELb0ELb1ELb1EPKS1_S2_S1_Ev17rocblas_diagonal_iiT6_lPT7_lllS7_lllPT8_llli, .Lfunc_end80-_ZL30rocblas_trmm_outofplace_kernelI19rocblas_complex_numIfELi32ELi2ELb1ELb0ELb1ELb1EPKS1_S2_S1_Ev17rocblas_diagonal_iiT6_lPT7_lllS7_lllPT8_llli
                                        ; -- End function
	.set _ZL30rocblas_trmm_outofplace_kernelI19rocblas_complex_numIfELi32ELi2ELb1ELb0ELb1ELb1EPKS1_S2_S1_Ev17rocblas_diagonal_iiT6_lPT7_lllS7_lllPT8_llli.num_vgpr, 64
	.set _ZL30rocblas_trmm_outofplace_kernelI19rocblas_complex_numIfELi32ELi2ELb1ELb0ELb1ELb1EPKS1_S2_S1_Ev17rocblas_diagonal_iiT6_lPT7_lllS7_lllPT8_llli.num_agpr, 0
	.set _ZL30rocblas_trmm_outofplace_kernelI19rocblas_complex_numIfELi32ELi2ELb1ELb0ELb1ELb1EPKS1_S2_S1_Ev17rocblas_diagonal_iiT6_lPT7_lllS7_lllPT8_llli.numbered_sgpr, 60
	.set _ZL30rocblas_trmm_outofplace_kernelI19rocblas_complex_numIfELi32ELi2ELb1ELb0ELb1ELb1EPKS1_S2_S1_Ev17rocblas_diagonal_iiT6_lPT7_lllS7_lllPT8_llli.num_named_barrier, 0
	.set _ZL30rocblas_trmm_outofplace_kernelI19rocblas_complex_numIfELi32ELi2ELb1ELb0ELb1ELb1EPKS1_S2_S1_Ev17rocblas_diagonal_iiT6_lPT7_lllS7_lllPT8_llli.private_seg_size, 20
	.set _ZL30rocblas_trmm_outofplace_kernelI19rocblas_complex_numIfELi32ELi2ELb1ELb0ELb1ELb1EPKS1_S2_S1_Ev17rocblas_diagonal_iiT6_lPT7_lllS7_lllPT8_llli.uses_vcc, 1
	.set _ZL30rocblas_trmm_outofplace_kernelI19rocblas_complex_numIfELi32ELi2ELb1ELb0ELb1ELb1EPKS1_S2_S1_Ev17rocblas_diagonal_iiT6_lPT7_lllS7_lllPT8_llli.uses_flat_scratch, 0
	.set _ZL30rocblas_trmm_outofplace_kernelI19rocblas_complex_numIfELi32ELi2ELb1ELb0ELb1ELb1EPKS1_S2_S1_Ev17rocblas_diagonal_iiT6_lPT7_lllS7_lllPT8_llli.has_dyn_sized_stack, 0
	.set _ZL30rocblas_trmm_outofplace_kernelI19rocblas_complex_numIfELi32ELi2ELb1ELb0ELb1ELb1EPKS1_S2_S1_Ev17rocblas_diagonal_iiT6_lPT7_lllS7_lllPT8_llli.has_recursion, 0
	.set _ZL30rocblas_trmm_outofplace_kernelI19rocblas_complex_numIfELi32ELi2ELb1ELb0ELb1ELb1EPKS1_S2_S1_Ev17rocblas_diagonal_iiT6_lPT7_lllS7_lllPT8_llli.has_indirect_call, 0
	.section	.AMDGPU.csdata,"",@progbits
; Kernel info:
; codeLenInByte = 6724
; TotalNumSgprs: 64
; NumVgprs: 64
; ScratchSize: 20
; MemoryBound: 0
; FloatMode: 240
; IeeeMode: 1
; LDSByteSize: 16384 bytes/workgroup (compile time only)
; SGPRBlocks: 8
; VGPRBlocks: 15
; NumSGPRsForWavesPerEU: 65
; NumVGPRsForWavesPerEU: 64
; Occupancy: 4
; WaveLimiterHint : 0
; COMPUTE_PGM_RSRC2:SCRATCH_EN: 1
; COMPUTE_PGM_RSRC2:USER_SGPR: 6
; COMPUTE_PGM_RSRC2:TRAP_HANDLER: 0
; COMPUTE_PGM_RSRC2:TGID_X_EN: 1
; COMPUTE_PGM_RSRC2:TGID_Y_EN: 1
; COMPUTE_PGM_RSRC2:TGID_Z_EN: 1
; COMPUTE_PGM_RSRC2:TIDIG_COMP_CNT: 1
	.section	.text._ZL30rocblas_trmm_outofplace_kernelI19rocblas_complex_numIfELi32ELi2ELb1ELb0ELb1ELb1ES1_KS1_S1_Ev17rocblas_diagonal_iiT6_lPT7_lllS6_lllPT8_llli,"axG",@progbits,_ZL30rocblas_trmm_outofplace_kernelI19rocblas_complex_numIfELi32ELi2ELb1ELb0ELb1ELb1ES1_KS1_S1_Ev17rocblas_diagonal_iiT6_lPT7_lllS6_lllPT8_llli,comdat
	.globl	_ZL30rocblas_trmm_outofplace_kernelI19rocblas_complex_numIfELi32ELi2ELb1ELb0ELb1ELb1ES1_KS1_S1_Ev17rocblas_diagonal_iiT6_lPT7_lllS6_lllPT8_llli ; -- Begin function _ZL30rocblas_trmm_outofplace_kernelI19rocblas_complex_numIfELi32ELi2ELb1ELb0ELb1ELb1ES1_KS1_S1_Ev17rocblas_diagonal_iiT6_lPT7_lllS6_lllPT8_llli
	.p2align	8
	.type	_ZL30rocblas_trmm_outofplace_kernelI19rocblas_complex_numIfELi32ELi2ELb1ELb0ELb1ELb1ES1_KS1_S1_Ev17rocblas_diagonal_iiT6_lPT7_lllS6_lllPT8_llli,@function
_ZL30rocblas_trmm_outofplace_kernelI19rocblas_complex_numIfELi32ELi2ELb1ELb0ELb1ELb1ES1_KS1_S1_Ev17rocblas_diagonal_iiT6_lPT7_lllS6_lllPT8_llli: ; @_ZL30rocblas_trmm_outofplace_kernelI19rocblas_complex_numIfELi32ELi2ELb1ELb0ELb1ELb1ES1_KS1_S1_Ev17rocblas_diagonal_iiT6_lPT7_lllS6_lllPT8_llli
; %bb.0:
	s_load_dwordx4 s[28:31], s[4:5], 0x0
	s_load_dword s33, s[4:5], 0x10
	s_mov_b64 s[58:59], s[2:3]
	s_mov_b64 s[56:57], s[0:1]
	s_add_u32 s56, s56, s9
	s_addc_u32 s57, s57, 0
	s_waitcnt lgkmcnt(0)
	s_or_b32 s0, s31, s33
	s_bitset0_b32 s0, 31
	s_cmp_eq_u32 s0, 0
	s_cbranch_scc1 .LBB81_64
; %bb.1:
	s_add_i32 s0, s30, -1
	s_ashr_i32 s1, s0, 31
	s_lshr_b32 s1, s1, 27
	s_add_i32 s0, s0, s1
	s_ashr_i32 s48, s0, 5
	s_cmp_gt_i32 s7, s48
	s_cbranch_scc1 .LBB81_64
; %bb.2:
	s_load_dwordx16 s[12:27], s[4:5], 0x20
	s_load_dwordx8 s[36:43], s[4:5], 0x60
	s_load_dword s53, s[4:5], 0x8c
	s_mov_b32 s52, s30
	v_mov_b32_e32 v43, 0
	s_waitcnt lgkmcnt(0)
	s_mul_i32 s1, s19, s8
	s_mul_hi_u32 s2, s18, s8
	s_mul_i32 s0, s18, s8
	s_add_i32 s1, s2, s1
	s_lshl_b64 s[10:11], s[0:1], 3
	s_add_u32 s0, s12, s10
	s_addc_u32 s1, s13, s11
	s_lshl_b64 s[18:19], s[14:15], 3
	s_add_u32 s2, s0, s18
	s_addc_u32 s3, s1, s19
	s_mul_i32 s0, s43, s8
	s_mul_hi_u32 s1, s42, s8
	s_add_i32 s1, s1, s0
	s_mul_i32 s0, s42, s8
	s_lshl_b64 s[0:1], s[0:1], 3
	s_add_u32 s9, s36, s0
	s_addc_u32 s14, s37, s1
	s_lshl_b64 s[0:1], s[38:39], 3
	s_add_u32 s49, s9, s0
	s_addc_u32 s50, s14, s1
	s_lshl_b32 s6, s6, 5
	v_add_u32_e32 v22, s6, v0
	v_ashrrev_i32_e32 v23, 31, v22
	v_mul_lo_u32 v4, s16, v23
	v_mul_lo_u32 v5, s17, v22
	v_mad_u64_u32 v[2:3], s[0:1], s16, v22, 0
	v_add_u32_e32 v24, s6, v1
	v_ashrrev_i32_e32 v25, 31, v24
	v_add3_u32 v3, v3, v4, v5
	v_lshlrev_b64 v[2:3], 3, v[2:3]
	v_mov_b32_e32 v4, s3
	v_add_co_u32_e32 v5, vcc, s2, v2
	v_addc_co_u32_e32 v4, vcc, v4, v3, vcc
	v_lshlrev_b64 v[2:3], 3, v[24:25]
	s_sub_i32 s6, s29, s6
	v_add_co_u32_e32 v50, vcc, v5, v2
	v_addc_co_u32_e32 v51, vcc, v4, v3, vcc
	s_cmp_gt_i32 s6, 0
	v_add_co_u32_e32 v26, vcc, 16, v22
	s_cselect_b64 s[34:35], -1, 0
	s_cmpk_eq_i32 s28, 0x84
	v_addc_co_u32_e32 v27, vcc, 0, v23, vcc
	s_cselect_b64 s[36:37], -1, 0
	s_ashr_i32 s39, s29, 31
	s_ashr_i32 s51, s30, 31
	v_sub_co_u32_e32 v30, vcc, v22, v24
	s_add_u32 s42, s29, -16
	v_subb_co_u32_e32 v31, vcc, v23, v25, vcc
	s_addc_u32 s43, s39, -1
	v_add_co_u32_e32 v32, vcc, 16, v30
	v_lshlrev_b64 v[8:9], 3, v[22:23]
	v_lshlrev_b32_e32 v4, 8, v1
	v_lshlrev_b32_e32 v0, 3, v0
	v_addc_co_u32_e32 v33, vcc, 0, v31, vcc
	s_movk_i32 s9, 0x80
	s_add_u32 s10, s18, s10
	v_add_u32_e32 v52, v0, v4
	v_add_u32_e32 v53, 0x2000, v4
	v_add_co_u32_e32 v6, vcc, s9, v8
	s_addc_u32 s11, s19, s11
	v_mov_b32_e32 v4, s10
	v_addc_co_u32_e32 v7, vcc, 0, v9, vcc
	v_mov_b32_e32 v5, s11
	v_mad_u64_u32 v[4:5], s[10:11], s16, v6, v[4:5]
	v_mul_lo_u32 v7, s16, v7
	v_mul_lo_u32 v6, s17, v6
	s_mul_i32 s9, s27, s8
	s_mul_hi_u32 s10, s26, s8
	v_add_co_u32_e32 v36, vcc, -16, v30
	s_add_i32 s9, s10, s9
	s_mul_i32 s8, s26, s8
	v_addc_co_u32_e32 v37, vcc, -1, v31, vcc
	s_lshl_b64 s[8:9], s[8:9], 3
	s_lshl_b64 s[10:11], s[22:23], 3
	v_add3_u32 v5, v6, v5, v7
	v_add_co_u32_e32 v2, vcc, v4, v2
	s_add_u32 s8, s8, s10
	v_addc_co_u32_e32 v3, vcc, v5, v3, vcc
	s_addc_u32 s9, s9, s11
	v_mov_b32_e32 v4, s13
	v_add_co_u32_e32 v54, vcc, s12, v2
	s_add_u32 s8, s20, s8
	v_addc_co_u32_e32 v55, vcc, v4, v3, vcc
	s_addc_u32 s9, s21, s9
	v_mov_b32_e32 v2, s9
	v_add_co_u32_e32 v3, vcc, s8, v8
	v_addc_co_u32_e32 v4, vcc, v2, v9, vcc
	v_add_co_u32_e32 v2, vcc, 0x80, v3
	buffer_store_dword v3, off, s[56:59], 0 ; 4-byte Folded Spill
	s_nop 0
	buffer_store_dword v4, off, s[56:59], 0 offset:4 ; 4-byte Folded Spill
	s_mov_b32 s38, s29
	v_cmp_le_i64_e64 s[2:3], s[38:39], v[26:27]
	v_add_u32_e32 v28, 16, v22
	v_cmp_le_i32_e64 s[0:1], s29, v22
	v_cmp_gt_i32_e64 s[4:5], s29, v22
	v_cmp_gt_i32_e64 s[14:15], s29, v28
	v_ashrrev_i32_e32 v29, 31, v28
	s_lshl_b64 s[20:21], s[24:25], 3
	s_lshl_b32 s54, s53, 5
	v_mov_b32_e32 v42, 1.0
	v_add_u32_e32 v56, v53, v0
	v_lshl_add_u32 v44, s7, 5, v1
	v_addc_co_u32_e32 v3, vcc, 0, v4, vcc
	buffer_store_dword v2, off, s[56:59], 0 offset:8 ; 4-byte Folded Spill
	s_nop 0
	buffer_store_dword v3, off, s[56:59], 0 offset:12 ; 4-byte Folded Spill
	s_branch .LBB81_4
.LBB81_3:                               ;   in Loop: Header=BB81_4 Depth=1
	s_or_b64 exec, exec, s[8:9]
	s_add_i32 s7, s53, s7
	s_cmp_le_i32 s7, s48
	v_add_u32_e32 v44, s54, v44
	s_cbranch_scc0 .LBB81_64
.LBB81_4:                               ; =>This Loop Header: Depth=1
                                        ;     Child Loop BB81_7 Depth 2
	v_lshl_add_u32 v57, s7, 5, v1
	s_andn2_b64 vcc, exec, s[34:35]
	v_ashrrev_i32_e32 v58, 31, v57
	s_cbranch_vccnz .LBB81_55
; %bb.5:                                ;   in Loop: Header=BB81_4 Depth=1
	buffer_load_dword v2, off, s[56:59], 0 offset:8 ; 4-byte Folded Reload
	buffer_load_dword v3, off, s[56:59], 0 offset:12 ; 4-byte Folded Reload
	buffer_load_dword v7, off, s[56:59], 0  ; 4-byte Folded Reload
	buffer_load_dword v8, off, s[56:59], 0 offset:4 ; 4-byte Folded Reload
	v_ashrrev_i32_e32 v45, 31, v44
	v_mul_lo_u32 v4, s21, v44
	v_mul_lo_u32 v5, s20, v45
	s_mov_b64 s[22:23], 0
	v_mov_b32_e32 v14, 0
	s_mov_b64 s[26:27], 0
	v_mov_b32_e32 v15, 0
	v_mov_b32_e32 v17, 0
	;; [unrolled: 1-line block ×7, first 2 shown]
	s_waitcnt vmcnt(2)
	v_mad_u64_u32 v[46:47], s[8:9], s20, v44, v[2:3]
	v_lshlrev_b64 v[2:3], 3, v[44:45]
	v_add_co_u32_e32 v2, vcc, 0x80, v2
	v_addc_co_u32_e32 v3, vcc, 0, v3, vcc
	v_mul_lo_u32 v3, s24, v3
	v_mul_lo_u32 v6, s25, v2
	s_waitcnt vmcnt(0)
	v_mad_u64_u32 v[48:49], s[8:9], s24, v2, v[7:8]
	v_sub_co_u32_e32 v2, vcc, s52, v57
	v_add3_u32 v49, v6, v49, v3
	v_mov_b32_e32 v3, s51
	v_subb_co_u32_e32 v3, vcc, v3, v58, vcc
	v_cmp_lt_i64_e32 vcc, 0, v[2:3]
	v_cmp_lt_i64_e64 s[8:9], 16, v[2:3]
	v_add3_u32 v47, v4, v47, v5
	s_branch .LBB81_7
.LBB81_6:                               ;   in Loop: Header=BB81_7 Depth=2
	s_or_b64 exec, exec, s[10:11]
	s_waitcnt lgkmcnt(0)
	s_barrier
	ds_read_b128 v[59:62], v53
	ds_read_b128 v[10:13], v53 offset:16
	ds_read_b128 v[6:9], v53 offset:32
	;; [unrolled: 1-line block ×3, first 2 shown]
	ds_read2_b64 v[38:41], v0 offset1:16
	s_add_u32 s26, s26, 32
	s_addc_u32 s27, s27, 0
	s_add_u32 s22, s22, 0x100
	s_addc_u32 s23, s23, 0
	s_waitcnt lgkmcnt(0)
	v_mul_f32_e32 v45, v60, v39
	v_mul_f32_e32 v63, v59, v39
	v_fma_f32 v45, v59, v38, -v45
	v_fmac_f32_e32 v63, v60, v38
	v_add_f32_e32 v45, v20, v45
	v_add_f32_e32 v63, v21, v63
	v_mul_f32_e32 v20, v60, v41
	v_mul_f32_e32 v21, v59, v41
	v_fma_f32 v20, v59, v40, -v20
	v_fmac_f32_e32 v21, v60, v40
	v_add_f32_e32 v59, v18, v20
	v_add_f32_e32 v60, v19, v21
	ds_read_b128 v[18:21], v53 offset:4096
	s_cmp_ge_i32 s26, s6
	s_waitcnt lgkmcnt(0)
	v_mul_f32_e32 v34, v19, v39
	v_mul_f32_e32 v35, v18, v39
	v_fma_f32 v34, v18, v38, -v34
	v_fmac_f32_e32 v35, v19, v38
	v_add_f32_e32 v34, v16, v34
	v_add_f32_e32 v35, v17, v35
	v_mul_f32_e32 v16, v19, v41
	v_mul_f32_e32 v17, v18, v41
	v_fma_f32 v16, v18, v40, -v16
	v_fmac_f32_e32 v17, v19, v40
	v_add_f32_e32 v18, v15, v16
	v_add_f32_e32 v19, v14, v17
	ds_read2_b64 v[14:17], v0 offset0:32 offset1:48
	s_waitcnt lgkmcnt(0)
	v_mul_f32_e32 v38, v62, v15
	v_fma_f32 v38, v61, v14, -v38
	v_mul_f32_e32 v39, v61, v15
	v_add_f32_e32 v38, v45, v38
	v_mul_f32_e32 v45, v21, v15
	v_mul_f32_e32 v15, v20, v15
	;; [unrolled: 1-line block ×3, first 2 shown]
	v_fmac_f32_e32 v15, v21, v14
	v_fmac_f32_e32 v39, v62, v14
	v_fma_f32 v40, v61, v16, -v40
	v_mul_f32_e32 v41, v61, v17
	v_fma_f32 v45, v20, v14, -v45
	v_add_f32_e32 v61, v35, v15
	v_mul_f32_e32 v14, v21, v17
	v_mul_f32_e32 v15, v20, v17
	v_fma_f32 v14, v20, v16, -v14
	v_fmac_f32_e32 v15, v21, v16
	v_add_f32_e32 v39, v63, v39
	v_fmac_f32_e32 v41, v62, v16
	v_add_f32_e32 v62, v18, v14
	v_add_f32_e32 v63, v19, v15
	ds_read2_b64 v[14:17], v0 offset0:64 offset1:80
	v_add_f32_e32 v40, v59, v40
	v_add_f32_e32 v41, v60, v41
	;; [unrolled: 1-line block ×3, first 2 shown]
	s_waitcnt lgkmcnt(0)
	v_mul_f32_e32 v18, v11, v15
	v_mul_f32_e32 v19, v10, v15
	v_fma_f32 v18, v10, v14, -v18
	v_fmac_f32_e32 v19, v11, v14
	v_add_f32_e32 v45, v38, v18
	v_add_f32_e32 v59, v39, v19
	v_mul_f32_e32 v18, v11, v17
	v_mul_f32_e32 v19, v10, v17
	v_fma_f32 v18, v10, v16, -v18
	v_fmac_f32_e32 v19, v11, v16
	v_add_f32_e32 v10, v40, v18
	v_add_f32_e32 v11, v41, v19
	ds_read_b128 v[18:21], v53 offset:4112
	s_waitcnt lgkmcnt(0)
	v_mul_f32_e32 v34, v19, v15
	v_mul_f32_e32 v15, v18, v15
	v_fmac_f32_e32 v15, v19, v14
	v_fma_f32 v34, v18, v14, -v34
	v_add_f32_e32 v35, v61, v15
	v_mul_f32_e32 v14, v19, v17
	v_mul_f32_e32 v15, v18, v17
	v_fma_f32 v14, v18, v16, -v14
	v_fmac_f32_e32 v15, v19, v16
	v_add_f32_e32 v18, v62, v14
	v_add_f32_e32 v19, v63, v15
	ds_read2_b64 v[14:17], v0 offset0:96 offset1:112
	v_add_f32_e32 v34, v60, v34
	s_waitcnt lgkmcnt(0)
	v_mul_f32_e32 v38, v13, v15
	v_mul_f32_e32 v40, v13, v17
	v_fma_f32 v38, v12, v14, -v38
	v_mul_f32_e32 v39, v12, v15
	v_fma_f32 v40, v12, v16, -v40
	v_mul_f32_e32 v12, v12, v17
	v_fmac_f32_e32 v12, v13, v16
	v_add_f32_e32 v40, v10, v40
	v_add_f32_e32 v41, v11, v12
	v_mul_f32_e32 v10, v21, v15
	v_mul_f32_e32 v11, v20, v15
	v_fma_f32 v10, v20, v14, -v10
	v_fmac_f32_e32 v11, v21, v14
	v_fmac_f32_e32 v39, v13, v14
	v_add_f32_e32 v14, v34, v10
	v_add_f32_e32 v15, v35, v11
	v_mul_f32_e32 v10, v21, v17
	v_mul_f32_e32 v11, v20, v17
	v_fma_f32 v10, v20, v16, -v10
	v_fmac_f32_e32 v11, v21, v16
	v_add_f32_e32 v20, v18, v10
	v_add_f32_e32 v21, v19, v11
	ds_read2_b64 v[10:13], v0 offset0:128 offset1:144
	v_add_f32_e32 v38, v45, v38
	v_add_f32_e32 v39, v59, v39
	s_waitcnt lgkmcnt(0)
	v_mul_f32_e32 v16, v7, v11
	v_fma_f32 v16, v6, v10, -v16
	v_mul_f32_e32 v17, v6, v11
	v_add_f32_e32 v34, v38, v16
	v_mul_f32_e32 v16, v7, v13
	v_fmac_f32_e32 v17, v7, v10
	v_fma_f32 v16, v6, v12, -v16
	v_mul_f32_e32 v6, v6, v13
	v_add_f32_e32 v35, v39, v17
	v_fmac_f32_e32 v6, v7, v12
	v_add_f32_e32 v7, v40, v16
	ds_read_b128 v[16:19], v53 offset:4128
	v_add_f32_e32 v6, v41, v6
	s_waitcnt lgkmcnt(0)
	v_mul_f32_e32 v38, v17, v11
	v_mul_f32_e32 v11, v16, v11
	v_fmac_f32_e32 v11, v17, v10
	v_fma_f32 v38, v16, v10, -v38
	v_add_f32_e32 v15, v15, v11
	v_mul_f32_e32 v10, v17, v13
	v_mul_f32_e32 v11, v16, v13
	v_fma_f32 v10, v16, v12, -v10
	v_fmac_f32_e32 v11, v17, v12
	v_add_f32_e32 v20, v20, v10
	v_add_f32_e32 v21, v21, v11
	ds_read2_b64 v[10:13], v0 offset0:160 offset1:176
	v_add_f32_e32 v14, v14, v38
	s_waitcnt lgkmcnt(0)
	v_mul_f32_e32 v16, v9, v11
	v_fma_f32 v16, v8, v10, -v16
	v_add_f32_e32 v34, v34, v16
	v_mul_f32_e32 v16, v9, v13
	v_mul_f32_e32 v17, v8, v11
	v_fma_f32 v16, v8, v12, -v16
	v_mul_f32_e32 v8, v8, v13
	v_fmac_f32_e32 v8, v9, v12
	v_add_f32_e32 v38, v7, v16
	v_add_f32_e32 v39, v6, v8
	v_mul_f32_e32 v6, v19, v11
	v_mul_f32_e32 v7, v18, v11
	v_fmac_f32_e32 v17, v9, v10
	v_fma_f32 v6, v18, v10, -v6
	v_fmac_f32_e32 v7, v19, v10
	v_add_f32_e32 v35, v35, v17
	v_add_f32_e32 v16, v14, v6
	;; [unrolled: 1-line block ×3, first 2 shown]
	v_mul_f32_e32 v6, v19, v13
	v_mul_f32_e32 v7, v18, v13
	v_fma_f32 v6, v18, v12, -v6
	v_fmac_f32_e32 v7, v19, v12
	v_add_f32_e32 v18, v20, v6
	v_add_f32_e32 v19, v21, v7
	ds_read2_b64 v[6:9], v0 offset0:192 offset1:208
	s_waitcnt lgkmcnt(0)
	v_mul_f32_e32 v10, v3, v7
	v_mul_f32_e32 v11, v2, v7
	v_fma_f32 v10, v2, v6, -v10
	v_fmac_f32_e32 v11, v3, v6
	v_add_f32_e32 v14, v34, v10
	v_add_f32_e32 v15, v35, v11
	v_mul_f32_e32 v10, v3, v9
	v_mul_f32_e32 v11, v2, v9
	v_fma_f32 v10, v2, v8, -v10
	v_fmac_f32_e32 v11, v3, v8
	v_add_f32_e32 v2, v38, v10
	v_add_f32_e32 v3, v39, v11
	ds_read_b128 v[10:13], v53 offset:4144
	s_waitcnt lgkmcnt(0)
	v_mul_f32_e32 v20, v11, v7
	v_mul_f32_e32 v7, v10, v7
	v_fmac_f32_e32 v7, v11, v6
	v_fma_f32 v20, v10, v6, -v20
	v_add_f32_e32 v17, v17, v7
	v_mul_f32_e32 v6, v11, v9
	v_mul_f32_e32 v7, v10, v9
	v_fma_f32 v6, v10, v8, -v6
	v_fmac_f32_e32 v7, v11, v8
	v_add_f32_e32 v10, v18, v6
	v_add_f32_e32 v11, v19, v7
	ds_read2_b64 v[6:9], v0 offset0:224 offset1:240
	v_add_f32_e32 v16, v16, v20
	s_waitcnt lgkmcnt(0)
	v_mul_f32_e32 v18, v5, v7
	v_fma_f32 v18, v4, v6, -v18
	v_add_f32_e32 v18, v14, v18
	v_mul_f32_e32 v14, v5, v9
	v_mul_f32_e32 v19, v4, v7
	v_fma_f32 v14, v4, v8, -v14
	v_mul_f32_e32 v4, v4, v9
	v_fmac_f32_e32 v19, v5, v6
	v_fmac_f32_e32 v4, v5, v8
	v_add_f32_e32 v15, v15, v19
	v_add_f32_e32 v19, v2, v14
	;; [unrolled: 1-line block ×3, first 2 shown]
	v_mul_f32_e32 v2, v13, v7
	v_mul_f32_e32 v3, v12, v7
	v_fma_f32 v2, v12, v6, -v2
	v_fmac_f32_e32 v3, v13, v6
	v_add_f32_e32 v21, v16, v2
	v_add_f32_e32 v34, v17, v3
	v_mul_f32_e32 v2, v13, v9
	v_mul_f32_e32 v3, v12, v9
	v_fma_f32 v2, v12, v8, -v2
	v_fmac_f32_e32 v3, v13, v8
	v_add_u32_e32 v14, 0x800, v0
	v_add_f32_e32 v10, v10, v2
	v_add_f32_e32 v11, v11, v3
	ds_read_b128 v[2:5], v53 offset:64
	ds_read2_b64 v[6:9], v14 offset1:16
	s_waitcnt lgkmcnt(0)
	v_mul_f32_e32 v13, v2, v7
	v_fmac_f32_e32 v13, v3, v6
	v_mul_f32_e32 v12, v3, v7
	v_add_f32_e32 v13, v15, v13
	v_mul_f32_e32 v15, v3, v9
	v_fma_f32 v12, v2, v6, -v12
	v_fma_f32 v15, v2, v8, -v15
	v_mul_f32_e32 v2, v2, v9
	v_add_f32_e32 v12, v18, v12
	v_fmac_f32_e32 v2, v3, v8
	v_add_f32_e32 v3, v19, v15
	ds_read_b128 v[15:18], v53 offset:4160
	v_add_f32_e32 v2, v20, v2
	s_waitcnt lgkmcnt(0)
	v_mul_f32_e32 v19, v16, v7
	v_mul_f32_e32 v7, v15, v7
	v_fmac_f32_e32 v7, v16, v6
	v_fma_f32 v19, v15, v6, -v19
	v_add_f32_e32 v20, v34, v7
	v_mul_f32_e32 v6, v16, v9
	v_mul_f32_e32 v7, v15, v9
	v_fma_f32 v6, v15, v8, -v6
	v_fmac_f32_e32 v7, v16, v8
	v_add_f32_e32 v19, v21, v19
	v_add_f32_e32 v21, v10, v6
	v_add_f32_e32 v34, v11, v7
	ds_read2_b64 v[6:9], v14 offset0:32 offset1:48
	s_waitcnt lgkmcnt(0)
	v_mul_f32_e32 v10, v5, v7
	v_fma_f32 v10, v4, v6, -v10
	v_add_f32_e32 v10, v12, v10
	v_mul_f32_e32 v12, v5, v9
	v_mul_f32_e32 v11, v4, v7
	v_fma_f32 v12, v4, v8, -v12
	v_mul_f32_e32 v4, v4, v9
	v_fmac_f32_e32 v11, v5, v6
	v_fmac_f32_e32 v4, v5, v8
	v_add_f32_e32 v11, v13, v11
	v_add_f32_e32 v12, v3, v12
	;; [unrolled: 1-line block ×3, first 2 shown]
	v_mul_f32_e32 v2, v18, v7
	v_mul_f32_e32 v3, v17, v7
	v_fma_f32 v2, v17, v6, -v2
	v_fmac_f32_e32 v3, v18, v6
	v_add_f32_e32 v15, v19, v2
	v_add_f32_e32 v16, v20, v3
	v_mul_f32_e32 v2, v18, v9
	v_mul_f32_e32 v3, v17, v9
	v_fma_f32 v2, v17, v8, -v2
	v_fmac_f32_e32 v3, v18, v8
	v_add_f32_e32 v17, v21, v2
	v_add_f32_e32 v18, v34, v3
	ds_read_b128 v[2:5], v53 offset:80
	ds_read2_b64 v[6:9], v14 offset0:64 offset1:80
	s_waitcnt lgkmcnt(0)
	v_mul_f32_e32 v19, v3, v7
	v_mul_f32_e32 v20, v2, v7
	v_fma_f32 v19, v2, v6, -v19
	v_fmac_f32_e32 v20, v3, v6
	v_add_f32_e32 v19, v10, v19
	v_add_f32_e32 v20, v11, v20
	v_mul_f32_e32 v10, v3, v9
	v_mul_f32_e32 v11, v2, v9
	v_fma_f32 v10, v2, v8, -v10
	v_fmac_f32_e32 v11, v3, v8
	v_add_f32_e32 v2, v12, v10
	v_add_f32_e32 v3, v13, v11
	ds_read_b128 v[10:13], v53 offset:4176
	s_waitcnt lgkmcnt(0)
	v_mul_f32_e32 v21, v11, v7
	v_mul_f32_e32 v7, v10, v7
	v_fmac_f32_e32 v7, v11, v6
	v_fma_f32 v21, v10, v6, -v21
	v_add_f32_e32 v16, v16, v7
	v_mul_f32_e32 v6, v11, v9
	v_mul_f32_e32 v7, v10, v9
	v_fma_f32 v6, v10, v8, -v6
	v_fmac_f32_e32 v7, v11, v8
	v_add_f32_e32 v10, v17, v6
	v_add_f32_e32 v11, v18, v7
	ds_read2_b64 v[6:9], v14 offset0:96 offset1:112
	v_add_f32_e32 v15, v15, v21
	s_waitcnt lgkmcnt(0)
	v_mul_f32_e32 v17, v5, v7
	v_fma_f32 v17, v4, v6, -v17
	v_add_f32_e32 v17, v19, v17
	v_mul_f32_e32 v19, v5, v9
	v_mul_f32_e32 v18, v4, v7
	v_fma_f32 v19, v4, v8, -v19
	v_mul_f32_e32 v4, v4, v9
	v_fmac_f32_e32 v18, v5, v6
	v_fmac_f32_e32 v4, v5, v8
	v_add_f32_e32 v18, v20, v18
	v_add_f32_e32 v19, v2, v19
	;; [unrolled: 1-line block ×3, first 2 shown]
	v_mul_f32_e32 v2, v13, v7
	v_mul_f32_e32 v3, v12, v7
	v_fma_f32 v2, v12, v6, -v2
	v_fmac_f32_e32 v3, v13, v6
	v_add_f32_e32 v21, v15, v2
	v_add_f32_e32 v34, v16, v3
	v_mul_f32_e32 v2, v13, v9
	v_mul_f32_e32 v3, v12, v9
	v_fma_f32 v2, v12, v8, -v2
	v_fmac_f32_e32 v3, v13, v8
	v_add_f32_e32 v10, v10, v2
	v_add_f32_e32 v11, v11, v3
	ds_read_b128 v[2:5], v53 offset:96
	ds_read2_b64 v[6:9], v14 offset0:128 offset1:144
	s_waitcnt lgkmcnt(0)
	v_mul_f32_e32 v12, v3, v7
	v_mul_f32_e32 v13, v2, v7
	;; [unrolled: 1-line block ×3, first 2 shown]
	v_fma_f32 v12, v2, v6, -v12
	v_fmac_f32_e32 v13, v3, v6
	v_fma_f32 v15, v2, v8, -v15
	v_mul_f32_e32 v2, v2, v9
	v_add_f32_e32 v12, v17, v12
	v_add_f32_e32 v13, v18, v13
	v_fmac_f32_e32 v2, v3, v8
	v_add_f32_e32 v3, v19, v15
	ds_read_b128 v[15:18], v53 offset:4192
	v_add_f32_e32 v2, v20, v2
	s_waitcnt lgkmcnt(0)
	v_mul_f32_e32 v19, v16, v7
	v_mul_f32_e32 v7, v15, v7
	v_fmac_f32_e32 v7, v16, v6
	v_fma_f32 v19, v15, v6, -v19
	v_add_f32_e32 v20, v34, v7
	v_mul_f32_e32 v6, v16, v9
	v_mul_f32_e32 v7, v15, v9
	v_fma_f32 v6, v15, v8, -v6
	v_fmac_f32_e32 v7, v16, v8
	v_add_f32_e32 v19, v21, v19
	v_add_f32_e32 v21, v10, v6
	;; [unrolled: 1-line block ×3, first 2 shown]
	ds_read2_b64 v[6:9], v14 offset0:160 offset1:176
	s_waitcnt lgkmcnt(0)
	v_mul_f32_e32 v10, v5, v7
	v_fma_f32 v10, v4, v6, -v10
	v_add_f32_e32 v10, v12, v10
	v_mul_f32_e32 v12, v5, v9
	v_mul_f32_e32 v11, v4, v7
	v_fma_f32 v12, v4, v8, -v12
	v_mul_f32_e32 v4, v4, v9
	v_fmac_f32_e32 v11, v5, v6
	v_fmac_f32_e32 v4, v5, v8
	v_add_f32_e32 v11, v13, v11
	v_add_f32_e32 v12, v3, v12
	;; [unrolled: 1-line block ×3, first 2 shown]
	v_mul_f32_e32 v2, v18, v7
	v_mul_f32_e32 v3, v17, v7
	v_fma_f32 v2, v17, v6, -v2
	v_fmac_f32_e32 v3, v18, v6
	v_add_f32_e32 v15, v19, v2
	v_add_f32_e32 v16, v20, v3
	v_mul_f32_e32 v2, v18, v9
	v_mul_f32_e32 v3, v17, v9
	v_fma_f32 v2, v17, v8, -v2
	v_fmac_f32_e32 v3, v18, v8
	v_add_f32_e32 v17, v21, v2
	v_add_f32_e32 v18, v34, v3
	ds_read_b128 v[2:5], v53 offset:112
	ds_read2_b64 v[6:9], v14 offset0:192 offset1:208
	s_waitcnt lgkmcnt(0)
	v_mul_f32_e32 v19, v3, v7
	v_mul_f32_e32 v20, v2, v7
	v_fma_f32 v19, v2, v6, -v19
	v_fmac_f32_e32 v20, v3, v6
	v_add_f32_e32 v19, v10, v19
	v_add_f32_e32 v20, v11, v20
	v_mul_f32_e32 v10, v3, v9
	v_mul_f32_e32 v11, v2, v9
	v_fma_f32 v10, v2, v8, -v10
	v_fmac_f32_e32 v11, v3, v8
	v_add_f32_e32 v2, v12, v10
	v_add_f32_e32 v3, v13, v11
	ds_read_b128 v[10:13], v53 offset:4208
	s_waitcnt lgkmcnt(0)
	v_mul_f32_e32 v21, v11, v7
	v_mul_f32_e32 v7, v10, v7
	v_fmac_f32_e32 v7, v11, v6
	v_fma_f32 v21, v10, v6, -v21
	v_add_f32_e32 v16, v16, v7
	v_mul_f32_e32 v6, v11, v9
	v_mul_f32_e32 v7, v10, v9
	v_fma_f32 v6, v10, v8, -v6
	v_fmac_f32_e32 v7, v11, v8
	v_add_f32_e32 v10, v17, v6
	v_add_f32_e32 v11, v18, v7
	ds_read2_b64 v[6:9], v14 offset0:224 offset1:240
	v_add_f32_e32 v15, v15, v21
	s_waitcnt lgkmcnt(0)
	v_mul_f32_e32 v14, v5, v7
	v_fma_f32 v14, v4, v6, -v14
	v_add_f32_e32 v18, v19, v14
	v_mul_f32_e32 v14, v5, v9
	v_mul_f32_e32 v17, v4, v7
	v_fma_f32 v14, v4, v8, -v14
	v_mul_f32_e32 v4, v4, v9
	v_fmac_f32_e32 v17, v5, v6
	v_fmac_f32_e32 v4, v5, v8
	v_add_f32_e32 v17, v20, v17
	v_add_f32_e32 v19, v2, v14
	;; [unrolled: 1-line block ×3, first 2 shown]
	v_mul_f32_e32 v2, v13, v7
	v_mul_f32_e32 v3, v12, v7
	v_fma_f32 v2, v12, v6, -v2
	v_fmac_f32_e32 v3, v13, v6
	v_add_f32_e32 v21, v15, v2
	v_add_f32_e32 v34, v16, v3
	v_mul_f32_e32 v2, v13, v9
	v_mul_f32_e32 v3, v12, v9
	v_fma_f32 v2, v12, v8, -v2
	v_fmac_f32_e32 v3, v13, v8
	v_add_u32_e32 v14, 0x1000, v0
	v_add_f32_e32 v10, v10, v2
	v_add_f32_e32 v11, v11, v3
	ds_read_b128 v[2:5], v53 offset:128
	ds_read2_b64 v[6:9], v14 offset1:16
	s_waitcnt lgkmcnt(0)
	v_mul_f32_e32 v12, v3, v7
	v_mul_f32_e32 v13, v2, v7
	;; [unrolled: 1-line block ×3, first 2 shown]
	v_fma_f32 v12, v2, v6, -v12
	v_fmac_f32_e32 v13, v3, v6
	v_fma_f32 v15, v2, v8, -v15
	v_mul_f32_e32 v2, v2, v9
	v_add_f32_e32 v12, v18, v12
	v_add_f32_e32 v13, v17, v13
	v_fmac_f32_e32 v2, v3, v8
	v_add_f32_e32 v3, v19, v15
	ds_read_b128 v[15:18], v53 offset:4224
	v_add_f32_e32 v2, v20, v2
	s_waitcnt lgkmcnt(0)
	v_mul_f32_e32 v19, v16, v7
	v_mul_f32_e32 v7, v15, v7
	v_fmac_f32_e32 v7, v16, v6
	v_fma_f32 v19, v15, v6, -v19
	v_add_f32_e32 v20, v34, v7
	v_mul_f32_e32 v6, v16, v9
	v_mul_f32_e32 v7, v15, v9
	v_fma_f32 v6, v15, v8, -v6
	v_fmac_f32_e32 v7, v16, v8
	v_add_f32_e32 v19, v21, v19
	v_add_f32_e32 v21, v10, v6
	;; [unrolled: 1-line block ×3, first 2 shown]
	ds_read2_b64 v[6:9], v14 offset0:32 offset1:48
	s_waitcnt lgkmcnt(0)
	v_mul_f32_e32 v10, v5, v7
	v_fma_f32 v10, v4, v6, -v10
	v_add_f32_e32 v10, v12, v10
	v_mul_f32_e32 v12, v5, v9
	v_mul_f32_e32 v11, v4, v7
	v_fma_f32 v12, v4, v8, -v12
	v_mul_f32_e32 v4, v4, v9
	v_fmac_f32_e32 v11, v5, v6
	v_fmac_f32_e32 v4, v5, v8
	v_add_f32_e32 v11, v13, v11
	v_add_f32_e32 v12, v3, v12
	;; [unrolled: 1-line block ×3, first 2 shown]
	v_mul_f32_e32 v2, v18, v7
	v_mul_f32_e32 v3, v17, v7
	v_fma_f32 v2, v17, v6, -v2
	v_fmac_f32_e32 v3, v18, v6
	v_add_f32_e32 v15, v19, v2
	v_add_f32_e32 v16, v20, v3
	v_mul_f32_e32 v2, v18, v9
	v_mul_f32_e32 v3, v17, v9
	v_fma_f32 v2, v17, v8, -v2
	v_fmac_f32_e32 v3, v18, v8
	v_add_f32_e32 v17, v21, v2
	v_add_f32_e32 v18, v34, v3
	ds_read_b128 v[2:5], v53 offset:144
	ds_read2_b64 v[6:9], v14 offset0:64 offset1:80
	s_waitcnt lgkmcnt(0)
	v_mul_f32_e32 v19, v3, v7
	v_mul_f32_e32 v20, v2, v7
	v_fma_f32 v19, v2, v6, -v19
	v_fmac_f32_e32 v20, v3, v6
	v_add_f32_e32 v19, v10, v19
	v_add_f32_e32 v20, v11, v20
	v_mul_f32_e32 v10, v3, v9
	v_mul_f32_e32 v11, v2, v9
	v_fma_f32 v10, v2, v8, -v10
	v_fmac_f32_e32 v11, v3, v8
	v_add_f32_e32 v2, v12, v10
	v_add_f32_e32 v3, v13, v11
	ds_read_b128 v[10:13], v53 offset:4240
	s_waitcnt lgkmcnt(0)
	v_mul_f32_e32 v21, v11, v7
	v_mul_f32_e32 v7, v10, v7
	v_fmac_f32_e32 v7, v11, v6
	v_fma_f32 v21, v10, v6, -v21
	v_add_f32_e32 v16, v16, v7
	v_mul_f32_e32 v6, v11, v9
	v_mul_f32_e32 v7, v10, v9
	v_fma_f32 v6, v10, v8, -v6
	v_fmac_f32_e32 v7, v11, v8
	v_add_f32_e32 v10, v17, v6
	v_add_f32_e32 v11, v18, v7
	ds_read2_b64 v[6:9], v14 offset0:96 offset1:112
	v_add_f32_e32 v15, v15, v21
	s_waitcnt lgkmcnt(0)
	v_mul_f32_e32 v17, v5, v7
	v_fma_f32 v17, v4, v6, -v17
	v_add_f32_e32 v17, v19, v17
	v_mul_f32_e32 v19, v5, v9
	v_mul_f32_e32 v18, v4, v7
	v_fma_f32 v19, v4, v8, -v19
	v_mul_f32_e32 v4, v4, v9
	v_fmac_f32_e32 v18, v5, v6
	v_fmac_f32_e32 v4, v5, v8
	v_add_f32_e32 v18, v20, v18
	v_add_f32_e32 v19, v2, v19
	v_add_f32_e32 v20, v3, v4
	v_mul_f32_e32 v2, v13, v7
	v_mul_f32_e32 v3, v12, v7
	v_fma_f32 v2, v12, v6, -v2
	v_fmac_f32_e32 v3, v13, v6
	v_add_f32_e32 v21, v15, v2
	v_add_f32_e32 v34, v16, v3
	v_mul_f32_e32 v2, v13, v9
	v_mul_f32_e32 v3, v12, v9
	v_fma_f32 v2, v12, v8, -v2
	v_fmac_f32_e32 v3, v13, v8
	v_add_f32_e32 v10, v10, v2
	v_add_f32_e32 v11, v11, v3
	ds_read_b128 v[2:5], v53 offset:160
	ds_read2_b64 v[6:9], v14 offset0:128 offset1:144
	s_waitcnt lgkmcnt(0)
	v_mul_f32_e32 v12, v3, v7
	v_mul_f32_e32 v13, v2, v7
	;; [unrolled: 1-line block ×3, first 2 shown]
	v_fma_f32 v12, v2, v6, -v12
	v_fmac_f32_e32 v13, v3, v6
	v_fma_f32 v15, v2, v8, -v15
	v_mul_f32_e32 v2, v2, v9
	v_add_f32_e32 v12, v17, v12
	v_add_f32_e32 v13, v18, v13
	v_fmac_f32_e32 v2, v3, v8
	v_add_f32_e32 v3, v19, v15
	ds_read_b128 v[15:18], v53 offset:4256
	v_add_f32_e32 v2, v20, v2
	s_waitcnt lgkmcnt(0)
	v_mul_f32_e32 v19, v16, v7
	v_mul_f32_e32 v7, v15, v7
	v_fmac_f32_e32 v7, v16, v6
	v_fma_f32 v19, v15, v6, -v19
	v_add_f32_e32 v20, v34, v7
	v_mul_f32_e32 v6, v16, v9
	v_mul_f32_e32 v7, v15, v9
	v_fma_f32 v6, v15, v8, -v6
	v_fmac_f32_e32 v7, v16, v8
	v_add_f32_e32 v19, v21, v19
	v_add_f32_e32 v21, v10, v6
	;; [unrolled: 1-line block ×3, first 2 shown]
	ds_read2_b64 v[6:9], v14 offset0:160 offset1:176
	s_waitcnt lgkmcnt(0)
	v_mul_f32_e32 v10, v5, v7
	v_fma_f32 v10, v4, v6, -v10
	v_add_f32_e32 v10, v12, v10
	v_mul_f32_e32 v12, v5, v9
	v_mul_f32_e32 v11, v4, v7
	v_fma_f32 v12, v4, v8, -v12
	v_mul_f32_e32 v4, v4, v9
	v_fmac_f32_e32 v11, v5, v6
	v_fmac_f32_e32 v4, v5, v8
	v_add_f32_e32 v11, v13, v11
	v_add_f32_e32 v12, v3, v12
	;; [unrolled: 1-line block ×3, first 2 shown]
	v_mul_f32_e32 v2, v18, v7
	v_mul_f32_e32 v3, v17, v7
	v_fma_f32 v2, v17, v6, -v2
	v_fmac_f32_e32 v3, v18, v6
	v_add_f32_e32 v15, v19, v2
	v_add_f32_e32 v16, v20, v3
	v_mul_f32_e32 v2, v18, v9
	v_mul_f32_e32 v3, v17, v9
	v_fma_f32 v2, v17, v8, -v2
	v_fmac_f32_e32 v3, v18, v8
	v_add_f32_e32 v17, v21, v2
	v_add_f32_e32 v18, v34, v3
	ds_read_b128 v[2:5], v53 offset:176
	ds_read2_b64 v[6:9], v14 offset0:192 offset1:208
	s_waitcnt lgkmcnt(0)
	v_mul_f32_e32 v19, v3, v7
	v_mul_f32_e32 v20, v2, v7
	v_fma_f32 v19, v2, v6, -v19
	v_fmac_f32_e32 v20, v3, v6
	v_add_f32_e32 v19, v10, v19
	v_add_f32_e32 v20, v11, v20
	v_mul_f32_e32 v10, v3, v9
	v_mul_f32_e32 v11, v2, v9
	v_fma_f32 v10, v2, v8, -v10
	v_fmac_f32_e32 v11, v3, v8
	v_add_f32_e32 v2, v12, v10
	v_add_f32_e32 v3, v13, v11
	ds_read_b128 v[10:13], v53 offset:4272
	s_waitcnt lgkmcnt(0)
	v_mul_f32_e32 v21, v11, v7
	v_mul_f32_e32 v7, v10, v7
	v_fmac_f32_e32 v7, v11, v6
	v_fma_f32 v21, v10, v6, -v21
	v_add_f32_e32 v16, v16, v7
	v_mul_f32_e32 v6, v11, v9
	v_mul_f32_e32 v7, v10, v9
	v_fma_f32 v6, v10, v8, -v6
	v_fmac_f32_e32 v7, v11, v8
	v_add_f32_e32 v10, v17, v6
	v_add_f32_e32 v11, v18, v7
	ds_read2_b64 v[6:9], v14 offset0:224 offset1:240
	v_add_f32_e32 v15, v15, v21
	s_waitcnt lgkmcnt(0)
	v_mul_f32_e32 v14, v5, v7
	v_fma_f32 v14, v4, v6, -v14
	v_add_f32_e32 v18, v19, v14
	v_mul_f32_e32 v14, v5, v9
	v_mul_f32_e32 v17, v4, v7
	v_fma_f32 v14, v4, v8, -v14
	v_mul_f32_e32 v4, v4, v9
	v_fmac_f32_e32 v17, v5, v6
	v_fmac_f32_e32 v4, v5, v8
	v_add_f32_e32 v17, v20, v17
	v_add_f32_e32 v19, v2, v14
	v_add_f32_e32 v20, v3, v4
	v_mul_f32_e32 v2, v13, v7
	v_mul_f32_e32 v3, v12, v7
	v_fma_f32 v2, v12, v6, -v2
	v_fmac_f32_e32 v3, v13, v6
	v_add_f32_e32 v21, v15, v2
	v_add_f32_e32 v34, v16, v3
	v_mul_f32_e32 v2, v13, v9
	v_mul_f32_e32 v3, v12, v9
	v_fma_f32 v2, v12, v8, -v2
	v_fmac_f32_e32 v3, v13, v8
	v_add_u32_e32 v14, 0x1800, v0
	v_add_f32_e32 v10, v10, v2
	v_add_f32_e32 v11, v11, v3
	ds_read_b128 v[2:5], v53 offset:192
	ds_read2_b64 v[6:9], v14 offset1:16
	s_waitcnt lgkmcnt(0)
	v_mul_f32_e32 v12, v3, v7
	v_mul_f32_e32 v13, v2, v7
	;; [unrolled: 1-line block ×3, first 2 shown]
	v_fma_f32 v12, v2, v6, -v12
	v_fmac_f32_e32 v13, v3, v6
	v_fma_f32 v15, v2, v8, -v15
	v_mul_f32_e32 v2, v2, v9
	v_add_f32_e32 v12, v18, v12
	v_add_f32_e32 v13, v17, v13
	v_fmac_f32_e32 v2, v3, v8
	v_add_f32_e32 v3, v19, v15
	ds_read_b128 v[15:18], v53 offset:4288
	v_add_f32_e32 v2, v20, v2
	s_waitcnt lgkmcnt(0)
	v_mul_f32_e32 v19, v16, v7
	v_mul_f32_e32 v7, v15, v7
	v_fmac_f32_e32 v7, v16, v6
	v_fma_f32 v19, v15, v6, -v19
	v_add_f32_e32 v20, v34, v7
	v_mul_f32_e32 v6, v16, v9
	v_mul_f32_e32 v7, v15, v9
	v_fma_f32 v6, v15, v8, -v6
	v_fmac_f32_e32 v7, v16, v8
	v_add_f32_e32 v19, v21, v19
	v_add_f32_e32 v21, v10, v6
	;; [unrolled: 1-line block ×3, first 2 shown]
	ds_read2_b64 v[6:9], v14 offset0:32 offset1:48
	s_waitcnt lgkmcnt(0)
	v_mul_f32_e32 v10, v5, v7
	v_fma_f32 v10, v4, v6, -v10
	v_add_f32_e32 v10, v12, v10
	v_mul_f32_e32 v12, v5, v9
	v_mul_f32_e32 v11, v4, v7
	v_fma_f32 v12, v4, v8, -v12
	v_mul_f32_e32 v4, v4, v9
	v_fmac_f32_e32 v11, v5, v6
	v_fmac_f32_e32 v4, v5, v8
	v_add_f32_e32 v11, v13, v11
	v_add_f32_e32 v12, v3, v12
	;; [unrolled: 1-line block ×3, first 2 shown]
	v_mul_f32_e32 v2, v18, v7
	v_mul_f32_e32 v3, v17, v7
	v_fma_f32 v2, v17, v6, -v2
	v_fmac_f32_e32 v3, v18, v6
	v_add_f32_e32 v15, v19, v2
	v_add_f32_e32 v16, v20, v3
	v_mul_f32_e32 v2, v18, v9
	v_mul_f32_e32 v3, v17, v9
	v_fma_f32 v2, v17, v8, -v2
	v_fmac_f32_e32 v3, v18, v8
	v_add_f32_e32 v17, v21, v2
	v_add_f32_e32 v18, v34, v3
	ds_read_b128 v[2:5], v53 offset:208
	ds_read2_b64 v[6:9], v14 offset0:64 offset1:80
	s_waitcnt lgkmcnt(0)
	v_mul_f32_e32 v19, v3, v7
	v_mul_f32_e32 v20, v2, v7
	v_fma_f32 v19, v2, v6, -v19
	v_fmac_f32_e32 v20, v3, v6
	v_add_f32_e32 v19, v10, v19
	v_add_f32_e32 v20, v11, v20
	v_mul_f32_e32 v10, v3, v9
	v_mul_f32_e32 v11, v2, v9
	v_fma_f32 v10, v2, v8, -v10
	v_fmac_f32_e32 v11, v3, v8
	v_add_f32_e32 v2, v12, v10
	v_add_f32_e32 v3, v13, v11
	ds_read_b128 v[10:13], v53 offset:4304
	s_waitcnt lgkmcnt(0)
	v_mul_f32_e32 v21, v11, v7
	v_mul_f32_e32 v7, v10, v7
	v_fmac_f32_e32 v7, v11, v6
	v_fma_f32 v21, v10, v6, -v21
	v_add_f32_e32 v16, v16, v7
	v_mul_f32_e32 v6, v11, v9
	v_mul_f32_e32 v7, v10, v9
	v_fma_f32 v6, v10, v8, -v6
	v_fmac_f32_e32 v7, v11, v8
	v_add_f32_e32 v10, v17, v6
	v_add_f32_e32 v11, v18, v7
	ds_read2_b64 v[6:9], v14 offset0:96 offset1:112
	v_add_f32_e32 v15, v15, v21
	s_waitcnt lgkmcnt(0)
	v_mul_f32_e32 v17, v5, v7
	v_fma_f32 v17, v4, v6, -v17
	v_add_f32_e32 v17, v19, v17
	v_mul_f32_e32 v19, v5, v9
	v_mul_f32_e32 v18, v4, v7
	v_fma_f32 v19, v4, v8, -v19
	v_mul_f32_e32 v4, v4, v9
	v_fmac_f32_e32 v18, v5, v6
	v_fmac_f32_e32 v4, v5, v8
	v_add_f32_e32 v18, v20, v18
	v_add_f32_e32 v19, v2, v19
	;; [unrolled: 1-line block ×3, first 2 shown]
	v_mul_f32_e32 v2, v13, v7
	v_mul_f32_e32 v3, v12, v7
	v_fma_f32 v2, v12, v6, -v2
	v_fmac_f32_e32 v3, v13, v6
	v_add_f32_e32 v21, v15, v2
	v_add_f32_e32 v34, v16, v3
	v_mul_f32_e32 v2, v13, v9
	v_mul_f32_e32 v3, v12, v9
	v_fma_f32 v2, v12, v8, -v2
	v_fmac_f32_e32 v3, v13, v8
	v_add_f32_e32 v10, v10, v2
	v_add_f32_e32 v11, v11, v3
	ds_read_b128 v[2:5], v53 offset:224
	ds_read2_b64 v[6:9], v14 offset0:128 offset1:144
	s_waitcnt lgkmcnt(0)
	v_mul_f32_e32 v12, v3, v7
	v_mul_f32_e32 v13, v2, v7
	;; [unrolled: 1-line block ×3, first 2 shown]
	v_fma_f32 v12, v2, v6, -v12
	v_fmac_f32_e32 v13, v3, v6
	v_fma_f32 v15, v2, v8, -v15
	v_mul_f32_e32 v2, v2, v9
	v_add_f32_e32 v12, v17, v12
	v_add_f32_e32 v13, v18, v13
	v_fmac_f32_e32 v2, v3, v8
	v_add_f32_e32 v3, v19, v15
	ds_read_b128 v[15:18], v53 offset:4320
	v_add_f32_e32 v2, v20, v2
	s_waitcnt lgkmcnt(0)
	v_mul_f32_e32 v19, v16, v7
	v_mul_f32_e32 v7, v15, v7
	v_fmac_f32_e32 v7, v16, v6
	v_fma_f32 v19, v15, v6, -v19
	v_add_f32_e32 v20, v34, v7
	v_mul_f32_e32 v6, v16, v9
	v_mul_f32_e32 v7, v15, v9
	v_fma_f32 v6, v15, v8, -v6
	v_fmac_f32_e32 v7, v16, v8
	v_add_f32_e32 v19, v21, v19
	v_add_f32_e32 v21, v10, v6
	;; [unrolled: 1-line block ×3, first 2 shown]
	ds_read2_b64 v[6:9], v14 offset0:160 offset1:176
	s_waitcnt lgkmcnt(0)
	v_mul_f32_e32 v10, v5, v7
	v_fma_f32 v10, v4, v6, -v10
	v_add_f32_e32 v10, v12, v10
	v_mul_f32_e32 v12, v5, v9
	v_mul_f32_e32 v11, v4, v7
	v_fma_f32 v12, v4, v8, -v12
	v_mul_f32_e32 v4, v4, v9
	v_fmac_f32_e32 v11, v5, v6
	v_fmac_f32_e32 v4, v5, v8
	v_add_f32_e32 v11, v13, v11
	v_add_f32_e32 v12, v3, v12
	v_add_f32_e32 v13, v2, v4
	v_mul_f32_e32 v2, v18, v7
	v_mul_f32_e32 v3, v17, v7
	v_fma_f32 v2, v17, v6, -v2
	v_fmac_f32_e32 v3, v18, v6
	v_add_f32_e32 v15, v19, v2
	v_add_f32_e32 v16, v20, v3
	v_mul_f32_e32 v2, v18, v9
	v_mul_f32_e32 v3, v17, v9
	v_fma_f32 v2, v17, v8, -v2
	v_fmac_f32_e32 v3, v18, v8
	v_add_f32_e32 v17, v21, v2
	v_add_f32_e32 v18, v34, v3
	ds_read_b128 v[2:5], v53 offset:240
	ds_read2_b64 v[6:9], v14 offset0:192 offset1:208
	s_waitcnt lgkmcnt(0)
	v_mul_f32_e32 v19, v3, v7
	v_mul_f32_e32 v20, v2, v7
	v_fma_f32 v19, v2, v6, -v19
	v_fmac_f32_e32 v20, v3, v6
	v_add_f32_e32 v19, v10, v19
	v_add_f32_e32 v21, v11, v20
	v_mul_f32_e32 v10, v3, v9
	v_mul_f32_e32 v11, v2, v9
	v_fma_f32 v10, v2, v8, -v10
	v_fmac_f32_e32 v11, v3, v8
	v_add_f32_e32 v2, v12, v10
	v_add_f32_e32 v3, v13, v11
	ds_read_b128 v[10:13], v53 offset:4336
	s_waitcnt lgkmcnt(0)
	v_mul_f32_e32 v20, v11, v7
	v_mul_f32_e32 v7, v10, v7
	v_fmac_f32_e32 v7, v11, v6
	v_fma_f32 v20, v10, v6, -v20
	v_add_f32_e32 v34, v16, v7
	v_mul_f32_e32 v6, v11, v9
	v_mul_f32_e32 v7, v10, v9
	v_fma_f32 v6, v10, v8, -v6
	v_fmac_f32_e32 v7, v11, v8
	v_add_f32_e32 v10, v17, v6
	v_add_f32_e32 v11, v18, v7
	ds_read2_b64 v[6:9], v14 offset0:224 offset1:240
	v_add_f32_e32 v15, v15, v20
	s_waitcnt lgkmcnt(0)
	s_barrier
	v_mul_f32_e32 v14, v5, v7
	v_fma_f32 v14, v4, v6, -v14
	v_add_f32_e32 v20, v19, v14
	v_mul_f32_e32 v14, v5, v9
	v_mul_f32_e32 v16, v4, v7
	v_fma_f32 v14, v4, v8, -v14
	v_mul_f32_e32 v4, v4, v9
	v_fmac_f32_e32 v4, v5, v8
	v_add_f32_e32 v18, v2, v14
	v_add_f32_e32 v19, v3, v4
	v_mul_f32_e32 v2, v13, v7
	v_mul_f32_e32 v3, v12, v7
	v_fmac_f32_e32 v16, v5, v6
	v_fma_f32 v2, v12, v6, -v2
	v_fmac_f32_e32 v3, v13, v6
	v_add_f32_e32 v21, v21, v16
	v_add_f32_e32 v16, v15, v2
	;; [unrolled: 1-line block ×3, first 2 shown]
	v_mul_f32_e32 v2, v13, v9
	v_mul_f32_e32 v3, v12, v9
	v_fma_f32 v2, v12, v8, -v2
	v_fmac_f32_e32 v3, v13, v8
	v_add_f32_e32 v15, v10, v2
	v_add_f32_e32 v14, v11, v3
	s_cbranch_scc1 .LBB81_56
.LBB81_7:                               ;   Parent Loop BB81_4 Depth=1
                                        ; =>  This Inner Loop Header: Depth=2
	v_mov_b32_e32 v2, s27
	v_add_co_u32_e64 v4, s[10:11], s26, v24
	v_addc_co_u32_e64 v5, s[10:11], v25, v2, s[10:11]
	v_mov_b32_e32 v3, s23
	v_add_co_u32_e64 v2, s[10:11], s22, v50
	v_addc_co_u32_e64 v3, s[10:11], v51, v3, s[10:11]
	v_cmp_le_i64_e64 s[12:13], s[38:39], v[4:5]
	v_cmp_eq_u64_e64 s[16:17], s[26:27], v[30:31]
	v_cmp_lt_i64_e64 s[10:11], v[4:5], v[22:23]
	s_and_b64 s[44:45], s[36:37], s[16:17]
	s_or_b64 s[16:17], s[12:13], s[10:11]
	s_or_b64 s[16:17], s[16:17], s[44:45]
	s_nor_b64 s[16:17], s[0:1], s[16:17]
	s_and_saveexec_b64 s[18:19], s[16:17]
	s_xor_b64 s[16:17], exec, s[18:19]
	s_cbranch_execz .LBB81_9
; %bb.8:                                ;   in Loop: Header=BB81_7 Depth=2
	global_load_dwordx2 v[6:7], v[2:3], off
	s_waitcnt vmcnt(0)
	v_xor_b32_e32 v7, 0x80000000, v7
	ds_write_b64 v52, v[6:7]
.LBB81_9:                               ;   in Loop: Header=BB81_7 Depth=2
	s_or_saveexec_b64 s[16:17], s[16:17]
	s_xor_b64 s[28:29], s[44:45], -1
	s_xor_b64 exec, exec, s[16:17]
	s_cbranch_execz .LBB81_15
; %bb.10:                               ;   in Loop: Header=BB81_7 Depth=2
	s_and_saveexec_b64 s[18:19], s[28:29]
	s_xor_b64 s[18:19], exec, s[18:19]
; %bb.11:                               ;   in Loop: Header=BB81_7 Depth=2
	v_mov_b32_e32 v6, v43
	v_mov_b32_e32 v7, v43
	ds_write_b64 v52, v[6:7]
; %bb.12:                               ;   in Loop: Header=BB81_7 Depth=2
	s_andn2_saveexec_b64 s[18:19], s[18:19]
; %bb.13:                               ;   in Loop: Header=BB81_7 Depth=2
	ds_write_b64 v52, v[42:43]
; %bb.14:                               ;   in Loop: Header=BB81_7 Depth=2
	s_or_b64 exec, exec, s[18:19]
.LBB81_15:                              ;   in Loop: Header=BB81_7 Depth=2
	s_or_b64 exec, exec, s[16:17]
	v_cmp_eq_u64_e64 s[16:17], s[26:27], v[32:33]
	v_cmp_gt_i64_e64 s[18:19], v[26:27], v[4:5]
	s_and_b64 s[16:17], s[36:37], s[16:17]
	s_or_b64 s[12:13], s[12:13], s[18:19]
	s_or_b64 s[12:13], s[12:13], s[16:17]
	s_nor_b64 s[12:13], s[2:3], s[12:13]
	s_and_saveexec_b64 s[18:19], s[12:13]
	s_xor_b64 s[18:19], exec, s[18:19]
	s_cbranch_execz .LBB81_17
; %bb.16:                               ;   in Loop: Header=BB81_7 Depth=2
	v_mov_b32_e32 v7, s23
	v_add_co_u32_e64 v6, s[12:13], s22, v54
	v_addc_co_u32_e64 v7, s[12:13], v55, v7, s[12:13]
	global_load_dwordx2 v[6:7], v[6:7], off
	s_waitcnt vmcnt(0)
	v_xor_b32_e32 v7, 0x80000000, v7
	ds_write_b64 v52, v[6:7] offset:128
.LBB81_17:                              ;   in Loop: Header=BB81_7 Depth=2
	s_andn2_saveexec_b64 s[12:13], s[18:19]
	s_cbranch_execz .LBB81_23
; %bb.18:                               ;   in Loop: Header=BB81_7 Depth=2
	s_xor_b64 s[16:17], s[16:17], -1
	s_and_saveexec_b64 s[18:19], s[16:17]
	s_xor_b64 s[16:17], exec, s[18:19]
; %bb.19:                               ;   in Loop: Header=BB81_7 Depth=2
	v_mov_b32_e32 v6, v43
	v_mov_b32_e32 v7, v43
	ds_write_b64 v52, v[6:7] offset:128
; %bb.20:                               ;   in Loop: Header=BB81_7 Depth=2
	s_andn2_saveexec_b64 s[16:17], s[16:17]
; %bb.21:                               ;   in Loop: Header=BB81_7 Depth=2
	ds_write_b64 v52, v[42:43] offset:128
; %bb.22:                               ;   in Loop: Header=BB81_7 Depth=2
	s_or_b64 exec, exec, s[16:17]
.LBB81_23:                              ;   in Loop: Header=BB81_7 Depth=2
	s_or_b64 exec, exec, s[12:13]
	v_add_co_u32_e64 v4, s[12:13], 16, v4
	v_addc_co_u32_e64 v5, s[12:13], 0, v5, s[12:13]
	v_cmp_le_i64_e64 s[12:13], s[38:39], v[4:5]
	v_cmp_eq_u64_e64 s[16:17], s[26:27], v[36:37]
	v_cmp_lt_i64_e64 s[18:19], v[4:5], v[22:23]
	s_and_b64 s[46:47], s[36:37], s[16:17]
	s_or_b64 s[16:17], s[12:13], s[18:19]
	s_or_b64 s[16:17], s[16:17], s[46:47]
	s_nor_b64 s[16:17], s[0:1], s[16:17]
	s_and_saveexec_b64 s[18:19], s[16:17]
	s_xor_b64 s[16:17], exec, s[18:19]
	s_cbranch_execz .LBB81_25
; %bb.24:                               ;   in Loop: Header=BB81_7 Depth=2
	global_load_dwordx2 v[2:3], v[2:3], off offset:128
	s_waitcnt vmcnt(0)
	v_xor_b32_e32 v3, 0x80000000, v3
	ds_write_b64 v52, v[2:3] offset:4096
.LBB81_25:                              ;   in Loop: Header=BB81_7 Depth=2
	s_andn2_saveexec_b64 s[16:17], s[16:17]
	s_cbranch_execz .LBB81_31
; %bb.26:                               ;   in Loop: Header=BB81_7 Depth=2
	s_xor_b64 s[18:19], s[46:47], -1
	s_and_saveexec_b64 s[46:47], s[18:19]
	s_xor_b64 s[18:19], exec, s[46:47]
; %bb.27:                               ;   in Loop: Header=BB81_7 Depth=2
	v_mov_b32_e32 v2, v43
	v_mov_b32_e32 v3, v43
	ds_write_b64 v52, v[2:3] offset:4096
; %bb.28:                               ;   in Loop: Header=BB81_7 Depth=2
	s_andn2_saveexec_b64 s[18:19], s[18:19]
; %bb.29:                               ;   in Loop: Header=BB81_7 Depth=2
	ds_write_b64 v52, v[42:43] offset:4096
; %bb.30:                               ;   in Loop: Header=BB81_7 Depth=2
	s_or_b64 exec, exec, s[18:19]
.LBB81_31:                              ;   in Loop: Header=BB81_7 Depth=2
	s_or_b64 exec, exec, s[16:17]
	s_or_b64 s[10:11], s[12:13], s[10:11]
	s_or_b64 s[10:11], s[10:11], s[44:45]
	s_nor_b64 s[10:11], s[2:3], s[10:11]
	s_and_saveexec_b64 s[12:13], s[10:11]
	s_xor_b64 s[12:13], exec, s[12:13]
	s_cbranch_execz .LBB81_33
; %bb.32:                               ;   in Loop: Header=BB81_7 Depth=2
	v_mov_b32_e32 v3, s23
	v_add_co_u32_e64 v2, s[10:11], s22, v54
	v_addc_co_u32_e64 v3, s[10:11], v55, v3, s[10:11]
	global_load_dwordx2 v[2:3], v[2:3], off offset:128
	s_waitcnt vmcnt(0)
	v_xor_b32_e32 v3, 0x80000000, v3
	ds_write_b64 v52, v[2:3] offset:4224
.LBB81_33:                              ;   in Loop: Header=BB81_7 Depth=2
	s_andn2_saveexec_b64 s[10:11], s[12:13]
	s_cbranch_execz .LBB81_39
; %bb.34:                               ;   in Loop: Header=BB81_7 Depth=2
	s_and_saveexec_b64 s[12:13], s[28:29]
	s_xor_b64 s[12:13], exec, s[12:13]
; %bb.35:                               ;   in Loop: Header=BB81_7 Depth=2
	v_mov_b32_e32 v2, v43
	v_mov_b32_e32 v3, v43
	ds_write_b64 v52, v[2:3] offset:4224
; %bb.36:                               ;   in Loop: Header=BB81_7 Depth=2
	s_andn2_saveexec_b64 s[12:13], s[12:13]
; %bb.37:                               ;   in Loop: Header=BB81_7 Depth=2
	ds_write_b64 v52, v[42:43] offset:4224
; %bb.38:                               ;   in Loop: Header=BB81_7 Depth=2
	s_or_b64 exec, exec, s[12:13]
.LBB81_39:                              ;   in Loop: Header=BB81_7 Depth=2
	s_or_b64 exec, exec, s[10:11]
	v_mov_b32_e32 v3, s27
	v_add_co_u32_e64 v2, s[10:11], s26, v22
	v_addc_co_u32_e64 v3, s[10:11], v23, v3, s[10:11]
	v_cmp_gt_i64_e64 s[10:11], s[38:39], v[2:3]
	s_and_b64 s[12:13], vcc, s[10:11]
	s_xor_b64 s[12:13], s[12:13], -1
	s_and_saveexec_b64 s[16:17], s[12:13]
	s_xor_b64 s[12:13], exec, s[16:17]
; %bb.40:                               ;   in Loop: Header=BB81_7 Depth=2
	v_mov_b32_e32 v4, v43
	v_mov_b32_e32 v5, v43
	ds_write_b64 v56, v[4:5]
; %bb.41:                               ;   in Loop: Header=BB81_7 Depth=2
	s_or_saveexec_b64 s[16:17], s[12:13]
	v_mov_b32_e32 v5, s23
	v_add_co_u32_e64 v4, s[12:13], s22, v46
	v_addc_co_u32_e64 v5, s[12:13], v47, v5, s[12:13]
	s_xor_b64 exec, exec, s[16:17]
	s_cbranch_execz .LBB81_43
; %bb.42:                               ;   in Loop: Header=BB81_7 Depth=2
	global_load_dwordx2 v[6:7], v[4:5], off offset:-128
	s_waitcnt vmcnt(0)
	ds_write_b64 v56, v[6:7]
.LBB81_43:                              ;   in Loop: Header=BB81_7 Depth=2
	s_or_b64 exec, exec, s[16:17]
	v_cmp_gt_i64_e64 s[12:13], s[42:43], v[2:3]
	s_and_b64 s[16:17], vcc, s[12:13]
	s_xor_b64 s[16:17], s[16:17], -1
	s_and_saveexec_b64 s[18:19], s[16:17]
	s_xor_b64 s[16:17], exec, s[18:19]
; %bb.44:                               ;   in Loop: Header=BB81_7 Depth=2
	v_mov_b32_e32 v2, v43
	v_mov_b32_e32 v3, v43
	ds_write_b64 v56, v[2:3] offset:128
                                        ; implicit-def: $vgpr4_vgpr5
; %bb.45:                               ;   in Loop: Header=BB81_7 Depth=2
	s_andn2_saveexec_b64 s[16:17], s[16:17]
	s_cbranch_execz .LBB81_47
; %bb.46:                               ;   in Loop: Header=BB81_7 Depth=2
	global_load_dwordx2 v[2:3], v[4:5], off
	s_waitcnt vmcnt(0)
	ds_write_b64 v56, v[2:3] offset:128
.LBB81_47:                              ;   in Loop: Header=BB81_7 Depth=2
	s_or_b64 exec, exec, s[16:17]
	s_and_b64 s[10:11], s[8:9], s[10:11]
	s_xor_b64 s[10:11], s[10:11], -1
	s_and_saveexec_b64 s[16:17], s[10:11]
	s_xor_b64 s[10:11], exec, s[16:17]
; %bb.48:                               ;   in Loop: Header=BB81_7 Depth=2
	v_mov_b32_e32 v2, v43
	v_mov_b32_e32 v3, v43
	ds_write_b64 v56, v[2:3] offset:4096
; %bb.49:                               ;   in Loop: Header=BB81_7 Depth=2
	s_or_saveexec_b64 s[16:17], s[10:11]
	v_mov_b32_e32 v3, s23
	v_add_co_u32_e64 v2, s[10:11], s22, v48
	v_addc_co_u32_e64 v3, s[10:11], v49, v3, s[10:11]
	s_xor_b64 exec, exec, s[16:17]
	s_cbranch_execz .LBB81_51
; %bb.50:                               ;   in Loop: Header=BB81_7 Depth=2
	global_load_dwordx2 v[4:5], v[2:3], off
	s_waitcnt vmcnt(0)
	ds_write_b64 v56, v[4:5] offset:4096
.LBB81_51:                              ;   in Loop: Header=BB81_7 Depth=2
	s_or_b64 exec, exec, s[16:17]
	s_and_b64 s[10:11], s[8:9], s[12:13]
	s_xor_b64 s[10:11], s[10:11], -1
	s_and_saveexec_b64 s[12:13], s[10:11]
	s_xor_b64 s[10:11], exec, s[12:13]
; %bb.52:                               ;   in Loop: Header=BB81_7 Depth=2
	v_mov_b32_e32 v2, v43
	v_mov_b32_e32 v3, v43
	ds_write_b64 v56, v[2:3] offset:4224
                                        ; implicit-def: $vgpr2_vgpr3
; %bb.53:                               ;   in Loop: Header=BB81_7 Depth=2
	s_andn2_saveexec_b64 s[10:11], s[10:11]
	s_cbranch_execz .LBB81_6
; %bb.54:                               ;   in Loop: Header=BB81_7 Depth=2
	global_load_dwordx2 v[2:3], v[2:3], off offset:128
	s_waitcnt vmcnt(0)
	ds_write_b64 v56, v[2:3] offset:4224
	s_branch .LBB81_6
.LBB81_55:                              ;   in Loop: Header=BB81_4 Depth=1
	v_mov_b32_e32 v20, 0
	v_mov_b32_e32 v21, 0
	;; [unrolled: 1-line block ×8, first 2 shown]
.LBB81_56:                              ;   in Loop: Header=BB81_4 Depth=1
	v_mul_lo_u32 v4, s41, v57
	v_mul_lo_u32 v5, s40, v58
	v_mad_u64_u32 v[2:3], s[8:9], s40, v57, 0
	v_cmp_gt_i32_e32 vcc, s30, v57
	v_add3_u32 v3, v3, v5, v4
	v_lshlrev_b64 v[2:3], 3, v[2:3]
	v_mov_b32_e32 v4, s50
	v_add_co_u32_e64 v2, s[8:9], s49, v2
	v_addc_co_u32_e64 v3, s[8:9], v4, v3, s[8:9]
	s_and_b64 s[8:9], s[4:5], vcc
	s_and_saveexec_b64 s[10:11], s[8:9]
	s_cbranch_execz .LBB81_58
; %bb.57:                               ;   in Loop: Header=BB81_4 Depth=1
	v_lshlrev_b64 v[4:5], 3, v[22:23]
	v_mul_f32_e32 v8, s33, v21
	v_add_co_u32_e64 v4, s[8:9], v2, v4
	v_addc_co_u32_e64 v5, s[8:9], v3, v5, s[8:9]
	global_load_dwordx2 v[6:7], v[4:5], off
	v_mul_f32_e32 v9, s31, v21
	v_fma_f32 v8, v20, s31, -v8
	v_fmac_f32_e32 v9, s33, v20
	s_waitcnt vmcnt(0)
	v_add_f32_e32 v6, v6, v8
	v_add_f32_e32 v7, v9, v7
	global_store_dwordx2 v[4:5], v[6:7], off
.LBB81_58:                              ;   in Loop: Header=BB81_4 Depth=1
	s_or_b64 exec, exec, s[10:11]
	s_and_b64 s[10:11], s[14:15], vcc
	s_and_saveexec_b64 s[8:9], s[10:11]
	s_cbranch_execz .LBB81_60
; %bb.59:                               ;   in Loop: Header=BB81_4 Depth=1
	v_lshlrev_b64 v[4:5], 3, v[28:29]
	v_mul_f32_e32 v6, s33, v19
	v_add_co_u32_e32 v2, vcc, v2, v4
	v_addc_co_u32_e32 v3, vcc, v3, v5, vcc
	global_load_dwordx2 v[4:5], v[2:3], off
	v_mul_f32_e32 v7, s31, v19
	v_fma_f32 v6, v18, s31, -v6
	v_fmac_f32_e32 v7, s33, v18
	s_waitcnt vmcnt(0)
	v_add_f32_e32 v4, v4, v6
	v_add_f32_e32 v5, v7, v5
	global_store_dwordx2 v[2:3], v[4:5], off
.LBB81_60:                              ;   in Loop: Header=BB81_4 Depth=1
	s_or_b64 exec, exec, s[8:9]
	v_add_u32_e32 v4, 16, v57
	v_ashrrev_i32_e32 v2, 31, v4
	v_mul_lo_u32 v5, s40, v2
	v_mul_lo_u32 v6, s41, v4
	v_mad_u64_u32 v[2:3], s[8:9], s40, v4, 0
	v_cmp_gt_i32_e32 vcc, s30, v4
	v_mov_b32_e32 v4, s50
	v_add3_u32 v3, v3, v5, v6
	v_lshlrev_b64 v[2:3], 3, v[2:3]
	v_add_co_u32_e64 v2, s[8:9], s49, v2
	v_addc_co_u32_e64 v3, s[8:9], v4, v3, s[8:9]
	s_and_b64 s[8:9], s[4:5], vcc
	s_and_saveexec_b64 s[10:11], s[8:9]
	s_cbranch_execz .LBB81_62
; %bb.61:                               ;   in Loop: Header=BB81_4 Depth=1
	v_lshlrev_b64 v[4:5], 3, v[22:23]
	v_mul_f32_e32 v8, s33, v17
	v_add_co_u32_e64 v4, s[8:9], v2, v4
	v_addc_co_u32_e64 v5, s[8:9], v3, v5, s[8:9]
	global_load_dwordx2 v[6:7], v[4:5], off
	v_mul_f32_e32 v9, s31, v17
	v_fma_f32 v8, v16, s31, -v8
	v_fmac_f32_e32 v9, s33, v16
	s_waitcnt vmcnt(0)
	v_add_f32_e32 v6, v6, v8
	v_add_f32_e32 v7, v9, v7
	global_store_dwordx2 v[4:5], v[6:7], off
.LBB81_62:                              ;   in Loop: Header=BB81_4 Depth=1
	s_or_b64 exec, exec, s[10:11]
	s_and_b64 s[10:11], s[14:15], vcc
	s_and_saveexec_b64 s[8:9], s[10:11]
	s_cbranch_execz .LBB81_3
; %bb.63:                               ;   in Loop: Header=BB81_4 Depth=1
	v_lshlrev_b64 v[4:5], 3, v[28:29]
	v_mul_f32_e32 v6, s33, v14
	v_add_co_u32_e32 v2, vcc, v2, v4
	v_addc_co_u32_e32 v3, vcc, v3, v5, vcc
	global_load_dwordx2 v[4:5], v[2:3], off
	v_mul_f32_e32 v7, s31, v14
	v_fma_f32 v6, v15, s31, -v6
	v_fmac_f32_e32 v7, s33, v15
	s_waitcnt vmcnt(0)
	v_add_f32_e32 v4, v4, v6
	v_add_f32_e32 v5, v7, v5
	global_store_dwordx2 v[2:3], v[4:5], off
	s_branch .LBB81_3
.LBB81_64:
	s_endpgm
	.section	.rodata,"a",@progbits
	.p2align	6, 0x0
	.amdhsa_kernel _ZL30rocblas_trmm_outofplace_kernelI19rocblas_complex_numIfELi32ELi2ELb1ELb0ELb1ELb1ES1_KS1_S1_Ev17rocblas_diagonal_iiT6_lPT7_lllS6_lllPT8_llli
		.amdhsa_group_segment_fixed_size 16384
		.amdhsa_private_segment_fixed_size 20
		.amdhsa_kernarg_size 392
		.amdhsa_user_sgpr_count 6
		.amdhsa_user_sgpr_private_segment_buffer 1
		.amdhsa_user_sgpr_dispatch_ptr 0
		.amdhsa_user_sgpr_queue_ptr 0
		.amdhsa_user_sgpr_kernarg_segment_ptr 1
		.amdhsa_user_sgpr_dispatch_id 0
		.amdhsa_user_sgpr_flat_scratch_init 0
		.amdhsa_user_sgpr_private_segment_size 0
		.amdhsa_uses_dynamic_stack 0
		.amdhsa_system_sgpr_private_segment_wavefront_offset 1
		.amdhsa_system_sgpr_workgroup_id_x 1
		.amdhsa_system_sgpr_workgroup_id_y 1
		.amdhsa_system_sgpr_workgroup_id_z 1
		.amdhsa_system_sgpr_workgroup_info 0
		.amdhsa_system_vgpr_workitem_id 1
		.amdhsa_next_free_vgpr 64
		.amdhsa_next_free_sgpr 61
		.amdhsa_reserve_vcc 1
		.amdhsa_reserve_flat_scratch 0
		.amdhsa_float_round_mode_32 0
		.amdhsa_float_round_mode_16_64 0
		.amdhsa_float_denorm_mode_32 3
		.amdhsa_float_denorm_mode_16_64 3
		.amdhsa_dx10_clamp 1
		.amdhsa_ieee_mode 1
		.amdhsa_fp16_overflow 0
		.amdhsa_exception_fp_ieee_invalid_op 0
		.amdhsa_exception_fp_denorm_src 0
		.amdhsa_exception_fp_ieee_div_zero 0
		.amdhsa_exception_fp_ieee_overflow 0
		.amdhsa_exception_fp_ieee_underflow 0
		.amdhsa_exception_fp_ieee_inexact 0
		.amdhsa_exception_int_div_zero 0
	.end_amdhsa_kernel
	.section	.text._ZL30rocblas_trmm_outofplace_kernelI19rocblas_complex_numIfELi32ELi2ELb1ELb0ELb1ELb1ES1_KS1_S1_Ev17rocblas_diagonal_iiT6_lPT7_lllS6_lllPT8_llli,"axG",@progbits,_ZL30rocblas_trmm_outofplace_kernelI19rocblas_complex_numIfELi32ELi2ELb1ELb0ELb1ELb1ES1_KS1_S1_Ev17rocblas_diagonal_iiT6_lPT7_lllS6_lllPT8_llli,comdat
.Lfunc_end81:
	.size	_ZL30rocblas_trmm_outofplace_kernelI19rocblas_complex_numIfELi32ELi2ELb1ELb0ELb1ELb1ES1_KS1_S1_Ev17rocblas_diagonal_iiT6_lPT7_lllS6_lllPT8_llli, .Lfunc_end81-_ZL30rocblas_trmm_outofplace_kernelI19rocblas_complex_numIfELi32ELi2ELb1ELb0ELb1ELb1ES1_KS1_S1_Ev17rocblas_diagonal_iiT6_lPT7_lllS6_lllPT8_llli
                                        ; -- End function
	.set _ZL30rocblas_trmm_outofplace_kernelI19rocblas_complex_numIfELi32ELi2ELb1ELb0ELb1ELb1ES1_KS1_S1_Ev17rocblas_diagonal_iiT6_lPT7_lllS6_lllPT8_llli.num_vgpr, 64
	.set _ZL30rocblas_trmm_outofplace_kernelI19rocblas_complex_numIfELi32ELi2ELb1ELb0ELb1ELb1ES1_KS1_S1_Ev17rocblas_diagonal_iiT6_lPT7_lllS6_lllPT8_llli.num_agpr, 0
	.set _ZL30rocblas_trmm_outofplace_kernelI19rocblas_complex_numIfELi32ELi2ELb1ELb0ELb1ELb1ES1_KS1_S1_Ev17rocblas_diagonal_iiT6_lPT7_lllS6_lllPT8_llli.numbered_sgpr, 60
	.set _ZL30rocblas_trmm_outofplace_kernelI19rocblas_complex_numIfELi32ELi2ELb1ELb0ELb1ELb1ES1_KS1_S1_Ev17rocblas_diagonal_iiT6_lPT7_lllS6_lllPT8_llli.num_named_barrier, 0
	.set _ZL30rocblas_trmm_outofplace_kernelI19rocblas_complex_numIfELi32ELi2ELb1ELb0ELb1ELb1ES1_KS1_S1_Ev17rocblas_diagonal_iiT6_lPT7_lllS6_lllPT8_llli.private_seg_size, 20
	.set _ZL30rocblas_trmm_outofplace_kernelI19rocblas_complex_numIfELi32ELi2ELb1ELb0ELb1ELb1ES1_KS1_S1_Ev17rocblas_diagonal_iiT6_lPT7_lllS6_lllPT8_llli.uses_vcc, 1
	.set _ZL30rocblas_trmm_outofplace_kernelI19rocblas_complex_numIfELi32ELi2ELb1ELb0ELb1ELb1ES1_KS1_S1_Ev17rocblas_diagonal_iiT6_lPT7_lllS6_lllPT8_llli.uses_flat_scratch, 0
	.set _ZL30rocblas_trmm_outofplace_kernelI19rocblas_complex_numIfELi32ELi2ELb1ELb0ELb1ELb1ES1_KS1_S1_Ev17rocblas_diagonal_iiT6_lPT7_lllS6_lllPT8_llli.has_dyn_sized_stack, 0
	.set _ZL30rocblas_trmm_outofplace_kernelI19rocblas_complex_numIfELi32ELi2ELb1ELb0ELb1ELb1ES1_KS1_S1_Ev17rocblas_diagonal_iiT6_lPT7_lllS6_lllPT8_llli.has_recursion, 0
	.set _ZL30rocblas_trmm_outofplace_kernelI19rocblas_complex_numIfELi32ELi2ELb1ELb0ELb1ELb1ES1_KS1_S1_Ev17rocblas_diagonal_iiT6_lPT7_lllS6_lllPT8_llli.has_indirect_call, 0
	.section	.AMDGPU.csdata,"",@progbits
; Kernel info:
; codeLenInByte = 6680
; TotalNumSgprs: 64
; NumVgprs: 64
; ScratchSize: 20
; MemoryBound: 0
; FloatMode: 240
; IeeeMode: 1
; LDSByteSize: 16384 bytes/workgroup (compile time only)
; SGPRBlocks: 8
; VGPRBlocks: 15
; NumSGPRsForWavesPerEU: 65
; NumVGPRsForWavesPerEU: 64
; Occupancy: 4
; WaveLimiterHint : 0
; COMPUTE_PGM_RSRC2:SCRATCH_EN: 1
; COMPUTE_PGM_RSRC2:USER_SGPR: 6
; COMPUTE_PGM_RSRC2:TRAP_HANDLER: 0
; COMPUTE_PGM_RSRC2:TGID_X_EN: 1
; COMPUTE_PGM_RSRC2:TGID_Y_EN: 1
; COMPUTE_PGM_RSRC2:TGID_Z_EN: 1
; COMPUTE_PGM_RSRC2:TIDIG_COMP_CNT: 1
	.section	.text._ZL30rocblas_trmm_outofplace_kernelI19rocblas_complex_numIfELi32ELi2ELb1ELb1ELb1ELb1EPKS1_S2_S1_Ev17rocblas_diagonal_iiT6_lPT7_lllS7_lllPT8_llli,"axG",@progbits,_ZL30rocblas_trmm_outofplace_kernelI19rocblas_complex_numIfELi32ELi2ELb1ELb1ELb1ELb1EPKS1_S2_S1_Ev17rocblas_diagonal_iiT6_lPT7_lllS7_lllPT8_llli,comdat
	.globl	_ZL30rocblas_trmm_outofplace_kernelI19rocblas_complex_numIfELi32ELi2ELb1ELb1ELb1ELb1EPKS1_S2_S1_Ev17rocblas_diagonal_iiT6_lPT7_lllS7_lllPT8_llli ; -- Begin function _ZL30rocblas_trmm_outofplace_kernelI19rocblas_complex_numIfELi32ELi2ELb1ELb1ELb1ELb1EPKS1_S2_S1_Ev17rocblas_diagonal_iiT6_lPT7_lllS7_lllPT8_llli
	.p2align	8
	.type	_ZL30rocblas_trmm_outofplace_kernelI19rocblas_complex_numIfELi32ELi2ELb1ELb1ELb1ELb1EPKS1_S2_S1_Ev17rocblas_diagonal_iiT6_lPT7_lllS7_lllPT8_llli,@function
_ZL30rocblas_trmm_outofplace_kernelI19rocblas_complex_numIfELi32ELi2ELb1ELb1ELb1ELb1EPKS1_S2_S1_Ev17rocblas_diagonal_iiT6_lPT7_lllS7_lllPT8_llli: ; @_ZL30rocblas_trmm_outofplace_kernelI19rocblas_complex_numIfELi32ELi2ELb1ELb1ELb1ELb1EPKS1_S2_S1_Ev17rocblas_diagonal_iiT6_lPT7_lllS7_lllPT8_llli
; %bb.0:
	s_load_dwordx16 s[12:27], s[4:5], 0x10
	s_mov_b64 s[58:59], s[2:3]
	s_mov_b64 s[56:57], s[0:1]
	s_add_u32 s56, s56, s9
	s_addc_u32 s57, s57, 0
	s_waitcnt lgkmcnt(0)
	s_mul_i32 s0, s15, s8
	s_mul_hi_u32 s1, s14, s8
	s_add_i32 s1, s1, s0
	s_mul_i32 s0, s14, s8
	s_lshl_b64 s[0:1], s[0:1], 3
	s_add_u32 s0, s12, s0
	s_addc_u32 s1, s13, s1
	s_load_dwordx2 s[34:35], s[0:1], 0x0
	s_waitcnt lgkmcnt(0)
	s_or_b32 s0, s34, s35
	s_bitset0_b32 s0, 31
	s_cmp_eq_u32 s0, 0
	s_cbranch_scc1 .LBB82_63
; %bb.1:
	s_load_dwordx4 s[28:31], s[4:5], 0x0
	s_waitcnt lgkmcnt(0)
	s_add_i32 s0, s30, -1
	s_ashr_i32 s1, s0, 31
	s_lshr_b32 s1, s1, 27
	s_add_i32 s0, s0, s1
	s_ashr_i32 s31, s0, 5
	s_cmp_gt_i32 s7, s31
	s_cbranch_scc1 .LBB82_63
; %bb.2:
	s_mul_i32 s0, s23, s8
	s_mul_hi_u32 s1, s22, s8
	s_load_dwordx8 s[36:43], s[4:5], 0x50
	s_load_dwordx4 s[44:47], s[4:5], 0x70
	s_add_i32 s1, s1, s0
	s_mul_i32 s0, s22, s8
	s_lshl_b64 s[10:11], s[0:1], 3
	s_add_u32 s0, s16, s10
	s_addc_u32 s1, s17, s11
	s_lshl_b64 s[12:13], s[18:19], 3
	s_add_u32 s2, s0, s12
	s_addc_u32 s3, s1, s13
	s_waitcnt lgkmcnt(0)
	s_mul_i32 s0, s47, s8
	s_mul_hi_u32 s1, s46, s8
	s_add_i32 s1, s1, s0
	s_mul_i32 s0, s46, s8
	s_lshl_b64 s[0:1], s[0:1], 3
	s_load_dword s33, s[4:5], 0x8c
	s_add_u32 s4, s40, s0
	s_addc_u32 s5, s41, s1
	s_lshl_b64 s[0:1], s[42:43], 3
	s_add_u32 s50, s4, s0
	s_addc_u32 s51, s5, s1
	s_lshl_b32 s52, s6, 5
	v_add_u32_e32 v22, s52, v0
	v_ashrrev_i32_e32 v23, 31, v22
	v_mul_lo_u32 v4, s20, v23
	v_mul_lo_u32 v5, s21, v22
	v_mad_u64_u32 v[2:3], s[0:1], s20, v22, 0
	v_lshlrev_b32_e32 v6, 3, v1
	s_cmp_gt_i32 s6, -1
	v_add3_u32 v3, v3, v4, v5
	v_lshlrev_b64 v[2:3], 3, v[2:3]
	v_mov_b32_e32 v4, s3
	v_add_co_u32_e32 v2, vcc, s2, v2
	v_addc_co_u32_e32 v3, vcc, v4, v3, vcc
	v_add_co_u32_e32 v48, vcc, v2, v6
	v_addc_co_u32_e32 v49, vcc, 0, v3, vcc
	;; [unrolled: 2-line block ×3, first 2 shown]
	s_cselect_b64 s[22:23], -1, 0
	s_cmpk_eq_i32 s28, 0x84
	v_sub_co_u32_e32 v26, vcc, v22, v1
	s_cselect_b64 s[40:41], -1, 0
	s_ashr_i32 s43, s29, 31
	s_ashr_i32 s6, s30, 31
	v_subbrev_co_u32_e32 v27, vcc, 0, v23, vcc
	s_add_u32 s46, s29, -16
	v_add_co_u32_e32 v28, vcc, 16, v26
	v_lshlrev_b64 v[4:5], 3, v[22:23]
	s_addc_u32 s47, s43, -1
	v_addc_co_u32_e32 v29, vcc, 0, v27, vcc
	s_movk_i32 s9, 0x80
	v_add_co_u32_e32 v7, vcc, s9, v4
	s_add_u32 s10, s12, s10
	v_addc_co_u32_e32 v8, vcc, 0, v5, vcc
	s_addc_u32 s11, s13, s11
	v_mov_b32_e32 v4, s10
	v_mov_b32_e32 v5, s11
	v_mad_u64_u32 v[4:5], s[10:11], s20, v7, v[4:5]
	v_mul_lo_u32 v8, s20, v8
	v_mul_lo_u32 v7, s21, v7
	s_mul_i32 s9, s39, s8
	s_mul_hi_u32 s10, s38, s8
	v_add_co_u32_e32 v32, vcc, -16, v26
	s_add_i32 s9, s10, s9
	s_mul_i32 s8, s38, s8
	v_addc_co_u32_e32 v33, vcc, -1, v27, vcc
	s_lshl_b64 s[8:9], s[8:9], 3
	s_lshl_b64 s[10:11], s[26:27], 3
	v_add3_u32 v5, v7, v5, v8
	v_add_co_u32_e32 v4, vcc, v4, v6
	s_add_u32 s8, s8, s10
	v_addc_co_u32_e32 v5, vcc, 0, v5, vcc
	s_addc_u32 s9, s9, s11
	v_mov_b32_e32 v6, s17
	v_add_co_u32_e32 v53, vcc, s16, v4
	s_add_u32 s8, s24, s8
	v_lshlrev_b32_e32 v50, 3, v0
	v_addc_co_u32_e32 v54, vcc, v6, v5, vcc
	s_addc_u32 s9, s25, s9
	v_mov_b32_e32 v4, s9
	v_add_co_u32_e32 v5, vcc, s8, v50
	v_addc_co_u32_e32 v6, vcc, 0, v4, vcc
	v_add_co_u32_e32 v4, vcc, 0x80, v5
	buffer_store_dword v5, off, s[56:59], 0 ; 4-byte Folded Spill
	s_nop 0
	buffer_store_dword v6, off, s[56:59], 0 offset:4 ; 4-byte Folded Spill
	v_lshlrev_b32_e32 v2, 8, v1
	v_add_u32_e32 v51, v50, v2
	v_add_u32_e32 v52, 0x2000, v2
	;; [unrolled: 1-line block ×3, first 2 shown]
	s_mov_b32 s42, s29
	v_ashrrev_i32_e32 v3, 31, v2
	v_cmp_le_i64_e64 s[2:3], s[42:43], v[24:25]
	v_lshlrev_b64 v[40:41], 3, v[2:3]
	v_cmp_le_i32_e64 s[0:1], s29, v22
	v_cmp_gt_i32_e64 s[4:5], s29, v22
	v_cmp_gt_i32_e64 s[14:15], s29, v2
	s_lshl_b64 s[20:21], s[36:37], 3
	s_waitcnt lgkmcnt(0)
	s_lshl_b32 s53, s33, 5
	v_mov_b32_e32 v39, 0
	v_mov_b32_e32 v38, 1.0
	v_add_u32_e32 v55, v52, v50
	v_lshl_add_u32 v42, s7, 5, v1
	v_addc_co_u32_e32 v5, vcc, 0, v6, vcc
	buffer_store_dword v4, off, s[56:59], 0 offset:8 ; 4-byte Folded Spill
	s_nop 0
	buffer_store_dword v5, off, s[56:59], 0 offset:12 ; 4-byte Folded Spill
	s_branch .LBB82_4
.LBB82_3:                               ;   in Loop: Header=BB82_4 Depth=1
	s_or_b64 exec, exec, s[8:9]
	s_add_i32 s7, s33, s7
	s_cmp_le_i32 s7, s31
	v_add_u32_e32 v42, s53, v42
	s_cbranch_scc0 .LBB82_63
.LBB82_4:                               ; =>This Loop Header: Depth=1
                                        ;     Child Loop BB82_7 Depth 2
	v_lshl_add_u32 v56, s7, 5, v1
	v_ashrrev_i32_e32 v57, 31, v56
	s_andn2_b64 vcc, exec, s[22:23]
	v_mov_b32_e32 v20, v39
	v_mov_b32_e32 v21, v39
	;; [unrolled: 1-line block ×8, first 2 shown]
	s_cbranch_vccnz .LBB82_55
; %bb.5:                                ;   in Loop: Header=BB82_4 Depth=1
	buffer_load_dword v2, off, s[56:59], 0 offset:8 ; 4-byte Folded Reload
	buffer_load_dword v3, off, s[56:59], 0 offset:12 ; 4-byte Folded Reload
	buffer_load_dword v7, off, s[56:59], 0  ; 4-byte Folded Reload
	buffer_load_dword v8, off, s[56:59], 0 offset:4 ; 4-byte Folded Reload
	v_ashrrev_i32_e32 v43, 31, v42
	v_mul_lo_u32 v4, s21, v42
	v_mul_lo_u32 v5, s20, v43
	s_mov_b64 s[24:25], 0
	v_mov_b32_e32 v14, 0
	s_mov_b64 s[26:27], 0
	v_mov_b32_e32 v15, 0
	v_mov_b32_e32 v17, 0
	;; [unrolled: 1-line block ×7, first 2 shown]
	s_waitcnt vmcnt(2)
	v_mad_u64_u32 v[44:45], s[8:9], s20, v42, v[2:3]
	v_lshlrev_b64 v[2:3], 3, v[42:43]
	v_add_co_u32_e32 v2, vcc, 0x80, v2
	v_addc_co_u32_e32 v3, vcc, 0, v3, vcc
	v_mul_lo_u32 v3, s36, v3
	v_mul_lo_u32 v6, s37, v2
	s_waitcnt vmcnt(0)
	v_mad_u64_u32 v[46:47], s[8:9], s36, v2, v[7:8]
	v_sub_co_u32_e32 v2, vcc, s30, v56
	v_add3_u32 v47, v6, v47, v3
	v_mov_b32_e32 v3, s6
	v_subb_co_u32_e32 v3, vcc, v3, v57, vcc
	v_cmp_lt_i64_e32 vcc, 0, v[2:3]
	v_cmp_lt_i64_e64 s[8:9], 16, v[2:3]
	v_add3_u32 v45, v4, v45, v5
	s_branch .LBB82_7
.LBB82_6:                               ;   in Loop: Header=BB82_7 Depth=2
	s_or_b64 exec, exec, s[10:11]
	s_waitcnt lgkmcnt(0)
	s_barrier
	ds_read_b128 v[58:61], v52
	ds_read_b128 v[10:13], v52 offset:16
	ds_read_b128 v[6:9], v52 offset:32
	;; [unrolled: 1-line block ×3, first 2 shown]
	ds_read2_b64 v[34:37], v50 offset1:16
	s_add_u32 s26, s26, 32
	s_addc_u32 s27, s27, 0
	s_add_u32 s24, s24, 0x100
	s_addc_u32 s25, s25, 0
	s_waitcnt lgkmcnt(0)
	v_mul_f32_e32 v43, v59, v35
	v_mul_f32_e32 v62, v58, v35
	v_fma_f32 v43, v58, v34, -v43
	v_fmac_f32_e32 v62, v59, v34
	v_add_f32_e32 v43, v20, v43
	v_add_f32_e32 v62, v21, v62
	v_mul_f32_e32 v20, v59, v37
	v_mul_f32_e32 v21, v58, v37
	v_fma_f32 v20, v58, v36, -v20
	v_fmac_f32_e32 v21, v59, v36
	v_add_f32_e32 v58, v18, v20
	v_add_f32_e32 v59, v19, v21
	ds_read_b128 v[18:21], v52 offset:4096
	s_sub_i32 s10, s26, 32
	s_cmp_ge_i32 s10, s52
	s_waitcnt lgkmcnt(0)
	v_mul_f32_e32 v63, v19, v35
	v_mul_f32_e32 v35, v18, v35
	v_fma_f32 v63, v18, v34, -v63
	v_fmac_f32_e32 v35, v19, v34
	v_add_f32_e32 v34, v16, v63
	v_add_f32_e32 v35, v17, v35
	v_mul_f32_e32 v16, v19, v37
	v_mul_f32_e32 v17, v18, v37
	v_fma_f32 v16, v18, v36, -v16
	v_fmac_f32_e32 v17, v19, v36
	v_add_f32_e32 v18, v15, v16
	v_add_f32_e32 v19, v14, v17
	ds_read2_b64 v[14:17], v50 offset0:32 offset1:48
	s_waitcnt lgkmcnt(0)
	v_mul_f32_e32 v36, v61, v15
	v_fma_f32 v36, v60, v14, -v36
	v_add_f32_e32 v36, v43, v36
	v_mul_f32_e32 v43, v61, v17
	v_mul_f32_e32 v37, v60, v15
	v_fma_f32 v43, v60, v16, -v43
	v_mul_f32_e32 v60, v60, v17
	v_mul_f32_e32 v31, v21, v15
	;; [unrolled: 1-line block ×3, first 2 shown]
	v_fmac_f32_e32 v60, v61, v16
	v_fmac_f32_e32 v15, v21, v14
	;; [unrolled: 1-line block ×3, first 2 shown]
	v_add_f32_e32 v30, v59, v60
	v_fma_f32 v31, v20, v14, -v31
	v_add_f32_e32 v60, v35, v15
	v_mul_f32_e32 v14, v21, v17
	v_mul_f32_e32 v15, v20, v17
	v_fma_f32 v14, v20, v16, -v14
	v_fmac_f32_e32 v15, v21, v16
	v_add_f32_e32 v37, v62, v37
	v_add_f32_e32 v61, v18, v14
	;; [unrolled: 1-line block ×3, first 2 shown]
	ds_read2_b64 v[14:17], v50 offset0:64 offset1:80
	v_add_f32_e32 v63, v58, v43
	v_add_f32_e32 v59, v34, v31
	s_waitcnt lgkmcnt(0)
	v_mul_f32_e32 v18, v11, v15
	v_mul_f32_e32 v19, v10, v15
	v_fma_f32 v18, v10, v14, -v18
	v_fmac_f32_e32 v19, v11, v14
	v_add_f32_e32 v43, v36, v18
	v_add_f32_e32 v58, v37, v19
	v_mul_f32_e32 v18, v11, v17
	v_mul_f32_e32 v19, v10, v17
	v_fma_f32 v18, v10, v16, -v18
	v_fmac_f32_e32 v19, v11, v16
	v_add_f32_e32 v10, v63, v18
	v_add_f32_e32 v11, v30, v19
	ds_read_b128 v[18:21], v52 offset:4112
	s_waitcnt lgkmcnt(0)
	v_mul_f32_e32 v30, v19, v15
	v_mul_f32_e32 v15, v18, v15
	v_fmac_f32_e32 v15, v19, v14
	v_fma_f32 v30, v18, v14, -v30
	v_add_f32_e32 v31, v60, v15
	v_mul_f32_e32 v14, v19, v17
	v_mul_f32_e32 v15, v18, v17
	v_fma_f32 v14, v18, v16, -v14
	v_fmac_f32_e32 v15, v19, v16
	v_add_f32_e32 v18, v61, v14
	v_add_f32_e32 v19, v62, v15
	ds_read2_b64 v[14:17], v50 offset0:96 offset1:112
	v_add_f32_e32 v30, v59, v30
	s_waitcnt lgkmcnt(0)
	v_mul_f32_e32 v34, v13, v15
	v_mul_f32_e32 v36, v13, v17
	v_fma_f32 v34, v12, v14, -v34
	v_mul_f32_e32 v35, v12, v15
	v_fma_f32 v36, v12, v16, -v36
	v_mul_f32_e32 v12, v12, v17
	v_fmac_f32_e32 v12, v13, v16
	v_add_f32_e32 v36, v10, v36
	v_add_f32_e32 v37, v11, v12
	v_mul_f32_e32 v10, v21, v15
	v_mul_f32_e32 v11, v20, v15
	v_fma_f32 v10, v20, v14, -v10
	v_fmac_f32_e32 v11, v21, v14
	v_fmac_f32_e32 v35, v13, v14
	v_add_f32_e32 v14, v30, v10
	v_add_f32_e32 v15, v31, v11
	v_mul_f32_e32 v10, v21, v17
	v_mul_f32_e32 v11, v20, v17
	v_fma_f32 v10, v20, v16, -v10
	v_fmac_f32_e32 v11, v21, v16
	v_add_f32_e32 v20, v18, v10
	v_add_f32_e32 v21, v19, v11
	ds_read2_b64 v[10:13], v50 offset0:128 offset1:144
	v_add_f32_e32 v34, v43, v34
	v_add_f32_e32 v35, v58, v35
	s_waitcnt lgkmcnt(0)
	v_mul_f32_e32 v16, v7, v11
	v_fma_f32 v16, v6, v10, -v16
	v_mul_f32_e32 v17, v6, v11
	v_add_f32_e32 v30, v34, v16
	v_mul_f32_e32 v16, v7, v13
	v_fmac_f32_e32 v17, v7, v10
	v_fma_f32 v16, v6, v12, -v16
	v_mul_f32_e32 v6, v6, v13
	v_add_f32_e32 v31, v35, v17
	v_fmac_f32_e32 v6, v7, v12
	v_add_f32_e32 v7, v36, v16
	ds_read_b128 v[16:19], v52 offset:4128
	v_add_f32_e32 v6, v37, v6
	s_waitcnt lgkmcnt(0)
	v_mul_f32_e32 v34, v17, v11
	v_mul_f32_e32 v11, v16, v11
	v_fmac_f32_e32 v11, v17, v10
	v_fma_f32 v34, v16, v10, -v34
	v_add_f32_e32 v15, v15, v11
	v_mul_f32_e32 v10, v17, v13
	v_mul_f32_e32 v11, v16, v13
	v_fma_f32 v10, v16, v12, -v10
	v_fmac_f32_e32 v11, v17, v12
	v_add_f32_e32 v20, v20, v10
	v_add_f32_e32 v21, v21, v11
	ds_read2_b64 v[10:13], v50 offset0:160 offset1:176
	v_add_f32_e32 v14, v14, v34
	s_waitcnt lgkmcnt(0)
	v_mul_f32_e32 v16, v9, v11
	v_fma_f32 v16, v8, v10, -v16
	v_add_f32_e32 v30, v30, v16
	v_mul_f32_e32 v16, v9, v13
	v_mul_f32_e32 v17, v8, v11
	v_fma_f32 v16, v8, v12, -v16
	v_mul_f32_e32 v8, v8, v13
	v_fmac_f32_e32 v8, v9, v12
	v_add_f32_e32 v34, v7, v16
	v_add_f32_e32 v35, v6, v8
	v_mul_f32_e32 v6, v19, v11
	v_mul_f32_e32 v7, v18, v11
	v_fmac_f32_e32 v17, v9, v10
	v_fma_f32 v6, v18, v10, -v6
	v_fmac_f32_e32 v7, v19, v10
	v_add_f32_e32 v31, v31, v17
	v_add_f32_e32 v16, v14, v6
	v_add_f32_e32 v17, v15, v7
	v_mul_f32_e32 v6, v19, v13
	v_mul_f32_e32 v7, v18, v13
	v_fma_f32 v6, v18, v12, -v6
	v_fmac_f32_e32 v7, v19, v12
	v_add_f32_e32 v18, v20, v6
	v_add_f32_e32 v19, v21, v7
	ds_read2_b64 v[6:9], v50 offset0:192 offset1:208
	s_waitcnt lgkmcnt(0)
	v_mul_f32_e32 v10, v3, v7
	v_mul_f32_e32 v11, v2, v7
	v_fma_f32 v10, v2, v6, -v10
	v_fmac_f32_e32 v11, v3, v6
	v_add_f32_e32 v14, v30, v10
	v_add_f32_e32 v15, v31, v11
	v_mul_f32_e32 v10, v3, v9
	v_mul_f32_e32 v11, v2, v9
	v_fma_f32 v10, v2, v8, -v10
	v_fmac_f32_e32 v11, v3, v8
	v_add_f32_e32 v2, v34, v10
	v_add_f32_e32 v3, v35, v11
	ds_read_b128 v[10:13], v52 offset:4144
	s_waitcnt lgkmcnt(0)
	v_mul_f32_e32 v20, v11, v7
	v_mul_f32_e32 v7, v10, v7
	v_fmac_f32_e32 v7, v11, v6
	v_fma_f32 v20, v10, v6, -v20
	v_add_f32_e32 v17, v17, v7
	v_mul_f32_e32 v6, v11, v9
	v_mul_f32_e32 v7, v10, v9
	v_fma_f32 v6, v10, v8, -v6
	v_fmac_f32_e32 v7, v11, v8
	v_add_f32_e32 v10, v18, v6
	v_add_f32_e32 v11, v19, v7
	ds_read2_b64 v[6:9], v50 offset0:224 offset1:240
	v_add_f32_e32 v16, v16, v20
	s_waitcnt lgkmcnt(0)
	v_mul_f32_e32 v18, v5, v7
	v_fma_f32 v18, v4, v6, -v18
	v_add_f32_e32 v18, v14, v18
	v_mul_f32_e32 v14, v5, v9
	v_mul_f32_e32 v19, v4, v7
	v_fma_f32 v14, v4, v8, -v14
	v_mul_f32_e32 v4, v4, v9
	v_fmac_f32_e32 v19, v5, v6
	v_fmac_f32_e32 v4, v5, v8
	v_add_f32_e32 v15, v15, v19
	v_add_f32_e32 v19, v2, v14
	;; [unrolled: 1-line block ×3, first 2 shown]
	v_mul_f32_e32 v2, v13, v7
	v_mul_f32_e32 v3, v12, v7
	v_fma_f32 v2, v12, v6, -v2
	v_fmac_f32_e32 v3, v13, v6
	v_add_f32_e32 v21, v16, v2
	v_add_f32_e32 v30, v17, v3
	v_mul_f32_e32 v2, v13, v9
	v_mul_f32_e32 v3, v12, v9
	v_fma_f32 v2, v12, v8, -v2
	v_fmac_f32_e32 v3, v13, v8
	v_add_u32_e32 v14, 0x800, v50
	v_add_f32_e32 v10, v10, v2
	v_add_f32_e32 v11, v11, v3
	ds_read_b128 v[2:5], v52 offset:64
	ds_read2_b64 v[6:9], v14 offset1:16
	s_waitcnt lgkmcnt(0)
	v_mul_f32_e32 v13, v2, v7
	v_fmac_f32_e32 v13, v3, v6
	v_mul_f32_e32 v12, v3, v7
	v_add_f32_e32 v13, v15, v13
	v_mul_f32_e32 v15, v3, v9
	v_fma_f32 v12, v2, v6, -v12
	v_fma_f32 v15, v2, v8, -v15
	v_mul_f32_e32 v2, v2, v9
	v_add_f32_e32 v12, v18, v12
	v_fmac_f32_e32 v2, v3, v8
	v_add_f32_e32 v3, v19, v15
	ds_read_b128 v[15:18], v52 offset:4160
	v_add_f32_e32 v2, v20, v2
	s_waitcnt lgkmcnt(0)
	v_mul_f32_e32 v19, v16, v7
	v_mul_f32_e32 v7, v15, v7
	v_fmac_f32_e32 v7, v16, v6
	v_fma_f32 v19, v15, v6, -v19
	v_add_f32_e32 v20, v30, v7
	v_mul_f32_e32 v6, v16, v9
	v_mul_f32_e32 v7, v15, v9
	v_fma_f32 v6, v15, v8, -v6
	v_fmac_f32_e32 v7, v16, v8
	v_add_f32_e32 v19, v21, v19
	v_add_f32_e32 v21, v10, v6
	v_add_f32_e32 v30, v11, v7
	ds_read2_b64 v[6:9], v14 offset0:32 offset1:48
	s_waitcnt lgkmcnt(0)
	v_mul_f32_e32 v10, v5, v7
	v_fma_f32 v10, v4, v6, -v10
	v_add_f32_e32 v10, v12, v10
	v_mul_f32_e32 v12, v5, v9
	v_mul_f32_e32 v11, v4, v7
	v_fma_f32 v12, v4, v8, -v12
	v_mul_f32_e32 v4, v4, v9
	v_fmac_f32_e32 v11, v5, v6
	v_fmac_f32_e32 v4, v5, v8
	v_add_f32_e32 v11, v13, v11
	v_add_f32_e32 v12, v3, v12
	;; [unrolled: 1-line block ×3, first 2 shown]
	v_mul_f32_e32 v2, v18, v7
	v_mul_f32_e32 v3, v17, v7
	v_fma_f32 v2, v17, v6, -v2
	v_fmac_f32_e32 v3, v18, v6
	v_add_f32_e32 v15, v19, v2
	v_add_f32_e32 v16, v20, v3
	v_mul_f32_e32 v2, v18, v9
	v_mul_f32_e32 v3, v17, v9
	v_fma_f32 v2, v17, v8, -v2
	v_fmac_f32_e32 v3, v18, v8
	v_add_f32_e32 v17, v21, v2
	v_add_f32_e32 v18, v30, v3
	ds_read_b128 v[2:5], v52 offset:80
	ds_read2_b64 v[6:9], v14 offset0:64 offset1:80
	s_waitcnt lgkmcnt(0)
	v_mul_f32_e32 v19, v3, v7
	v_mul_f32_e32 v20, v2, v7
	v_fma_f32 v19, v2, v6, -v19
	v_fmac_f32_e32 v20, v3, v6
	v_add_f32_e32 v19, v10, v19
	v_add_f32_e32 v20, v11, v20
	v_mul_f32_e32 v10, v3, v9
	v_mul_f32_e32 v11, v2, v9
	v_fma_f32 v10, v2, v8, -v10
	v_fmac_f32_e32 v11, v3, v8
	v_add_f32_e32 v2, v12, v10
	v_add_f32_e32 v3, v13, v11
	ds_read_b128 v[10:13], v52 offset:4176
	s_waitcnt lgkmcnt(0)
	v_mul_f32_e32 v21, v11, v7
	v_mul_f32_e32 v7, v10, v7
	v_fmac_f32_e32 v7, v11, v6
	v_fma_f32 v21, v10, v6, -v21
	v_add_f32_e32 v16, v16, v7
	v_mul_f32_e32 v6, v11, v9
	v_mul_f32_e32 v7, v10, v9
	v_fma_f32 v6, v10, v8, -v6
	v_fmac_f32_e32 v7, v11, v8
	v_add_f32_e32 v10, v17, v6
	v_add_f32_e32 v11, v18, v7
	ds_read2_b64 v[6:9], v14 offset0:96 offset1:112
	v_add_f32_e32 v15, v15, v21
	s_waitcnt lgkmcnt(0)
	v_mul_f32_e32 v17, v5, v7
	v_fma_f32 v17, v4, v6, -v17
	v_add_f32_e32 v17, v19, v17
	v_mul_f32_e32 v19, v5, v9
	v_mul_f32_e32 v18, v4, v7
	v_fma_f32 v19, v4, v8, -v19
	v_mul_f32_e32 v4, v4, v9
	v_fmac_f32_e32 v18, v5, v6
	v_fmac_f32_e32 v4, v5, v8
	v_add_f32_e32 v18, v20, v18
	v_add_f32_e32 v19, v2, v19
	;; [unrolled: 1-line block ×3, first 2 shown]
	v_mul_f32_e32 v2, v13, v7
	v_mul_f32_e32 v3, v12, v7
	v_fma_f32 v2, v12, v6, -v2
	v_fmac_f32_e32 v3, v13, v6
	v_add_f32_e32 v21, v15, v2
	v_add_f32_e32 v30, v16, v3
	v_mul_f32_e32 v2, v13, v9
	v_mul_f32_e32 v3, v12, v9
	v_fma_f32 v2, v12, v8, -v2
	v_fmac_f32_e32 v3, v13, v8
	v_add_f32_e32 v10, v10, v2
	v_add_f32_e32 v11, v11, v3
	ds_read_b128 v[2:5], v52 offset:96
	ds_read2_b64 v[6:9], v14 offset0:128 offset1:144
	s_waitcnt lgkmcnt(0)
	v_mul_f32_e32 v12, v3, v7
	v_mul_f32_e32 v13, v2, v7
	v_mul_f32_e32 v15, v3, v9
	v_fma_f32 v12, v2, v6, -v12
	v_fmac_f32_e32 v13, v3, v6
	v_fma_f32 v15, v2, v8, -v15
	v_mul_f32_e32 v2, v2, v9
	v_add_f32_e32 v12, v17, v12
	v_add_f32_e32 v13, v18, v13
	v_fmac_f32_e32 v2, v3, v8
	v_add_f32_e32 v3, v19, v15
	ds_read_b128 v[15:18], v52 offset:4192
	v_add_f32_e32 v2, v20, v2
	s_waitcnt lgkmcnt(0)
	v_mul_f32_e32 v19, v16, v7
	v_mul_f32_e32 v7, v15, v7
	v_fmac_f32_e32 v7, v16, v6
	v_fma_f32 v19, v15, v6, -v19
	v_add_f32_e32 v20, v30, v7
	v_mul_f32_e32 v6, v16, v9
	v_mul_f32_e32 v7, v15, v9
	v_fma_f32 v6, v15, v8, -v6
	v_fmac_f32_e32 v7, v16, v8
	v_add_f32_e32 v19, v21, v19
	v_add_f32_e32 v21, v10, v6
	;; [unrolled: 1-line block ×3, first 2 shown]
	ds_read2_b64 v[6:9], v14 offset0:160 offset1:176
	s_waitcnt lgkmcnt(0)
	v_mul_f32_e32 v10, v5, v7
	v_fma_f32 v10, v4, v6, -v10
	v_add_f32_e32 v10, v12, v10
	v_mul_f32_e32 v12, v5, v9
	v_mul_f32_e32 v11, v4, v7
	v_fma_f32 v12, v4, v8, -v12
	v_mul_f32_e32 v4, v4, v9
	v_fmac_f32_e32 v11, v5, v6
	v_fmac_f32_e32 v4, v5, v8
	v_add_f32_e32 v11, v13, v11
	v_add_f32_e32 v12, v3, v12
	v_add_f32_e32 v13, v2, v4
	v_mul_f32_e32 v2, v18, v7
	v_mul_f32_e32 v3, v17, v7
	v_fma_f32 v2, v17, v6, -v2
	v_fmac_f32_e32 v3, v18, v6
	v_add_f32_e32 v15, v19, v2
	v_add_f32_e32 v16, v20, v3
	v_mul_f32_e32 v2, v18, v9
	v_mul_f32_e32 v3, v17, v9
	v_fma_f32 v2, v17, v8, -v2
	v_fmac_f32_e32 v3, v18, v8
	v_add_f32_e32 v17, v21, v2
	v_add_f32_e32 v18, v30, v3
	ds_read_b128 v[2:5], v52 offset:112
	ds_read2_b64 v[6:9], v14 offset0:192 offset1:208
	s_waitcnt lgkmcnt(0)
	v_mul_f32_e32 v19, v3, v7
	v_mul_f32_e32 v20, v2, v7
	v_fma_f32 v19, v2, v6, -v19
	v_fmac_f32_e32 v20, v3, v6
	v_add_f32_e32 v19, v10, v19
	v_add_f32_e32 v20, v11, v20
	v_mul_f32_e32 v10, v3, v9
	v_mul_f32_e32 v11, v2, v9
	v_fma_f32 v10, v2, v8, -v10
	v_fmac_f32_e32 v11, v3, v8
	v_add_f32_e32 v2, v12, v10
	v_add_f32_e32 v3, v13, v11
	ds_read_b128 v[10:13], v52 offset:4208
	s_waitcnt lgkmcnt(0)
	v_mul_f32_e32 v21, v11, v7
	v_mul_f32_e32 v7, v10, v7
	v_fmac_f32_e32 v7, v11, v6
	v_fma_f32 v21, v10, v6, -v21
	v_add_f32_e32 v16, v16, v7
	v_mul_f32_e32 v6, v11, v9
	v_mul_f32_e32 v7, v10, v9
	v_fma_f32 v6, v10, v8, -v6
	v_fmac_f32_e32 v7, v11, v8
	v_add_f32_e32 v10, v17, v6
	v_add_f32_e32 v11, v18, v7
	ds_read2_b64 v[6:9], v14 offset0:224 offset1:240
	v_add_f32_e32 v15, v15, v21
	s_waitcnt lgkmcnt(0)
	v_mul_f32_e32 v14, v5, v7
	v_fma_f32 v14, v4, v6, -v14
	v_add_f32_e32 v18, v19, v14
	v_mul_f32_e32 v14, v5, v9
	v_mul_f32_e32 v17, v4, v7
	v_fma_f32 v14, v4, v8, -v14
	v_mul_f32_e32 v4, v4, v9
	v_fmac_f32_e32 v17, v5, v6
	v_fmac_f32_e32 v4, v5, v8
	v_add_f32_e32 v17, v20, v17
	v_add_f32_e32 v19, v2, v14
	;; [unrolled: 1-line block ×3, first 2 shown]
	v_mul_f32_e32 v2, v13, v7
	v_mul_f32_e32 v3, v12, v7
	v_fma_f32 v2, v12, v6, -v2
	v_fmac_f32_e32 v3, v13, v6
	v_add_f32_e32 v21, v15, v2
	v_add_f32_e32 v30, v16, v3
	v_mul_f32_e32 v2, v13, v9
	v_mul_f32_e32 v3, v12, v9
	v_fma_f32 v2, v12, v8, -v2
	v_fmac_f32_e32 v3, v13, v8
	v_add_u32_e32 v14, 0x1000, v50
	v_add_f32_e32 v10, v10, v2
	v_add_f32_e32 v11, v11, v3
	ds_read_b128 v[2:5], v52 offset:128
	ds_read2_b64 v[6:9], v14 offset1:16
	s_waitcnt lgkmcnt(0)
	v_mul_f32_e32 v12, v3, v7
	v_mul_f32_e32 v13, v2, v7
	;; [unrolled: 1-line block ×3, first 2 shown]
	v_fma_f32 v12, v2, v6, -v12
	v_fmac_f32_e32 v13, v3, v6
	v_fma_f32 v15, v2, v8, -v15
	v_mul_f32_e32 v2, v2, v9
	v_add_f32_e32 v12, v18, v12
	v_add_f32_e32 v13, v17, v13
	v_fmac_f32_e32 v2, v3, v8
	v_add_f32_e32 v3, v19, v15
	ds_read_b128 v[15:18], v52 offset:4224
	v_add_f32_e32 v2, v20, v2
	s_waitcnt lgkmcnt(0)
	v_mul_f32_e32 v19, v16, v7
	v_mul_f32_e32 v7, v15, v7
	v_fmac_f32_e32 v7, v16, v6
	v_fma_f32 v19, v15, v6, -v19
	v_add_f32_e32 v20, v30, v7
	v_mul_f32_e32 v6, v16, v9
	v_mul_f32_e32 v7, v15, v9
	v_fma_f32 v6, v15, v8, -v6
	v_fmac_f32_e32 v7, v16, v8
	v_add_f32_e32 v19, v21, v19
	v_add_f32_e32 v21, v10, v6
	;; [unrolled: 1-line block ×3, first 2 shown]
	ds_read2_b64 v[6:9], v14 offset0:32 offset1:48
	s_waitcnt lgkmcnt(0)
	v_mul_f32_e32 v10, v5, v7
	v_fma_f32 v10, v4, v6, -v10
	v_add_f32_e32 v10, v12, v10
	v_mul_f32_e32 v12, v5, v9
	v_mul_f32_e32 v11, v4, v7
	v_fma_f32 v12, v4, v8, -v12
	v_mul_f32_e32 v4, v4, v9
	v_fmac_f32_e32 v11, v5, v6
	v_fmac_f32_e32 v4, v5, v8
	v_add_f32_e32 v11, v13, v11
	v_add_f32_e32 v12, v3, v12
	;; [unrolled: 1-line block ×3, first 2 shown]
	v_mul_f32_e32 v2, v18, v7
	v_mul_f32_e32 v3, v17, v7
	v_fma_f32 v2, v17, v6, -v2
	v_fmac_f32_e32 v3, v18, v6
	v_add_f32_e32 v15, v19, v2
	v_add_f32_e32 v16, v20, v3
	v_mul_f32_e32 v2, v18, v9
	v_mul_f32_e32 v3, v17, v9
	v_fma_f32 v2, v17, v8, -v2
	v_fmac_f32_e32 v3, v18, v8
	v_add_f32_e32 v17, v21, v2
	v_add_f32_e32 v18, v30, v3
	ds_read_b128 v[2:5], v52 offset:144
	ds_read2_b64 v[6:9], v14 offset0:64 offset1:80
	s_waitcnt lgkmcnt(0)
	v_mul_f32_e32 v19, v3, v7
	v_mul_f32_e32 v20, v2, v7
	v_fma_f32 v19, v2, v6, -v19
	v_fmac_f32_e32 v20, v3, v6
	v_add_f32_e32 v19, v10, v19
	v_add_f32_e32 v20, v11, v20
	v_mul_f32_e32 v10, v3, v9
	v_mul_f32_e32 v11, v2, v9
	v_fma_f32 v10, v2, v8, -v10
	v_fmac_f32_e32 v11, v3, v8
	v_add_f32_e32 v2, v12, v10
	v_add_f32_e32 v3, v13, v11
	ds_read_b128 v[10:13], v52 offset:4240
	s_waitcnt lgkmcnt(0)
	v_mul_f32_e32 v21, v11, v7
	v_mul_f32_e32 v7, v10, v7
	v_fmac_f32_e32 v7, v11, v6
	v_fma_f32 v21, v10, v6, -v21
	v_add_f32_e32 v16, v16, v7
	v_mul_f32_e32 v6, v11, v9
	v_mul_f32_e32 v7, v10, v9
	v_fma_f32 v6, v10, v8, -v6
	v_fmac_f32_e32 v7, v11, v8
	v_add_f32_e32 v10, v17, v6
	v_add_f32_e32 v11, v18, v7
	ds_read2_b64 v[6:9], v14 offset0:96 offset1:112
	v_add_f32_e32 v15, v15, v21
	s_waitcnt lgkmcnt(0)
	v_mul_f32_e32 v17, v5, v7
	v_fma_f32 v17, v4, v6, -v17
	v_add_f32_e32 v17, v19, v17
	v_mul_f32_e32 v19, v5, v9
	v_mul_f32_e32 v18, v4, v7
	v_fma_f32 v19, v4, v8, -v19
	v_mul_f32_e32 v4, v4, v9
	v_fmac_f32_e32 v18, v5, v6
	v_fmac_f32_e32 v4, v5, v8
	v_add_f32_e32 v18, v20, v18
	v_add_f32_e32 v19, v2, v19
	;; [unrolled: 1-line block ×3, first 2 shown]
	v_mul_f32_e32 v2, v13, v7
	v_mul_f32_e32 v3, v12, v7
	v_fma_f32 v2, v12, v6, -v2
	v_fmac_f32_e32 v3, v13, v6
	v_add_f32_e32 v21, v15, v2
	v_add_f32_e32 v30, v16, v3
	v_mul_f32_e32 v2, v13, v9
	v_mul_f32_e32 v3, v12, v9
	v_fma_f32 v2, v12, v8, -v2
	v_fmac_f32_e32 v3, v13, v8
	v_add_f32_e32 v10, v10, v2
	v_add_f32_e32 v11, v11, v3
	ds_read_b128 v[2:5], v52 offset:160
	ds_read2_b64 v[6:9], v14 offset0:128 offset1:144
	s_waitcnt lgkmcnt(0)
	v_mul_f32_e32 v12, v3, v7
	v_mul_f32_e32 v13, v2, v7
	;; [unrolled: 1-line block ×3, first 2 shown]
	v_fma_f32 v12, v2, v6, -v12
	v_fmac_f32_e32 v13, v3, v6
	v_fma_f32 v15, v2, v8, -v15
	v_mul_f32_e32 v2, v2, v9
	v_add_f32_e32 v12, v17, v12
	v_add_f32_e32 v13, v18, v13
	v_fmac_f32_e32 v2, v3, v8
	v_add_f32_e32 v3, v19, v15
	ds_read_b128 v[15:18], v52 offset:4256
	v_add_f32_e32 v2, v20, v2
	s_waitcnt lgkmcnt(0)
	v_mul_f32_e32 v19, v16, v7
	v_mul_f32_e32 v7, v15, v7
	v_fmac_f32_e32 v7, v16, v6
	v_fma_f32 v19, v15, v6, -v19
	v_add_f32_e32 v20, v30, v7
	v_mul_f32_e32 v6, v16, v9
	v_mul_f32_e32 v7, v15, v9
	v_fma_f32 v6, v15, v8, -v6
	v_fmac_f32_e32 v7, v16, v8
	v_add_f32_e32 v19, v21, v19
	v_add_f32_e32 v21, v10, v6
	;; [unrolled: 1-line block ×3, first 2 shown]
	ds_read2_b64 v[6:9], v14 offset0:160 offset1:176
	s_waitcnt lgkmcnt(0)
	v_mul_f32_e32 v10, v5, v7
	v_fma_f32 v10, v4, v6, -v10
	v_add_f32_e32 v10, v12, v10
	v_mul_f32_e32 v12, v5, v9
	v_mul_f32_e32 v11, v4, v7
	v_fma_f32 v12, v4, v8, -v12
	v_mul_f32_e32 v4, v4, v9
	v_fmac_f32_e32 v11, v5, v6
	v_fmac_f32_e32 v4, v5, v8
	v_add_f32_e32 v11, v13, v11
	v_add_f32_e32 v12, v3, v12
	;; [unrolled: 1-line block ×3, first 2 shown]
	v_mul_f32_e32 v2, v18, v7
	v_mul_f32_e32 v3, v17, v7
	v_fma_f32 v2, v17, v6, -v2
	v_fmac_f32_e32 v3, v18, v6
	v_add_f32_e32 v15, v19, v2
	v_add_f32_e32 v16, v20, v3
	v_mul_f32_e32 v2, v18, v9
	v_mul_f32_e32 v3, v17, v9
	v_fma_f32 v2, v17, v8, -v2
	v_fmac_f32_e32 v3, v18, v8
	v_add_f32_e32 v17, v21, v2
	v_add_f32_e32 v18, v30, v3
	ds_read_b128 v[2:5], v52 offset:176
	ds_read2_b64 v[6:9], v14 offset0:192 offset1:208
	s_waitcnt lgkmcnt(0)
	v_mul_f32_e32 v19, v3, v7
	v_mul_f32_e32 v20, v2, v7
	v_fma_f32 v19, v2, v6, -v19
	v_fmac_f32_e32 v20, v3, v6
	v_add_f32_e32 v19, v10, v19
	v_add_f32_e32 v20, v11, v20
	v_mul_f32_e32 v10, v3, v9
	v_mul_f32_e32 v11, v2, v9
	v_fma_f32 v10, v2, v8, -v10
	v_fmac_f32_e32 v11, v3, v8
	v_add_f32_e32 v2, v12, v10
	v_add_f32_e32 v3, v13, v11
	ds_read_b128 v[10:13], v52 offset:4272
	s_waitcnt lgkmcnt(0)
	v_mul_f32_e32 v21, v11, v7
	v_mul_f32_e32 v7, v10, v7
	v_fmac_f32_e32 v7, v11, v6
	v_fma_f32 v21, v10, v6, -v21
	v_add_f32_e32 v16, v16, v7
	v_mul_f32_e32 v6, v11, v9
	v_mul_f32_e32 v7, v10, v9
	v_fma_f32 v6, v10, v8, -v6
	v_fmac_f32_e32 v7, v11, v8
	v_add_f32_e32 v10, v17, v6
	v_add_f32_e32 v11, v18, v7
	ds_read2_b64 v[6:9], v14 offset0:224 offset1:240
	v_add_f32_e32 v15, v15, v21
	s_waitcnt lgkmcnt(0)
	v_mul_f32_e32 v14, v5, v7
	v_fma_f32 v14, v4, v6, -v14
	v_add_f32_e32 v18, v19, v14
	v_mul_f32_e32 v14, v5, v9
	v_mul_f32_e32 v17, v4, v7
	v_fma_f32 v14, v4, v8, -v14
	v_mul_f32_e32 v4, v4, v9
	v_fmac_f32_e32 v17, v5, v6
	v_fmac_f32_e32 v4, v5, v8
	v_add_f32_e32 v17, v20, v17
	v_add_f32_e32 v19, v2, v14
	;; [unrolled: 1-line block ×3, first 2 shown]
	v_mul_f32_e32 v2, v13, v7
	v_mul_f32_e32 v3, v12, v7
	v_fma_f32 v2, v12, v6, -v2
	v_fmac_f32_e32 v3, v13, v6
	v_add_f32_e32 v21, v15, v2
	v_add_f32_e32 v30, v16, v3
	v_mul_f32_e32 v2, v13, v9
	v_mul_f32_e32 v3, v12, v9
	v_fma_f32 v2, v12, v8, -v2
	v_fmac_f32_e32 v3, v13, v8
	v_add_u32_e32 v14, 0x1800, v50
	v_add_f32_e32 v10, v10, v2
	v_add_f32_e32 v11, v11, v3
	ds_read_b128 v[2:5], v52 offset:192
	ds_read2_b64 v[6:9], v14 offset1:16
	s_waitcnt lgkmcnt(0)
	v_mul_f32_e32 v12, v3, v7
	v_mul_f32_e32 v13, v2, v7
	;; [unrolled: 1-line block ×3, first 2 shown]
	v_fma_f32 v12, v2, v6, -v12
	v_fmac_f32_e32 v13, v3, v6
	v_fma_f32 v15, v2, v8, -v15
	v_mul_f32_e32 v2, v2, v9
	v_add_f32_e32 v12, v18, v12
	v_add_f32_e32 v13, v17, v13
	v_fmac_f32_e32 v2, v3, v8
	v_add_f32_e32 v3, v19, v15
	ds_read_b128 v[15:18], v52 offset:4288
	v_add_f32_e32 v2, v20, v2
	s_waitcnt lgkmcnt(0)
	v_mul_f32_e32 v19, v16, v7
	v_mul_f32_e32 v7, v15, v7
	v_fmac_f32_e32 v7, v16, v6
	v_fma_f32 v19, v15, v6, -v19
	v_add_f32_e32 v20, v30, v7
	v_mul_f32_e32 v6, v16, v9
	v_mul_f32_e32 v7, v15, v9
	v_fma_f32 v6, v15, v8, -v6
	v_fmac_f32_e32 v7, v16, v8
	v_add_f32_e32 v19, v21, v19
	v_add_f32_e32 v21, v10, v6
	;; [unrolled: 1-line block ×3, first 2 shown]
	ds_read2_b64 v[6:9], v14 offset0:32 offset1:48
	s_waitcnt lgkmcnt(0)
	v_mul_f32_e32 v10, v5, v7
	v_fma_f32 v10, v4, v6, -v10
	v_add_f32_e32 v10, v12, v10
	v_mul_f32_e32 v12, v5, v9
	v_mul_f32_e32 v11, v4, v7
	v_fma_f32 v12, v4, v8, -v12
	v_mul_f32_e32 v4, v4, v9
	v_fmac_f32_e32 v11, v5, v6
	v_fmac_f32_e32 v4, v5, v8
	v_add_f32_e32 v11, v13, v11
	v_add_f32_e32 v12, v3, v12
	;; [unrolled: 1-line block ×3, first 2 shown]
	v_mul_f32_e32 v2, v18, v7
	v_mul_f32_e32 v3, v17, v7
	v_fma_f32 v2, v17, v6, -v2
	v_fmac_f32_e32 v3, v18, v6
	v_add_f32_e32 v15, v19, v2
	v_add_f32_e32 v16, v20, v3
	v_mul_f32_e32 v2, v18, v9
	v_mul_f32_e32 v3, v17, v9
	v_fma_f32 v2, v17, v8, -v2
	v_fmac_f32_e32 v3, v18, v8
	v_add_f32_e32 v17, v21, v2
	v_add_f32_e32 v18, v30, v3
	ds_read_b128 v[2:5], v52 offset:208
	ds_read2_b64 v[6:9], v14 offset0:64 offset1:80
	s_waitcnt lgkmcnt(0)
	v_mul_f32_e32 v19, v3, v7
	v_mul_f32_e32 v20, v2, v7
	v_fma_f32 v19, v2, v6, -v19
	v_fmac_f32_e32 v20, v3, v6
	v_add_f32_e32 v19, v10, v19
	v_add_f32_e32 v20, v11, v20
	v_mul_f32_e32 v10, v3, v9
	v_mul_f32_e32 v11, v2, v9
	v_fma_f32 v10, v2, v8, -v10
	v_fmac_f32_e32 v11, v3, v8
	v_add_f32_e32 v2, v12, v10
	v_add_f32_e32 v3, v13, v11
	ds_read_b128 v[10:13], v52 offset:4304
	s_waitcnt lgkmcnt(0)
	v_mul_f32_e32 v21, v11, v7
	v_mul_f32_e32 v7, v10, v7
	v_fmac_f32_e32 v7, v11, v6
	v_fma_f32 v21, v10, v6, -v21
	v_add_f32_e32 v16, v16, v7
	v_mul_f32_e32 v6, v11, v9
	v_mul_f32_e32 v7, v10, v9
	v_fma_f32 v6, v10, v8, -v6
	v_fmac_f32_e32 v7, v11, v8
	v_add_f32_e32 v10, v17, v6
	v_add_f32_e32 v11, v18, v7
	ds_read2_b64 v[6:9], v14 offset0:96 offset1:112
	v_add_f32_e32 v15, v15, v21
	s_waitcnt lgkmcnt(0)
	v_mul_f32_e32 v17, v5, v7
	v_fma_f32 v17, v4, v6, -v17
	v_add_f32_e32 v17, v19, v17
	v_mul_f32_e32 v19, v5, v9
	v_mul_f32_e32 v18, v4, v7
	v_fma_f32 v19, v4, v8, -v19
	v_mul_f32_e32 v4, v4, v9
	v_fmac_f32_e32 v18, v5, v6
	v_fmac_f32_e32 v4, v5, v8
	v_add_f32_e32 v18, v20, v18
	v_add_f32_e32 v19, v2, v19
	;; [unrolled: 1-line block ×3, first 2 shown]
	v_mul_f32_e32 v2, v13, v7
	v_mul_f32_e32 v3, v12, v7
	v_fma_f32 v2, v12, v6, -v2
	v_fmac_f32_e32 v3, v13, v6
	v_add_f32_e32 v21, v15, v2
	v_add_f32_e32 v30, v16, v3
	v_mul_f32_e32 v2, v13, v9
	v_mul_f32_e32 v3, v12, v9
	v_fma_f32 v2, v12, v8, -v2
	v_fmac_f32_e32 v3, v13, v8
	v_add_f32_e32 v10, v10, v2
	v_add_f32_e32 v11, v11, v3
	ds_read_b128 v[2:5], v52 offset:224
	ds_read2_b64 v[6:9], v14 offset0:128 offset1:144
	s_waitcnt lgkmcnt(0)
	v_mul_f32_e32 v12, v3, v7
	v_mul_f32_e32 v13, v2, v7
	;; [unrolled: 1-line block ×3, first 2 shown]
	v_fma_f32 v12, v2, v6, -v12
	v_fmac_f32_e32 v13, v3, v6
	v_fma_f32 v15, v2, v8, -v15
	v_mul_f32_e32 v2, v2, v9
	v_add_f32_e32 v12, v17, v12
	v_add_f32_e32 v13, v18, v13
	v_fmac_f32_e32 v2, v3, v8
	v_add_f32_e32 v3, v19, v15
	ds_read_b128 v[15:18], v52 offset:4320
	v_add_f32_e32 v2, v20, v2
	s_waitcnt lgkmcnt(0)
	v_mul_f32_e32 v19, v16, v7
	v_mul_f32_e32 v7, v15, v7
	v_fmac_f32_e32 v7, v16, v6
	v_fma_f32 v19, v15, v6, -v19
	v_add_f32_e32 v20, v30, v7
	v_mul_f32_e32 v6, v16, v9
	v_mul_f32_e32 v7, v15, v9
	v_fma_f32 v6, v15, v8, -v6
	v_fmac_f32_e32 v7, v16, v8
	v_add_f32_e32 v19, v21, v19
	v_add_f32_e32 v21, v10, v6
	;; [unrolled: 1-line block ×3, first 2 shown]
	ds_read2_b64 v[6:9], v14 offset0:160 offset1:176
	s_waitcnt lgkmcnt(0)
	v_mul_f32_e32 v10, v5, v7
	v_fma_f32 v10, v4, v6, -v10
	v_add_f32_e32 v10, v12, v10
	v_mul_f32_e32 v12, v5, v9
	v_mul_f32_e32 v11, v4, v7
	v_fma_f32 v12, v4, v8, -v12
	v_mul_f32_e32 v4, v4, v9
	v_fmac_f32_e32 v11, v5, v6
	v_fmac_f32_e32 v4, v5, v8
	v_add_f32_e32 v11, v13, v11
	v_add_f32_e32 v12, v3, v12
	;; [unrolled: 1-line block ×3, first 2 shown]
	v_mul_f32_e32 v2, v18, v7
	v_mul_f32_e32 v3, v17, v7
	v_fma_f32 v2, v17, v6, -v2
	v_fmac_f32_e32 v3, v18, v6
	v_add_f32_e32 v15, v19, v2
	v_add_f32_e32 v16, v20, v3
	v_mul_f32_e32 v2, v18, v9
	v_mul_f32_e32 v3, v17, v9
	v_fma_f32 v2, v17, v8, -v2
	v_fmac_f32_e32 v3, v18, v8
	v_add_f32_e32 v17, v21, v2
	v_add_f32_e32 v18, v30, v3
	ds_read_b128 v[2:5], v52 offset:240
	ds_read2_b64 v[6:9], v14 offset0:192 offset1:208
	s_waitcnt lgkmcnt(0)
	v_mul_f32_e32 v19, v3, v7
	v_mul_f32_e32 v20, v2, v7
	v_fma_f32 v19, v2, v6, -v19
	v_fmac_f32_e32 v20, v3, v6
	v_add_f32_e32 v19, v10, v19
	v_add_f32_e32 v21, v11, v20
	v_mul_f32_e32 v10, v3, v9
	v_mul_f32_e32 v11, v2, v9
	v_fma_f32 v10, v2, v8, -v10
	v_fmac_f32_e32 v11, v3, v8
	v_add_f32_e32 v2, v12, v10
	v_add_f32_e32 v3, v13, v11
	ds_read_b128 v[10:13], v52 offset:4336
	s_waitcnt lgkmcnt(0)
	v_mul_f32_e32 v20, v11, v7
	v_mul_f32_e32 v7, v10, v7
	v_fmac_f32_e32 v7, v11, v6
	v_fma_f32 v20, v10, v6, -v20
	v_add_f32_e32 v30, v16, v7
	v_mul_f32_e32 v6, v11, v9
	v_mul_f32_e32 v7, v10, v9
	v_fma_f32 v6, v10, v8, -v6
	v_fmac_f32_e32 v7, v11, v8
	v_add_f32_e32 v10, v17, v6
	v_add_f32_e32 v11, v18, v7
	ds_read2_b64 v[6:9], v14 offset0:224 offset1:240
	v_add_f32_e32 v15, v15, v20
	s_waitcnt lgkmcnt(0)
	s_barrier
	v_mul_f32_e32 v14, v5, v7
	v_fma_f32 v14, v4, v6, -v14
	v_add_f32_e32 v20, v19, v14
	v_mul_f32_e32 v14, v5, v9
	v_mul_f32_e32 v16, v4, v7
	v_fma_f32 v14, v4, v8, -v14
	v_mul_f32_e32 v4, v4, v9
	v_fmac_f32_e32 v4, v5, v8
	v_add_f32_e32 v18, v2, v14
	v_add_f32_e32 v19, v3, v4
	v_mul_f32_e32 v2, v13, v7
	v_mul_f32_e32 v3, v12, v7
	v_fmac_f32_e32 v16, v5, v6
	v_fma_f32 v2, v12, v6, -v2
	v_fmac_f32_e32 v3, v13, v6
	v_add_f32_e32 v21, v21, v16
	v_add_f32_e32 v16, v15, v2
	;; [unrolled: 1-line block ×3, first 2 shown]
	v_mul_f32_e32 v2, v13, v9
	v_mul_f32_e32 v3, v12, v9
	v_fma_f32 v2, v12, v8, -v2
	v_fmac_f32_e32 v3, v13, v8
	v_add_f32_e32 v15, v10, v2
	v_add_f32_e32 v14, v11, v3
	s_cbranch_scc1 .LBB82_55
.LBB82_7:                               ;   Parent Loop BB82_4 Depth=1
                                        ; =>  This Inner Loop Header: Depth=2
	v_mov_b32_e32 v2, s27
	v_add_co_u32_e64 v4, s[10:11], s26, v1
	v_addc_co_u32_e64 v5, s[10:11], 0, v2, s[10:11]
	v_mov_b32_e32 v3, s25
	v_add_co_u32_e64 v2, s[10:11], s24, v48
	v_addc_co_u32_e64 v3, s[10:11], v49, v3, s[10:11]
	v_cmp_le_i64_e64 s[12:13], s[42:43], v[4:5]
	v_cmp_eq_u64_e64 s[16:17], s[26:27], v[26:27]
	v_cmp_gt_i64_e64 s[10:11], v[4:5], v[22:23]
	s_and_b64 s[38:39], s[40:41], s[16:17]
	s_or_b64 s[16:17], s[12:13], s[10:11]
	s_or_b64 s[16:17], s[16:17], s[38:39]
	s_nor_b64 s[16:17], s[0:1], s[16:17]
	s_and_saveexec_b64 s[18:19], s[16:17]
	s_xor_b64 s[16:17], exec, s[18:19]
	s_cbranch_execz .LBB82_9
; %bb.8:                                ;   in Loop: Header=BB82_7 Depth=2
	global_load_dwordx2 v[6:7], v[2:3], off
	s_waitcnt vmcnt(0)
	v_xor_b32_e32 v7, 0x80000000, v7
	ds_write_b64 v51, v[6:7]
.LBB82_9:                               ;   in Loop: Header=BB82_7 Depth=2
	s_or_saveexec_b64 s[16:17], s[16:17]
	s_xor_b64 s[28:29], s[38:39], -1
	s_xor_b64 exec, exec, s[16:17]
	s_cbranch_execz .LBB82_15
; %bb.10:                               ;   in Loop: Header=BB82_7 Depth=2
	s_and_saveexec_b64 s[18:19], s[28:29]
	s_xor_b64 s[18:19], exec, s[18:19]
; %bb.11:                               ;   in Loop: Header=BB82_7 Depth=2
	v_mov_b32_e32 v6, v39
	v_mov_b32_e32 v7, v39
	ds_write_b64 v51, v[6:7]
; %bb.12:                               ;   in Loop: Header=BB82_7 Depth=2
	s_andn2_saveexec_b64 s[18:19], s[18:19]
; %bb.13:                               ;   in Loop: Header=BB82_7 Depth=2
	ds_write_b64 v51, v[38:39]
; %bb.14:                               ;   in Loop: Header=BB82_7 Depth=2
	s_or_b64 exec, exec, s[18:19]
.LBB82_15:                              ;   in Loop: Header=BB82_7 Depth=2
	s_or_b64 exec, exec, s[16:17]
	v_cmp_eq_u64_e64 s[16:17], s[26:27], v[28:29]
	v_cmp_lt_i64_e64 s[18:19], v[24:25], v[4:5]
	s_and_b64 s[16:17], s[40:41], s[16:17]
	s_or_b64 s[12:13], s[12:13], s[18:19]
	s_or_b64 s[12:13], s[12:13], s[16:17]
	s_nor_b64 s[12:13], s[2:3], s[12:13]
	s_and_saveexec_b64 s[18:19], s[12:13]
	s_xor_b64 s[18:19], exec, s[18:19]
	s_cbranch_execz .LBB82_17
; %bb.16:                               ;   in Loop: Header=BB82_7 Depth=2
	v_mov_b32_e32 v7, s25
	v_add_co_u32_e64 v6, s[12:13], s24, v53
	v_addc_co_u32_e64 v7, s[12:13], v54, v7, s[12:13]
	global_load_dwordx2 v[6:7], v[6:7], off
	s_waitcnt vmcnt(0)
	v_xor_b32_e32 v7, 0x80000000, v7
	ds_write_b64 v51, v[6:7] offset:128
.LBB82_17:                              ;   in Loop: Header=BB82_7 Depth=2
	s_andn2_saveexec_b64 s[12:13], s[18:19]
	s_cbranch_execz .LBB82_23
; %bb.18:                               ;   in Loop: Header=BB82_7 Depth=2
	s_xor_b64 s[16:17], s[16:17], -1
	s_and_saveexec_b64 s[18:19], s[16:17]
	s_xor_b64 s[16:17], exec, s[18:19]
; %bb.19:                               ;   in Loop: Header=BB82_7 Depth=2
	v_mov_b32_e32 v6, v39
	v_mov_b32_e32 v7, v39
	ds_write_b64 v51, v[6:7] offset:128
; %bb.20:                               ;   in Loop: Header=BB82_7 Depth=2
	s_andn2_saveexec_b64 s[16:17], s[16:17]
; %bb.21:                               ;   in Loop: Header=BB82_7 Depth=2
	ds_write_b64 v51, v[38:39] offset:128
; %bb.22:                               ;   in Loop: Header=BB82_7 Depth=2
	s_or_b64 exec, exec, s[16:17]
.LBB82_23:                              ;   in Loop: Header=BB82_7 Depth=2
	s_or_b64 exec, exec, s[12:13]
	v_add_co_u32_e64 v4, s[12:13], 16, v4
	v_addc_co_u32_e64 v5, s[12:13], 0, v5, s[12:13]
	v_cmp_le_i64_e64 s[12:13], s[42:43], v[4:5]
	v_cmp_eq_u64_e64 s[16:17], s[26:27], v[32:33]
	v_cmp_gt_i64_e64 s[18:19], v[4:5], v[22:23]
	s_and_b64 s[48:49], s[40:41], s[16:17]
	s_or_b64 s[16:17], s[12:13], s[18:19]
	s_or_b64 s[16:17], s[16:17], s[48:49]
	s_nor_b64 s[16:17], s[0:1], s[16:17]
	s_and_saveexec_b64 s[18:19], s[16:17]
	s_xor_b64 s[16:17], exec, s[18:19]
	s_cbranch_execz .LBB82_25
; %bb.24:                               ;   in Loop: Header=BB82_7 Depth=2
	global_load_dwordx2 v[2:3], v[2:3], off offset:128
	s_waitcnt vmcnt(0)
	v_xor_b32_e32 v3, 0x80000000, v3
	ds_write_b64 v51, v[2:3] offset:4096
.LBB82_25:                              ;   in Loop: Header=BB82_7 Depth=2
	s_andn2_saveexec_b64 s[16:17], s[16:17]
	s_cbranch_execz .LBB82_31
; %bb.26:                               ;   in Loop: Header=BB82_7 Depth=2
	s_xor_b64 s[18:19], s[48:49], -1
	s_and_saveexec_b64 s[48:49], s[18:19]
	s_xor_b64 s[18:19], exec, s[48:49]
; %bb.27:                               ;   in Loop: Header=BB82_7 Depth=2
	v_mov_b32_e32 v2, v39
	v_mov_b32_e32 v3, v39
	ds_write_b64 v51, v[2:3] offset:4096
; %bb.28:                               ;   in Loop: Header=BB82_7 Depth=2
	s_andn2_saveexec_b64 s[18:19], s[18:19]
; %bb.29:                               ;   in Loop: Header=BB82_7 Depth=2
	ds_write_b64 v51, v[38:39] offset:4096
; %bb.30:                               ;   in Loop: Header=BB82_7 Depth=2
	s_or_b64 exec, exec, s[18:19]
.LBB82_31:                              ;   in Loop: Header=BB82_7 Depth=2
	s_or_b64 exec, exec, s[16:17]
	s_or_b64 s[10:11], s[12:13], s[10:11]
	s_or_b64 s[10:11], s[10:11], s[38:39]
	s_nor_b64 s[10:11], s[2:3], s[10:11]
	s_and_saveexec_b64 s[12:13], s[10:11]
	s_xor_b64 s[12:13], exec, s[12:13]
	s_cbranch_execz .LBB82_33
; %bb.32:                               ;   in Loop: Header=BB82_7 Depth=2
	v_mov_b32_e32 v3, s25
	v_add_co_u32_e64 v2, s[10:11], s24, v53
	v_addc_co_u32_e64 v3, s[10:11], v54, v3, s[10:11]
	global_load_dwordx2 v[2:3], v[2:3], off offset:128
	s_waitcnt vmcnt(0)
	v_xor_b32_e32 v3, 0x80000000, v3
	ds_write_b64 v51, v[2:3] offset:4224
.LBB82_33:                              ;   in Loop: Header=BB82_7 Depth=2
	s_andn2_saveexec_b64 s[10:11], s[12:13]
	s_cbranch_execz .LBB82_39
; %bb.34:                               ;   in Loop: Header=BB82_7 Depth=2
	s_and_saveexec_b64 s[12:13], s[28:29]
	s_xor_b64 s[12:13], exec, s[12:13]
; %bb.35:                               ;   in Loop: Header=BB82_7 Depth=2
	v_mov_b32_e32 v2, v39
	v_mov_b32_e32 v3, v39
	ds_write_b64 v51, v[2:3] offset:4224
; %bb.36:                               ;   in Loop: Header=BB82_7 Depth=2
	s_andn2_saveexec_b64 s[12:13], s[12:13]
; %bb.37:                               ;   in Loop: Header=BB82_7 Depth=2
	ds_write_b64 v51, v[38:39] offset:4224
; %bb.38:                               ;   in Loop: Header=BB82_7 Depth=2
	s_or_b64 exec, exec, s[12:13]
.LBB82_39:                              ;   in Loop: Header=BB82_7 Depth=2
	s_or_b64 exec, exec, s[10:11]
	v_mov_b32_e32 v3, s27
	v_add_co_u32_e64 v2, s[10:11], s26, v0
	v_addc_co_u32_e64 v3, s[10:11], 0, v3, s[10:11]
	v_cmp_gt_i64_e64 s[10:11], s[42:43], v[2:3]
	s_and_b64 s[12:13], vcc, s[10:11]
	s_xor_b64 s[12:13], s[12:13], -1
	s_and_saveexec_b64 s[16:17], s[12:13]
	s_xor_b64 s[12:13], exec, s[16:17]
; %bb.40:                               ;   in Loop: Header=BB82_7 Depth=2
	v_mov_b32_e32 v4, v39
	v_mov_b32_e32 v5, v39
	ds_write_b64 v55, v[4:5]
; %bb.41:                               ;   in Loop: Header=BB82_7 Depth=2
	s_or_saveexec_b64 s[16:17], s[12:13]
	v_mov_b32_e32 v5, s25
	v_add_co_u32_e64 v4, s[12:13], s24, v44
	v_addc_co_u32_e64 v5, s[12:13], v45, v5, s[12:13]
	s_xor_b64 exec, exec, s[16:17]
	s_cbranch_execz .LBB82_43
; %bb.42:                               ;   in Loop: Header=BB82_7 Depth=2
	global_load_dwordx2 v[6:7], v[4:5], off offset:-128
	s_waitcnt vmcnt(0)
	ds_write_b64 v55, v[6:7]
.LBB82_43:                              ;   in Loop: Header=BB82_7 Depth=2
	s_or_b64 exec, exec, s[16:17]
	v_cmp_gt_i64_e64 s[12:13], s[46:47], v[2:3]
	s_and_b64 s[16:17], vcc, s[12:13]
	s_xor_b64 s[16:17], s[16:17], -1
	s_and_saveexec_b64 s[18:19], s[16:17]
	s_xor_b64 s[16:17], exec, s[18:19]
; %bb.44:                               ;   in Loop: Header=BB82_7 Depth=2
	v_mov_b32_e32 v2, v39
	v_mov_b32_e32 v3, v39
	ds_write_b64 v55, v[2:3] offset:128
                                        ; implicit-def: $vgpr4_vgpr5
; %bb.45:                               ;   in Loop: Header=BB82_7 Depth=2
	s_andn2_saveexec_b64 s[16:17], s[16:17]
	s_cbranch_execz .LBB82_47
; %bb.46:                               ;   in Loop: Header=BB82_7 Depth=2
	global_load_dwordx2 v[2:3], v[4:5], off
	s_waitcnt vmcnt(0)
	ds_write_b64 v55, v[2:3] offset:128
.LBB82_47:                              ;   in Loop: Header=BB82_7 Depth=2
	s_or_b64 exec, exec, s[16:17]
	s_and_b64 s[10:11], s[8:9], s[10:11]
	s_xor_b64 s[10:11], s[10:11], -1
	s_and_saveexec_b64 s[16:17], s[10:11]
	s_xor_b64 s[10:11], exec, s[16:17]
; %bb.48:                               ;   in Loop: Header=BB82_7 Depth=2
	v_mov_b32_e32 v2, v39
	v_mov_b32_e32 v3, v39
	ds_write_b64 v55, v[2:3] offset:4096
; %bb.49:                               ;   in Loop: Header=BB82_7 Depth=2
	s_or_saveexec_b64 s[16:17], s[10:11]
	v_mov_b32_e32 v3, s25
	v_add_co_u32_e64 v2, s[10:11], s24, v46
	v_addc_co_u32_e64 v3, s[10:11], v47, v3, s[10:11]
	s_xor_b64 exec, exec, s[16:17]
	s_cbranch_execz .LBB82_51
; %bb.50:                               ;   in Loop: Header=BB82_7 Depth=2
	global_load_dwordx2 v[4:5], v[2:3], off
	s_waitcnt vmcnt(0)
	ds_write_b64 v55, v[4:5] offset:4096
.LBB82_51:                              ;   in Loop: Header=BB82_7 Depth=2
	s_or_b64 exec, exec, s[16:17]
	s_and_b64 s[10:11], s[8:9], s[12:13]
	s_xor_b64 s[10:11], s[10:11], -1
	s_and_saveexec_b64 s[12:13], s[10:11]
	s_xor_b64 s[10:11], exec, s[12:13]
; %bb.52:                               ;   in Loop: Header=BB82_7 Depth=2
	v_mov_b32_e32 v2, v39
	v_mov_b32_e32 v3, v39
	ds_write_b64 v55, v[2:3] offset:4224
                                        ; implicit-def: $vgpr2_vgpr3
; %bb.53:                               ;   in Loop: Header=BB82_7 Depth=2
	s_andn2_saveexec_b64 s[10:11], s[10:11]
	s_cbranch_execz .LBB82_6
; %bb.54:                               ;   in Loop: Header=BB82_7 Depth=2
	global_load_dwordx2 v[2:3], v[2:3], off offset:128
	s_waitcnt vmcnt(0)
	ds_write_b64 v55, v[2:3] offset:4224
	s_branch .LBB82_6
.LBB82_55:                              ;   in Loop: Header=BB82_4 Depth=1
	v_mul_lo_u32 v4, s45, v56
	v_mul_lo_u32 v5, s44, v57
	v_mad_u64_u32 v[2:3], s[8:9], s44, v56, 0
	v_cmp_gt_i32_e32 vcc, s30, v56
	v_add3_u32 v3, v3, v5, v4
	v_lshlrev_b64 v[2:3], 3, v[2:3]
	v_mov_b32_e32 v4, s51
	v_add_co_u32_e64 v2, s[8:9], s50, v2
	v_addc_co_u32_e64 v3, s[8:9], v4, v3, s[8:9]
	s_and_b64 s[8:9], s[4:5], vcc
	s_and_saveexec_b64 s[10:11], s[8:9]
	s_cbranch_execz .LBB82_57
; %bb.56:                               ;   in Loop: Header=BB82_4 Depth=1
	v_lshlrev_b64 v[4:5], 3, v[22:23]
	v_mul_f32_e32 v8, s35, v21
	v_add_co_u32_e64 v4, s[8:9], v2, v4
	v_addc_co_u32_e64 v5, s[8:9], v3, v5, s[8:9]
	global_load_dwordx2 v[6:7], v[4:5], off
	v_mul_f32_e32 v9, s34, v21
	v_fma_f32 v8, v20, s34, -v8
	v_fmac_f32_e32 v9, s35, v20
	s_waitcnt vmcnt(0)
	v_add_f32_e32 v6, v6, v8
	v_add_f32_e32 v7, v9, v7
	global_store_dwordx2 v[4:5], v[6:7], off
.LBB82_57:                              ;   in Loop: Header=BB82_4 Depth=1
	s_or_b64 exec, exec, s[10:11]
	s_and_b64 s[10:11], s[14:15], vcc
	s_and_saveexec_b64 s[8:9], s[10:11]
	s_cbranch_execz .LBB82_59
; %bb.58:                               ;   in Loop: Header=BB82_4 Depth=1
	v_add_co_u32_e32 v2, vcc, v2, v40
	v_addc_co_u32_e32 v3, vcc, v3, v41, vcc
	global_load_dwordx2 v[4:5], v[2:3], off
	v_mul_f32_e32 v6, s35, v19
	v_mul_f32_e32 v7, s34, v19
	v_fma_f32 v6, v18, s34, -v6
	v_fmac_f32_e32 v7, s35, v18
	s_waitcnt vmcnt(0)
	v_add_f32_e32 v4, v4, v6
	v_add_f32_e32 v5, v7, v5
	global_store_dwordx2 v[2:3], v[4:5], off
.LBB82_59:                              ;   in Loop: Header=BB82_4 Depth=1
	s_or_b64 exec, exec, s[8:9]
	v_add_u32_e32 v4, 16, v56
	v_ashrrev_i32_e32 v2, 31, v4
	v_mul_lo_u32 v5, s44, v2
	v_mul_lo_u32 v6, s45, v4
	v_mad_u64_u32 v[2:3], s[8:9], s44, v4, 0
	v_cmp_gt_i32_e32 vcc, s30, v4
	v_mov_b32_e32 v4, s51
	v_add3_u32 v3, v3, v5, v6
	v_lshlrev_b64 v[2:3], 3, v[2:3]
	v_add_co_u32_e64 v2, s[8:9], s50, v2
	v_addc_co_u32_e64 v3, s[8:9], v4, v3, s[8:9]
	s_and_b64 s[8:9], s[4:5], vcc
	s_and_saveexec_b64 s[10:11], s[8:9]
	s_cbranch_execz .LBB82_61
; %bb.60:                               ;   in Loop: Header=BB82_4 Depth=1
	v_lshlrev_b64 v[4:5], 3, v[22:23]
	v_mul_f32_e32 v8, s35, v17
	v_add_co_u32_e64 v4, s[8:9], v2, v4
	v_addc_co_u32_e64 v5, s[8:9], v3, v5, s[8:9]
	global_load_dwordx2 v[6:7], v[4:5], off
	v_mul_f32_e32 v9, s34, v17
	v_fma_f32 v8, v16, s34, -v8
	v_fmac_f32_e32 v9, s35, v16
	s_waitcnt vmcnt(0)
	v_add_f32_e32 v6, v6, v8
	v_add_f32_e32 v7, v9, v7
	global_store_dwordx2 v[4:5], v[6:7], off
.LBB82_61:                              ;   in Loop: Header=BB82_4 Depth=1
	s_or_b64 exec, exec, s[10:11]
	s_and_b64 s[10:11], s[14:15], vcc
	s_and_saveexec_b64 s[8:9], s[10:11]
	s_cbranch_execz .LBB82_3
; %bb.62:                               ;   in Loop: Header=BB82_4 Depth=1
	v_add_co_u32_e32 v2, vcc, v2, v40
	v_addc_co_u32_e32 v3, vcc, v3, v41, vcc
	global_load_dwordx2 v[4:5], v[2:3], off
	v_mul_f32_e32 v6, s35, v14
	v_mul_f32_e32 v7, s34, v14
	v_fma_f32 v6, v15, s34, -v6
	v_fmac_f32_e32 v7, s35, v15
	s_waitcnt vmcnt(0)
	v_add_f32_e32 v4, v4, v6
	v_add_f32_e32 v5, v7, v5
	global_store_dwordx2 v[2:3], v[4:5], off
	s_branch .LBB82_3
.LBB82_63:
	s_endpgm
	.section	.rodata,"a",@progbits
	.p2align	6, 0x0
	.amdhsa_kernel _ZL30rocblas_trmm_outofplace_kernelI19rocblas_complex_numIfELi32ELi2ELb1ELb1ELb1ELb1EPKS1_S2_S1_Ev17rocblas_diagonal_iiT6_lPT7_lllS7_lllPT8_llli
		.amdhsa_group_segment_fixed_size 16384
		.amdhsa_private_segment_fixed_size 20
		.amdhsa_kernarg_size 392
		.amdhsa_user_sgpr_count 6
		.amdhsa_user_sgpr_private_segment_buffer 1
		.amdhsa_user_sgpr_dispatch_ptr 0
		.amdhsa_user_sgpr_queue_ptr 0
		.amdhsa_user_sgpr_kernarg_segment_ptr 1
		.amdhsa_user_sgpr_dispatch_id 0
		.amdhsa_user_sgpr_flat_scratch_init 0
		.amdhsa_user_sgpr_private_segment_size 0
		.amdhsa_uses_dynamic_stack 0
		.amdhsa_system_sgpr_private_segment_wavefront_offset 1
		.amdhsa_system_sgpr_workgroup_id_x 1
		.amdhsa_system_sgpr_workgroup_id_y 1
		.amdhsa_system_sgpr_workgroup_id_z 1
		.amdhsa_system_sgpr_workgroup_info 0
		.amdhsa_system_vgpr_workitem_id 1
		.amdhsa_next_free_vgpr 64
		.amdhsa_next_free_sgpr 61
		.amdhsa_reserve_vcc 1
		.amdhsa_reserve_flat_scratch 0
		.amdhsa_float_round_mode_32 0
		.amdhsa_float_round_mode_16_64 0
		.amdhsa_float_denorm_mode_32 3
		.amdhsa_float_denorm_mode_16_64 3
		.amdhsa_dx10_clamp 1
		.amdhsa_ieee_mode 1
		.amdhsa_fp16_overflow 0
		.amdhsa_exception_fp_ieee_invalid_op 0
		.amdhsa_exception_fp_denorm_src 0
		.amdhsa_exception_fp_ieee_div_zero 0
		.amdhsa_exception_fp_ieee_overflow 0
		.amdhsa_exception_fp_ieee_underflow 0
		.amdhsa_exception_fp_ieee_inexact 0
		.amdhsa_exception_int_div_zero 0
	.end_amdhsa_kernel
	.section	.text._ZL30rocblas_trmm_outofplace_kernelI19rocblas_complex_numIfELi32ELi2ELb1ELb1ELb1ELb1EPKS1_S2_S1_Ev17rocblas_diagonal_iiT6_lPT7_lllS7_lllPT8_llli,"axG",@progbits,_ZL30rocblas_trmm_outofplace_kernelI19rocblas_complex_numIfELi32ELi2ELb1ELb1ELb1ELb1EPKS1_S2_S1_Ev17rocblas_diagonal_iiT6_lPT7_lllS7_lllPT8_llli,comdat
.Lfunc_end82:
	.size	_ZL30rocblas_trmm_outofplace_kernelI19rocblas_complex_numIfELi32ELi2ELb1ELb1ELb1ELb1EPKS1_S2_S1_Ev17rocblas_diagonal_iiT6_lPT7_lllS7_lllPT8_llli, .Lfunc_end82-_ZL30rocblas_trmm_outofplace_kernelI19rocblas_complex_numIfELi32ELi2ELb1ELb1ELb1ELb1EPKS1_S2_S1_Ev17rocblas_diagonal_iiT6_lPT7_lllS7_lllPT8_llli
                                        ; -- End function
	.set _ZL30rocblas_trmm_outofplace_kernelI19rocblas_complex_numIfELi32ELi2ELb1ELb1ELb1ELb1EPKS1_S2_S1_Ev17rocblas_diagonal_iiT6_lPT7_lllS7_lllPT8_llli.num_vgpr, 64
	.set _ZL30rocblas_trmm_outofplace_kernelI19rocblas_complex_numIfELi32ELi2ELb1ELb1ELb1ELb1EPKS1_S2_S1_Ev17rocblas_diagonal_iiT6_lPT7_lllS7_lllPT8_llli.num_agpr, 0
	.set _ZL30rocblas_trmm_outofplace_kernelI19rocblas_complex_numIfELi32ELi2ELb1ELb1ELb1ELb1EPKS1_S2_S1_Ev17rocblas_diagonal_iiT6_lPT7_lllS7_lllPT8_llli.numbered_sgpr, 60
	.set _ZL30rocblas_trmm_outofplace_kernelI19rocblas_complex_numIfELi32ELi2ELb1ELb1ELb1ELb1EPKS1_S2_S1_Ev17rocblas_diagonal_iiT6_lPT7_lllS7_lllPT8_llli.num_named_barrier, 0
	.set _ZL30rocblas_trmm_outofplace_kernelI19rocblas_complex_numIfELi32ELi2ELb1ELb1ELb1ELb1EPKS1_S2_S1_Ev17rocblas_diagonal_iiT6_lPT7_lllS7_lllPT8_llli.private_seg_size, 20
	.set _ZL30rocblas_trmm_outofplace_kernelI19rocblas_complex_numIfELi32ELi2ELb1ELb1ELb1ELb1EPKS1_S2_S1_Ev17rocblas_diagonal_iiT6_lPT7_lllS7_lllPT8_llli.uses_vcc, 1
	.set _ZL30rocblas_trmm_outofplace_kernelI19rocblas_complex_numIfELi32ELi2ELb1ELb1ELb1ELb1EPKS1_S2_S1_Ev17rocblas_diagonal_iiT6_lPT7_lllS7_lllPT8_llli.uses_flat_scratch, 0
	.set _ZL30rocblas_trmm_outofplace_kernelI19rocblas_complex_numIfELi32ELi2ELb1ELb1ELb1ELb1EPKS1_S2_S1_Ev17rocblas_diagonal_iiT6_lPT7_lllS7_lllPT8_llli.has_dyn_sized_stack, 0
	.set _ZL30rocblas_trmm_outofplace_kernelI19rocblas_complex_numIfELi32ELi2ELb1ELb1ELb1ELb1EPKS1_S2_S1_Ev17rocblas_diagonal_iiT6_lPT7_lllS7_lllPT8_llli.has_recursion, 0
	.set _ZL30rocblas_trmm_outofplace_kernelI19rocblas_complex_numIfELi32ELi2ELb1ELb1ELb1ELb1EPKS1_S2_S1_Ev17rocblas_diagonal_iiT6_lPT7_lllS7_lllPT8_llli.has_indirect_call, 0
	.section	.AMDGPU.csdata,"",@progbits
; Kernel info:
; codeLenInByte = 6704
; TotalNumSgprs: 64
; NumVgprs: 64
; ScratchSize: 20
; MemoryBound: 0
; FloatMode: 240
; IeeeMode: 1
; LDSByteSize: 16384 bytes/workgroup (compile time only)
; SGPRBlocks: 8
; VGPRBlocks: 15
; NumSGPRsForWavesPerEU: 65
; NumVGPRsForWavesPerEU: 64
; Occupancy: 4
; WaveLimiterHint : 0
; COMPUTE_PGM_RSRC2:SCRATCH_EN: 1
; COMPUTE_PGM_RSRC2:USER_SGPR: 6
; COMPUTE_PGM_RSRC2:TRAP_HANDLER: 0
; COMPUTE_PGM_RSRC2:TGID_X_EN: 1
; COMPUTE_PGM_RSRC2:TGID_Y_EN: 1
; COMPUTE_PGM_RSRC2:TGID_Z_EN: 1
; COMPUTE_PGM_RSRC2:TIDIG_COMP_CNT: 1
	.section	.text._ZL30rocblas_trmm_outofplace_kernelI19rocblas_complex_numIfELi32ELi2ELb1ELb1ELb1ELb1ES1_KS1_S1_Ev17rocblas_diagonal_iiT6_lPT7_lllS6_lllPT8_llli,"axG",@progbits,_ZL30rocblas_trmm_outofplace_kernelI19rocblas_complex_numIfELi32ELi2ELb1ELb1ELb1ELb1ES1_KS1_S1_Ev17rocblas_diagonal_iiT6_lPT7_lllS6_lllPT8_llli,comdat
	.globl	_ZL30rocblas_trmm_outofplace_kernelI19rocblas_complex_numIfELi32ELi2ELb1ELb1ELb1ELb1ES1_KS1_S1_Ev17rocblas_diagonal_iiT6_lPT7_lllS6_lllPT8_llli ; -- Begin function _ZL30rocblas_trmm_outofplace_kernelI19rocblas_complex_numIfELi32ELi2ELb1ELb1ELb1ELb1ES1_KS1_S1_Ev17rocblas_diagonal_iiT6_lPT7_lllS6_lllPT8_llli
	.p2align	8
	.type	_ZL30rocblas_trmm_outofplace_kernelI19rocblas_complex_numIfELi32ELi2ELb1ELb1ELb1ELb1ES1_KS1_S1_Ev17rocblas_diagonal_iiT6_lPT7_lllS6_lllPT8_llli,@function
_ZL30rocblas_trmm_outofplace_kernelI19rocblas_complex_numIfELi32ELi2ELb1ELb1ELb1ELb1ES1_KS1_S1_Ev17rocblas_diagonal_iiT6_lPT7_lllS6_lllPT8_llli: ; @_ZL30rocblas_trmm_outofplace_kernelI19rocblas_complex_numIfELi32ELi2ELb1ELb1ELb1ELb1ES1_KS1_S1_Ev17rocblas_diagonal_iiT6_lPT7_lllS6_lllPT8_llli
; %bb.0:
	s_load_dwordx4 s[28:31], s[4:5], 0x0
	s_load_dword s33, s[4:5], 0x10
	s_mov_b64 s[58:59], s[2:3]
	s_mov_b64 s[56:57], s[0:1]
	s_add_u32 s56, s56, s9
	s_addc_u32 s57, s57, 0
	s_waitcnt lgkmcnt(0)
	s_or_b32 s0, s31, s33
	s_bitset0_b32 s0, 31
	s_cmp_eq_u32 s0, 0
	s_cbranch_scc1 .LBB83_63
; %bb.1:
	s_add_i32 s0, s30, -1
	s_ashr_i32 s1, s0, 31
	s_lshr_b32 s1, s1, 27
	s_add_i32 s0, s0, s1
	s_ashr_i32 s48, s0, 5
	s_cmp_gt_i32 s7, s48
	s_cbranch_scc1 .LBB83_63
; %bb.2:
	s_load_dwordx16 s[12:27], s[4:5], 0x20
	s_load_dwordx8 s[36:43], s[4:5], 0x60
	v_lshlrev_b32_e32 v6, 3, v1
	v_lshlrev_b32_e32 v50, 3, v0
	s_load_dword s53, s[4:5], 0x8c
	s_waitcnt lgkmcnt(0)
	s_mul_i32 s1, s19, s8
	s_mul_hi_u32 s2, s18, s8
	s_mul_i32 s0, s18, s8
	s_add_i32 s1, s2, s1
	s_lshl_b64 s[10:11], s[0:1], 3
	s_add_u32 s0, s12, s10
	s_addc_u32 s1, s13, s11
	s_lshl_b64 s[18:19], s[14:15], 3
	s_add_u32 s2, s0, s18
	s_addc_u32 s3, s1, s19
	s_mul_i32 s0, s43, s8
	s_mul_hi_u32 s1, s42, s8
	s_add_i32 s1, s1, s0
	s_mul_i32 s0, s42, s8
	s_lshl_b64 s[0:1], s[0:1], 3
	s_add_u32 s9, s36, s0
	s_addc_u32 s14, s37, s1
	s_lshl_b64 s[0:1], s[38:39], 3
	s_add_u32 s49, s9, s0
	s_addc_u32 s50, s14, s1
	s_lshl_b32 s51, s6, 5
	v_add_u32_e32 v22, s51, v0
	v_ashrrev_i32_e32 v23, 31, v22
	v_mul_lo_u32 v4, s16, v23
	v_mul_lo_u32 v5, s17, v22
	v_mad_u64_u32 v[2:3], s[0:1], s16, v22, 0
	s_cmp_gt_i32 s6, -1
	s_cselect_b64 s[34:35], -1, 0
	v_add3_u32 v3, v3, v4, v5
	v_lshlrev_b64 v[2:3], 3, v[2:3]
	v_mov_b32_e32 v4, s3
	v_add_co_u32_e32 v2, vcc, s2, v2
	v_addc_co_u32_e32 v3, vcc, v4, v3, vcc
	v_add_co_u32_e32 v48, vcc, v2, v6
	v_addc_co_u32_e32 v49, vcc, 0, v3, vcc
	;; [unrolled: 2-line block ×3, first 2 shown]
	s_cmpk_eq_i32 s28, 0x84
	v_sub_co_u32_e32 v26, vcc, v22, v1
	s_cselect_b64 s[36:37], -1, 0
	s_ashr_i32 s39, s29, 31
	s_ashr_i32 s6, s30, 31
	v_subbrev_co_u32_e32 v27, vcc, 0, v23, vcc
	s_add_u32 s42, s29, -16
	v_add_co_u32_e32 v28, vcc, 16, v26
	v_lshlrev_b64 v[4:5], 3, v[22:23]
	s_addc_u32 s43, s39, -1
	v_addc_co_u32_e32 v29, vcc, 0, v27, vcc
	s_movk_i32 s9, 0x80
	v_add_co_u32_e32 v7, vcc, s9, v4
	s_add_u32 s10, s18, s10
	v_addc_co_u32_e32 v8, vcc, 0, v5, vcc
	s_addc_u32 s11, s19, s11
	v_mov_b32_e32 v4, s10
	v_mov_b32_e32 v5, s11
	v_mad_u64_u32 v[4:5], s[10:11], s16, v7, v[4:5]
	v_mul_lo_u32 v8, s16, v8
	v_mul_lo_u32 v7, s17, v7
	s_mul_i32 s9, s27, s8
	s_mul_hi_u32 s10, s26, s8
	v_add_co_u32_e32 v32, vcc, -16, v26
	s_add_i32 s9, s10, s9
	s_mul_i32 s8, s26, s8
	v_addc_co_u32_e32 v33, vcc, -1, v27, vcc
	s_lshl_b64 s[8:9], s[8:9], 3
	s_lshl_b64 s[10:11], s[22:23], 3
	v_add3_u32 v5, v7, v5, v8
	v_add_co_u32_e32 v4, vcc, v4, v6
	s_add_u32 s8, s8, s10
	v_addc_co_u32_e32 v5, vcc, 0, v5, vcc
	s_addc_u32 s9, s9, s11
	v_mov_b32_e32 v6, s13
	v_add_co_u32_e32 v53, vcc, s12, v4
	s_add_u32 s8, s20, s8
	v_addc_co_u32_e32 v54, vcc, v6, v5, vcc
	s_addc_u32 s9, s21, s9
	v_mov_b32_e32 v4, s9
	v_add_co_u32_e32 v5, vcc, s8, v50
	v_addc_co_u32_e32 v6, vcc, 0, v4, vcc
	v_add_co_u32_e32 v4, vcc, 0x80, v5
	buffer_store_dword v5, off, s[56:59], 0 ; 4-byte Folded Spill
	s_nop 0
	buffer_store_dword v6, off, s[56:59], 0 offset:4 ; 4-byte Folded Spill
	v_lshlrev_b32_e32 v2, 8, v1
	v_add_u32_e32 v51, v50, v2
	v_add_u32_e32 v52, 0x2000, v2
	;; [unrolled: 1-line block ×3, first 2 shown]
	s_mov_b32 s38, s29
	v_ashrrev_i32_e32 v3, 31, v2
	v_cmp_le_i64_e64 s[2:3], s[38:39], v[24:25]
	v_lshlrev_b64 v[40:41], 3, v[2:3]
	s_mov_b32 s52, s30
	v_cmp_le_i32_e64 s[0:1], s29, v22
	v_cmp_gt_i32_e64 s[4:5], s29, v22
	v_cmp_gt_i32_e64 s[14:15], s29, v2
	s_lshl_b64 s[20:21], s[24:25], 3
	s_lshl_b32 s54, s53, 5
	v_mov_b32_e32 v39, 0
	v_mov_b32_e32 v38, 1.0
	v_add_u32_e32 v55, v52, v50
	v_lshl_add_u32 v42, s7, 5, v1
	v_addc_co_u32_e32 v5, vcc, 0, v6, vcc
	buffer_store_dword v4, off, s[56:59], 0 offset:8 ; 4-byte Folded Spill
	s_nop 0
	buffer_store_dword v5, off, s[56:59], 0 offset:12 ; 4-byte Folded Spill
	s_branch .LBB83_4
.LBB83_3:                               ;   in Loop: Header=BB83_4 Depth=1
	s_or_b64 exec, exec, s[8:9]
	s_add_i32 s7, s53, s7
	s_cmp_le_i32 s7, s48
	v_add_u32_e32 v42, s54, v42
	s_cbranch_scc0 .LBB83_63
.LBB83_4:                               ; =>This Loop Header: Depth=1
                                        ;     Child Loop BB83_7 Depth 2
	v_lshl_add_u32 v56, s7, 5, v1
	v_ashrrev_i32_e32 v57, 31, v56
	s_andn2_b64 vcc, exec, s[34:35]
	v_mov_b32_e32 v20, v39
	v_mov_b32_e32 v21, v39
	;; [unrolled: 1-line block ×8, first 2 shown]
	s_cbranch_vccnz .LBB83_55
; %bb.5:                                ;   in Loop: Header=BB83_4 Depth=1
	buffer_load_dword v2, off, s[56:59], 0 offset:8 ; 4-byte Folded Reload
	buffer_load_dword v3, off, s[56:59], 0 offset:12 ; 4-byte Folded Reload
	buffer_load_dword v7, off, s[56:59], 0  ; 4-byte Folded Reload
	buffer_load_dword v8, off, s[56:59], 0 offset:4 ; 4-byte Folded Reload
	v_ashrrev_i32_e32 v43, 31, v42
	v_mul_lo_u32 v4, s21, v42
	v_mul_lo_u32 v5, s20, v43
	s_mov_b64 s[22:23], 0
	v_mov_b32_e32 v14, 0
	s_mov_b64 s[26:27], 0
	v_mov_b32_e32 v15, 0
	v_mov_b32_e32 v17, 0
	;; [unrolled: 1-line block ×7, first 2 shown]
	s_waitcnt vmcnt(2)
	v_mad_u64_u32 v[44:45], s[8:9], s20, v42, v[2:3]
	v_lshlrev_b64 v[2:3], 3, v[42:43]
	v_add_co_u32_e32 v2, vcc, 0x80, v2
	v_addc_co_u32_e32 v3, vcc, 0, v3, vcc
	v_mul_lo_u32 v3, s24, v3
	v_mul_lo_u32 v6, s25, v2
	s_waitcnt vmcnt(0)
	v_mad_u64_u32 v[46:47], s[8:9], s24, v2, v[7:8]
	v_sub_co_u32_e32 v2, vcc, s52, v56
	v_add3_u32 v47, v6, v47, v3
	v_mov_b32_e32 v3, s6
	v_subb_co_u32_e32 v3, vcc, v3, v57, vcc
	v_cmp_lt_i64_e32 vcc, 0, v[2:3]
	v_cmp_lt_i64_e64 s[8:9], 16, v[2:3]
	v_add3_u32 v45, v4, v45, v5
	s_branch .LBB83_7
.LBB83_6:                               ;   in Loop: Header=BB83_7 Depth=2
	s_or_b64 exec, exec, s[10:11]
	s_waitcnt lgkmcnt(0)
	s_barrier
	ds_read_b128 v[58:61], v52
	ds_read_b128 v[10:13], v52 offset:16
	ds_read_b128 v[6:9], v52 offset:32
	;; [unrolled: 1-line block ×3, first 2 shown]
	ds_read2_b64 v[34:37], v50 offset1:16
	s_add_u32 s26, s26, 32
	s_addc_u32 s27, s27, 0
	s_add_u32 s22, s22, 0x100
	s_addc_u32 s23, s23, 0
	s_waitcnt lgkmcnt(0)
	v_mul_f32_e32 v43, v59, v35
	v_mul_f32_e32 v62, v58, v35
	v_fma_f32 v43, v58, v34, -v43
	v_fmac_f32_e32 v62, v59, v34
	v_add_f32_e32 v43, v20, v43
	v_add_f32_e32 v62, v21, v62
	v_mul_f32_e32 v20, v59, v37
	v_mul_f32_e32 v21, v58, v37
	v_fma_f32 v20, v58, v36, -v20
	v_fmac_f32_e32 v21, v59, v36
	v_add_f32_e32 v58, v18, v20
	v_add_f32_e32 v59, v19, v21
	ds_read_b128 v[18:21], v52 offset:4096
	s_sub_i32 s10, s26, 32
	s_cmp_ge_i32 s10, s51
	s_waitcnt lgkmcnt(0)
	v_mul_f32_e32 v63, v19, v35
	v_mul_f32_e32 v35, v18, v35
	v_fma_f32 v63, v18, v34, -v63
	v_fmac_f32_e32 v35, v19, v34
	v_add_f32_e32 v34, v16, v63
	v_add_f32_e32 v35, v17, v35
	v_mul_f32_e32 v16, v19, v37
	v_mul_f32_e32 v17, v18, v37
	v_fma_f32 v16, v18, v36, -v16
	v_fmac_f32_e32 v17, v19, v36
	v_add_f32_e32 v18, v15, v16
	v_add_f32_e32 v19, v14, v17
	ds_read2_b64 v[14:17], v50 offset0:32 offset1:48
	s_waitcnt lgkmcnt(0)
	v_mul_f32_e32 v36, v61, v15
	v_fma_f32 v36, v60, v14, -v36
	v_add_f32_e32 v36, v43, v36
	v_mul_f32_e32 v43, v61, v17
	v_mul_f32_e32 v37, v60, v15
	v_fma_f32 v43, v60, v16, -v43
	v_mul_f32_e32 v60, v60, v17
	v_mul_f32_e32 v31, v21, v15
	;; [unrolled: 1-line block ×3, first 2 shown]
	v_fmac_f32_e32 v60, v61, v16
	v_fmac_f32_e32 v15, v21, v14
	;; [unrolled: 1-line block ×3, first 2 shown]
	v_add_f32_e32 v30, v59, v60
	v_fma_f32 v31, v20, v14, -v31
	v_add_f32_e32 v60, v35, v15
	v_mul_f32_e32 v14, v21, v17
	v_mul_f32_e32 v15, v20, v17
	v_fma_f32 v14, v20, v16, -v14
	v_fmac_f32_e32 v15, v21, v16
	v_add_f32_e32 v37, v62, v37
	v_add_f32_e32 v61, v18, v14
	;; [unrolled: 1-line block ×3, first 2 shown]
	ds_read2_b64 v[14:17], v50 offset0:64 offset1:80
	v_add_f32_e32 v63, v58, v43
	v_add_f32_e32 v59, v34, v31
	s_waitcnt lgkmcnt(0)
	v_mul_f32_e32 v18, v11, v15
	v_mul_f32_e32 v19, v10, v15
	v_fma_f32 v18, v10, v14, -v18
	v_fmac_f32_e32 v19, v11, v14
	v_add_f32_e32 v43, v36, v18
	v_add_f32_e32 v58, v37, v19
	v_mul_f32_e32 v18, v11, v17
	v_mul_f32_e32 v19, v10, v17
	v_fma_f32 v18, v10, v16, -v18
	v_fmac_f32_e32 v19, v11, v16
	v_add_f32_e32 v10, v63, v18
	v_add_f32_e32 v11, v30, v19
	ds_read_b128 v[18:21], v52 offset:4112
	s_waitcnt lgkmcnt(0)
	v_mul_f32_e32 v30, v19, v15
	v_mul_f32_e32 v15, v18, v15
	v_fmac_f32_e32 v15, v19, v14
	v_fma_f32 v30, v18, v14, -v30
	v_add_f32_e32 v31, v60, v15
	v_mul_f32_e32 v14, v19, v17
	v_mul_f32_e32 v15, v18, v17
	v_fma_f32 v14, v18, v16, -v14
	v_fmac_f32_e32 v15, v19, v16
	v_add_f32_e32 v18, v61, v14
	v_add_f32_e32 v19, v62, v15
	ds_read2_b64 v[14:17], v50 offset0:96 offset1:112
	v_add_f32_e32 v30, v59, v30
	s_waitcnt lgkmcnt(0)
	v_mul_f32_e32 v34, v13, v15
	v_mul_f32_e32 v36, v13, v17
	v_fma_f32 v34, v12, v14, -v34
	v_mul_f32_e32 v35, v12, v15
	v_fma_f32 v36, v12, v16, -v36
	v_mul_f32_e32 v12, v12, v17
	v_fmac_f32_e32 v12, v13, v16
	v_add_f32_e32 v36, v10, v36
	v_add_f32_e32 v37, v11, v12
	v_mul_f32_e32 v10, v21, v15
	v_mul_f32_e32 v11, v20, v15
	v_fma_f32 v10, v20, v14, -v10
	v_fmac_f32_e32 v11, v21, v14
	v_fmac_f32_e32 v35, v13, v14
	v_add_f32_e32 v14, v30, v10
	v_add_f32_e32 v15, v31, v11
	v_mul_f32_e32 v10, v21, v17
	v_mul_f32_e32 v11, v20, v17
	v_fma_f32 v10, v20, v16, -v10
	v_fmac_f32_e32 v11, v21, v16
	v_add_f32_e32 v20, v18, v10
	v_add_f32_e32 v21, v19, v11
	ds_read2_b64 v[10:13], v50 offset0:128 offset1:144
	v_add_f32_e32 v34, v43, v34
	v_add_f32_e32 v35, v58, v35
	s_waitcnt lgkmcnt(0)
	v_mul_f32_e32 v16, v7, v11
	v_fma_f32 v16, v6, v10, -v16
	v_mul_f32_e32 v17, v6, v11
	v_add_f32_e32 v30, v34, v16
	v_mul_f32_e32 v16, v7, v13
	v_fmac_f32_e32 v17, v7, v10
	v_fma_f32 v16, v6, v12, -v16
	v_mul_f32_e32 v6, v6, v13
	v_add_f32_e32 v31, v35, v17
	v_fmac_f32_e32 v6, v7, v12
	v_add_f32_e32 v7, v36, v16
	ds_read_b128 v[16:19], v52 offset:4128
	v_add_f32_e32 v6, v37, v6
	s_waitcnt lgkmcnt(0)
	v_mul_f32_e32 v34, v17, v11
	v_mul_f32_e32 v11, v16, v11
	v_fmac_f32_e32 v11, v17, v10
	v_fma_f32 v34, v16, v10, -v34
	v_add_f32_e32 v15, v15, v11
	v_mul_f32_e32 v10, v17, v13
	v_mul_f32_e32 v11, v16, v13
	v_fma_f32 v10, v16, v12, -v10
	v_fmac_f32_e32 v11, v17, v12
	v_add_f32_e32 v20, v20, v10
	v_add_f32_e32 v21, v21, v11
	ds_read2_b64 v[10:13], v50 offset0:160 offset1:176
	v_add_f32_e32 v14, v14, v34
	s_waitcnt lgkmcnt(0)
	v_mul_f32_e32 v16, v9, v11
	v_fma_f32 v16, v8, v10, -v16
	v_add_f32_e32 v30, v30, v16
	v_mul_f32_e32 v16, v9, v13
	v_mul_f32_e32 v17, v8, v11
	v_fma_f32 v16, v8, v12, -v16
	v_mul_f32_e32 v8, v8, v13
	v_fmac_f32_e32 v8, v9, v12
	v_add_f32_e32 v34, v7, v16
	v_add_f32_e32 v35, v6, v8
	v_mul_f32_e32 v6, v19, v11
	v_mul_f32_e32 v7, v18, v11
	v_fmac_f32_e32 v17, v9, v10
	v_fma_f32 v6, v18, v10, -v6
	v_fmac_f32_e32 v7, v19, v10
	v_add_f32_e32 v31, v31, v17
	v_add_f32_e32 v16, v14, v6
	;; [unrolled: 1-line block ×3, first 2 shown]
	v_mul_f32_e32 v6, v19, v13
	v_mul_f32_e32 v7, v18, v13
	v_fma_f32 v6, v18, v12, -v6
	v_fmac_f32_e32 v7, v19, v12
	v_add_f32_e32 v18, v20, v6
	v_add_f32_e32 v19, v21, v7
	ds_read2_b64 v[6:9], v50 offset0:192 offset1:208
	s_waitcnt lgkmcnt(0)
	v_mul_f32_e32 v10, v3, v7
	v_mul_f32_e32 v11, v2, v7
	v_fma_f32 v10, v2, v6, -v10
	v_fmac_f32_e32 v11, v3, v6
	v_add_f32_e32 v14, v30, v10
	v_add_f32_e32 v15, v31, v11
	v_mul_f32_e32 v10, v3, v9
	v_mul_f32_e32 v11, v2, v9
	v_fma_f32 v10, v2, v8, -v10
	v_fmac_f32_e32 v11, v3, v8
	v_add_f32_e32 v2, v34, v10
	v_add_f32_e32 v3, v35, v11
	ds_read_b128 v[10:13], v52 offset:4144
	s_waitcnt lgkmcnt(0)
	v_mul_f32_e32 v20, v11, v7
	v_mul_f32_e32 v7, v10, v7
	v_fmac_f32_e32 v7, v11, v6
	v_fma_f32 v20, v10, v6, -v20
	v_add_f32_e32 v17, v17, v7
	v_mul_f32_e32 v6, v11, v9
	v_mul_f32_e32 v7, v10, v9
	v_fma_f32 v6, v10, v8, -v6
	v_fmac_f32_e32 v7, v11, v8
	v_add_f32_e32 v10, v18, v6
	v_add_f32_e32 v11, v19, v7
	ds_read2_b64 v[6:9], v50 offset0:224 offset1:240
	v_add_f32_e32 v16, v16, v20
	s_waitcnt lgkmcnt(0)
	v_mul_f32_e32 v18, v5, v7
	v_fma_f32 v18, v4, v6, -v18
	v_add_f32_e32 v18, v14, v18
	v_mul_f32_e32 v14, v5, v9
	v_mul_f32_e32 v19, v4, v7
	v_fma_f32 v14, v4, v8, -v14
	v_mul_f32_e32 v4, v4, v9
	v_fmac_f32_e32 v19, v5, v6
	v_fmac_f32_e32 v4, v5, v8
	v_add_f32_e32 v15, v15, v19
	v_add_f32_e32 v19, v2, v14
	;; [unrolled: 1-line block ×3, first 2 shown]
	v_mul_f32_e32 v2, v13, v7
	v_mul_f32_e32 v3, v12, v7
	v_fma_f32 v2, v12, v6, -v2
	v_fmac_f32_e32 v3, v13, v6
	v_add_f32_e32 v21, v16, v2
	v_add_f32_e32 v30, v17, v3
	v_mul_f32_e32 v2, v13, v9
	v_mul_f32_e32 v3, v12, v9
	v_fma_f32 v2, v12, v8, -v2
	v_fmac_f32_e32 v3, v13, v8
	v_add_u32_e32 v14, 0x800, v50
	v_add_f32_e32 v10, v10, v2
	v_add_f32_e32 v11, v11, v3
	ds_read_b128 v[2:5], v52 offset:64
	ds_read2_b64 v[6:9], v14 offset1:16
	s_waitcnt lgkmcnt(0)
	v_mul_f32_e32 v13, v2, v7
	v_fmac_f32_e32 v13, v3, v6
	v_mul_f32_e32 v12, v3, v7
	v_add_f32_e32 v13, v15, v13
	v_mul_f32_e32 v15, v3, v9
	v_fma_f32 v12, v2, v6, -v12
	v_fma_f32 v15, v2, v8, -v15
	v_mul_f32_e32 v2, v2, v9
	v_add_f32_e32 v12, v18, v12
	v_fmac_f32_e32 v2, v3, v8
	v_add_f32_e32 v3, v19, v15
	ds_read_b128 v[15:18], v52 offset:4160
	v_add_f32_e32 v2, v20, v2
	s_waitcnt lgkmcnt(0)
	v_mul_f32_e32 v19, v16, v7
	v_mul_f32_e32 v7, v15, v7
	v_fmac_f32_e32 v7, v16, v6
	v_fma_f32 v19, v15, v6, -v19
	v_add_f32_e32 v20, v30, v7
	v_mul_f32_e32 v6, v16, v9
	v_mul_f32_e32 v7, v15, v9
	v_fma_f32 v6, v15, v8, -v6
	v_fmac_f32_e32 v7, v16, v8
	v_add_f32_e32 v19, v21, v19
	v_add_f32_e32 v21, v10, v6
	;; [unrolled: 1-line block ×3, first 2 shown]
	ds_read2_b64 v[6:9], v14 offset0:32 offset1:48
	s_waitcnt lgkmcnt(0)
	v_mul_f32_e32 v10, v5, v7
	v_fma_f32 v10, v4, v6, -v10
	v_add_f32_e32 v10, v12, v10
	v_mul_f32_e32 v12, v5, v9
	v_mul_f32_e32 v11, v4, v7
	v_fma_f32 v12, v4, v8, -v12
	v_mul_f32_e32 v4, v4, v9
	v_fmac_f32_e32 v11, v5, v6
	v_fmac_f32_e32 v4, v5, v8
	v_add_f32_e32 v11, v13, v11
	v_add_f32_e32 v12, v3, v12
	;; [unrolled: 1-line block ×3, first 2 shown]
	v_mul_f32_e32 v2, v18, v7
	v_mul_f32_e32 v3, v17, v7
	v_fma_f32 v2, v17, v6, -v2
	v_fmac_f32_e32 v3, v18, v6
	v_add_f32_e32 v15, v19, v2
	v_add_f32_e32 v16, v20, v3
	v_mul_f32_e32 v2, v18, v9
	v_mul_f32_e32 v3, v17, v9
	v_fma_f32 v2, v17, v8, -v2
	v_fmac_f32_e32 v3, v18, v8
	v_add_f32_e32 v17, v21, v2
	v_add_f32_e32 v18, v30, v3
	ds_read_b128 v[2:5], v52 offset:80
	ds_read2_b64 v[6:9], v14 offset0:64 offset1:80
	s_waitcnt lgkmcnt(0)
	v_mul_f32_e32 v19, v3, v7
	v_mul_f32_e32 v20, v2, v7
	v_fma_f32 v19, v2, v6, -v19
	v_fmac_f32_e32 v20, v3, v6
	v_add_f32_e32 v19, v10, v19
	v_add_f32_e32 v20, v11, v20
	v_mul_f32_e32 v10, v3, v9
	v_mul_f32_e32 v11, v2, v9
	v_fma_f32 v10, v2, v8, -v10
	v_fmac_f32_e32 v11, v3, v8
	v_add_f32_e32 v2, v12, v10
	v_add_f32_e32 v3, v13, v11
	ds_read_b128 v[10:13], v52 offset:4176
	s_waitcnt lgkmcnt(0)
	v_mul_f32_e32 v21, v11, v7
	v_mul_f32_e32 v7, v10, v7
	v_fmac_f32_e32 v7, v11, v6
	v_fma_f32 v21, v10, v6, -v21
	v_add_f32_e32 v16, v16, v7
	v_mul_f32_e32 v6, v11, v9
	v_mul_f32_e32 v7, v10, v9
	v_fma_f32 v6, v10, v8, -v6
	v_fmac_f32_e32 v7, v11, v8
	v_add_f32_e32 v10, v17, v6
	v_add_f32_e32 v11, v18, v7
	ds_read2_b64 v[6:9], v14 offset0:96 offset1:112
	v_add_f32_e32 v15, v15, v21
	s_waitcnt lgkmcnt(0)
	v_mul_f32_e32 v17, v5, v7
	v_fma_f32 v17, v4, v6, -v17
	v_add_f32_e32 v17, v19, v17
	v_mul_f32_e32 v19, v5, v9
	v_mul_f32_e32 v18, v4, v7
	v_fma_f32 v19, v4, v8, -v19
	v_mul_f32_e32 v4, v4, v9
	v_fmac_f32_e32 v18, v5, v6
	v_fmac_f32_e32 v4, v5, v8
	v_add_f32_e32 v18, v20, v18
	v_add_f32_e32 v19, v2, v19
	;; [unrolled: 1-line block ×3, first 2 shown]
	v_mul_f32_e32 v2, v13, v7
	v_mul_f32_e32 v3, v12, v7
	v_fma_f32 v2, v12, v6, -v2
	v_fmac_f32_e32 v3, v13, v6
	v_add_f32_e32 v21, v15, v2
	v_add_f32_e32 v30, v16, v3
	v_mul_f32_e32 v2, v13, v9
	v_mul_f32_e32 v3, v12, v9
	v_fma_f32 v2, v12, v8, -v2
	v_fmac_f32_e32 v3, v13, v8
	v_add_f32_e32 v10, v10, v2
	v_add_f32_e32 v11, v11, v3
	ds_read_b128 v[2:5], v52 offset:96
	ds_read2_b64 v[6:9], v14 offset0:128 offset1:144
	s_waitcnt lgkmcnt(0)
	v_mul_f32_e32 v12, v3, v7
	v_mul_f32_e32 v13, v2, v7
	;; [unrolled: 1-line block ×3, first 2 shown]
	v_fma_f32 v12, v2, v6, -v12
	v_fmac_f32_e32 v13, v3, v6
	v_fma_f32 v15, v2, v8, -v15
	v_mul_f32_e32 v2, v2, v9
	v_add_f32_e32 v12, v17, v12
	v_add_f32_e32 v13, v18, v13
	v_fmac_f32_e32 v2, v3, v8
	v_add_f32_e32 v3, v19, v15
	ds_read_b128 v[15:18], v52 offset:4192
	v_add_f32_e32 v2, v20, v2
	s_waitcnt lgkmcnt(0)
	v_mul_f32_e32 v19, v16, v7
	v_mul_f32_e32 v7, v15, v7
	v_fmac_f32_e32 v7, v16, v6
	v_fma_f32 v19, v15, v6, -v19
	v_add_f32_e32 v20, v30, v7
	v_mul_f32_e32 v6, v16, v9
	v_mul_f32_e32 v7, v15, v9
	v_fma_f32 v6, v15, v8, -v6
	v_fmac_f32_e32 v7, v16, v8
	v_add_f32_e32 v19, v21, v19
	v_add_f32_e32 v21, v10, v6
	;; [unrolled: 1-line block ×3, first 2 shown]
	ds_read2_b64 v[6:9], v14 offset0:160 offset1:176
	s_waitcnt lgkmcnt(0)
	v_mul_f32_e32 v10, v5, v7
	v_fma_f32 v10, v4, v6, -v10
	v_add_f32_e32 v10, v12, v10
	v_mul_f32_e32 v12, v5, v9
	v_mul_f32_e32 v11, v4, v7
	v_fma_f32 v12, v4, v8, -v12
	v_mul_f32_e32 v4, v4, v9
	v_fmac_f32_e32 v11, v5, v6
	v_fmac_f32_e32 v4, v5, v8
	v_add_f32_e32 v11, v13, v11
	v_add_f32_e32 v12, v3, v12
	;; [unrolled: 1-line block ×3, first 2 shown]
	v_mul_f32_e32 v2, v18, v7
	v_mul_f32_e32 v3, v17, v7
	v_fma_f32 v2, v17, v6, -v2
	v_fmac_f32_e32 v3, v18, v6
	v_add_f32_e32 v15, v19, v2
	v_add_f32_e32 v16, v20, v3
	v_mul_f32_e32 v2, v18, v9
	v_mul_f32_e32 v3, v17, v9
	v_fma_f32 v2, v17, v8, -v2
	v_fmac_f32_e32 v3, v18, v8
	v_add_f32_e32 v17, v21, v2
	v_add_f32_e32 v18, v30, v3
	ds_read_b128 v[2:5], v52 offset:112
	ds_read2_b64 v[6:9], v14 offset0:192 offset1:208
	s_waitcnt lgkmcnt(0)
	v_mul_f32_e32 v19, v3, v7
	v_mul_f32_e32 v20, v2, v7
	v_fma_f32 v19, v2, v6, -v19
	v_fmac_f32_e32 v20, v3, v6
	v_add_f32_e32 v19, v10, v19
	v_add_f32_e32 v20, v11, v20
	v_mul_f32_e32 v10, v3, v9
	v_mul_f32_e32 v11, v2, v9
	v_fma_f32 v10, v2, v8, -v10
	v_fmac_f32_e32 v11, v3, v8
	v_add_f32_e32 v2, v12, v10
	v_add_f32_e32 v3, v13, v11
	ds_read_b128 v[10:13], v52 offset:4208
	s_waitcnt lgkmcnt(0)
	v_mul_f32_e32 v21, v11, v7
	v_mul_f32_e32 v7, v10, v7
	v_fmac_f32_e32 v7, v11, v6
	v_fma_f32 v21, v10, v6, -v21
	v_add_f32_e32 v16, v16, v7
	v_mul_f32_e32 v6, v11, v9
	v_mul_f32_e32 v7, v10, v9
	v_fma_f32 v6, v10, v8, -v6
	v_fmac_f32_e32 v7, v11, v8
	v_add_f32_e32 v10, v17, v6
	v_add_f32_e32 v11, v18, v7
	ds_read2_b64 v[6:9], v14 offset0:224 offset1:240
	v_add_f32_e32 v15, v15, v21
	s_waitcnt lgkmcnt(0)
	v_mul_f32_e32 v14, v5, v7
	v_fma_f32 v14, v4, v6, -v14
	v_add_f32_e32 v18, v19, v14
	v_mul_f32_e32 v14, v5, v9
	v_mul_f32_e32 v17, v4, v7
	v_fma_f32 v14, v4, v8, -v14
	v_mul_f32_e32 v4, v4, v9
	v_fmac_f32_e32 v17, v5, v6
	v_fmac_f32_e32 v4, v5, v8
	v_add_f32_e32 v17, v20, v17
	v_add_f32_e32 v19, v2, v14
	;; [unrolled: 1-line block ×3, first 2 shown]
	v_mul_f32_e32 v2, v13, v7
	v_mul_f32_e32 v3, v12, v7
	v_fma_f32 v2, v12, v6, -v2
	v_fmac_f32_e32 v3, v13, v6
	v_add_f32_e32 v21, v15, v2
	v_add_f32_e32 v30, v16, v3
	v_mul_f32_e32 v2, v13, v9
	v_mul_f32_e32 v3, v12, v9
	v_fma_f32 v2, v12, v8, -v2
	v_fmac_f32_e32 v3, v13, v8
	v_add_u32_e32 v14, 0x1000, v50
	v_add_f32_e32 v10, v10, v2
	v_add_f32_e32 v11, v11, v3
	ds_read_b128 v[2:5], v52 offset:128
	ds_read2_b64 v[6:9], v14 offset1:16
	s_waitcnt lgkmcnt(0)
	v_mul_f32_e32 v12, v3, v7
	v_mul_f32_e32 v13, v2, v7
	;; [unrolled: 1-line block ×3, first 2 shown]
	v_fma_f32 v12, v2, v6, -v12
	v_fmac_f32_e32 v13, v3, v6
	v_fma_f32 v15, v2, v8, -v15
	v_mul_f32_e32 v2, v2, v9
	v_add_f32_e32 v12, v18, v12
	v_add_f32_e32 v13, v17, v13
	v_fmac_f32_e32 v2, v3, v8
	v_add_f32_e32 v3, v19, v15
	ds_read_b128 v[15:18], v52 offset:4224
	v_add_f32_e32 v2, v20, v2
	s_waitcnt lgkmcnt(0)
	v_mul_f32_e32 v19, v16, v7
	v_mul_f32_e32 v7, v15, v7
	v_fmac_f32_e32 v7, v16, v6
	v_fma_f32 v19, v15, v6, -v19
	v_add_f32_e32 v20, v30, v7
	v_mul_f32_e32 v6, v16, v9
	v_mul_f32_e32 v7, v15, v9
	v_fma_f32 v6, v15, v8, -v6
	v_fmac_f32_e32 v7, v16, v8
	v_add_f32_e32 v19, v21, v19
	v_add_f32_e32 v21, v10, v6
	;; [unrolled: 1-line block ×3, first 2 shown]
	ds_read2_b64 v[6:9], v14 offset0:32 offset1:48
	s_waitcnt lgkmcnt(0)
	v_mul_f32_e32 v10, v5, v7
	v_fma_f32 v10, v4, v6, -v10
	v_add_f32_e32 v10, v12, v10
	v_mul_f32_e32 v12, v5, v9
	v_mul_f32_e32 v11, v4, v7
	v_fma_f32 v12, v4, v8, -v12
	v_mul_f32_e32 v4, v4, v9
	v_fmac_f32_e32 v11, v5, v6
	v_fmac_f32_e32 v4, v5, v8
	v_add_f32_e32 v11, v13, v11
	v_add_f32_e32 v12, v3, v12
	;; [unrolled: 1-line block ×3, first 2 shown]
	v_mul_f32_e32 v2, v18, v7
	v_mul_f32_e32 v3, v17, v7
	v_fma_f32 v2, v17, v6, -v2
	v_fmac_f32_e32 v3, v18, v6
	v_add_f32_e32 v15, v19, v2
	v_add_f32_e32 v16, v20, v3
	v_mul_f32_e32 v2, v18, v9
	v_mul_f32_e32 v3, v17, v9
	v_fma_f32 v2, v17, v8, -v2
	v_fmac_f32_e32 v3, v18, v8
	v_add_f32_e32 v17, v21, v2
	v_add_f32_e32 v18, v30, v3
	ds_read_b128 v[2:5], v52 offset:144
	ds_read2_b64 v[6:9], v14 offset0:64 offset1:80
	s_waitcnt lgkmcnt(0)
	v_mul_f32_e32 v19, v3, v7
	v_mul_f32_e32 v20, v2, v7
	v_fma_f32 v19, v2, v6, -v19
	v_fmac_f32_e32 v20, v3, v6
	v_add_f32_e32 v19, v10, v19
	v_add_f32_e32 v20, v11, v20
	v_mul_f32_e32 v10, v3, v9
	v_mul_f32_e32 v11, v2, v9
	v_fma_f32 v10, v2, v8, -v10
	v_fmac_f32_e32 v11, v3, v8
	v_add_f32_e32 v2, v12, v10
	v_add_f32_e32 v3, v13, v11
	ds_read_b128 v[10:13], v52 offset:4240
	s_waitcnt lgkmcnt(0)
	v_mul_f32_e32 v21, v11, v7
	v_mul_f32_e32 v7, v10, v7
	v_fmac_f32_e32 v7, v11, v6
	v_fma_f32 v21, v10, v6, -v21
	v_add_f32_e32 v16, v16, v7
	v_mul_f32_e32 v6, v11, v9
	v_mul_f32_e32 v7, v10, v9
	v_fma_f32 v6, v10, v8, -v6
	v_fmac_f32_e32 v7, v11, v8
	v_add_f32_e32 v10, v17, v6
	v_add_f32_e32 v11, v18, v7
	ds_read2_b64 v[6:9], v14 offset0:96 offset1:112
	v_add_f32_e32 v15, v15, v21
	s_waitcnt lgkmcnt(0)
	v_mul_f32_e32 v17, v5, v7
	v_fma_f32 v17, v4, v6, -v17
	v_add_f32_e32 v17, v19, v17
	v_mul_f32_e32 v19, v5, v9
	v_mul_f32_e32 v18, v4, v7
	v_fma_f32 v19, v4, v8, -v19
	v_mul_f32_e32 v4, v4, v9
	v_fmac_f32_e32 v18, v5, v6
	v_fmac_f32_e32 v4, v5, v8
	v_add_f32_e32 v18, v20, v18
	v_add_f32_e32 v19, v2, v19
	;; [unrolled: 1-line block ×3, first 2 shown]
	v_mul_f32_e32 v2, v13, v7
	v_mul_f32_e32 v3, v12, v7
	v_fma_f32 v2, v12, v6, -v2
	v_fmac_f32_e32 v3, v13, v6
	v_add_f32_e32 v21, v15, v2
	v_add_f32_e32 v30, v16, v3
	v_mul_f32_e32 v2, v13, v9
	v_mul_f32_e32 v3, v12, v9
	v_fma_f32 v2, v12, v8, -v2
	v_fmac_f32_e32 v3, v13, v8
	v_add_f32_e32 v10, v10, v2
	v_add_f32_e32 v11, v11, v3
	ds_read_b128 v[2:5], v52 offset:160
	ds_read2_b64 v[6:9], v14 offset0:128 offset1:144
	s_waitcnt lgkmcnt(0)
	v_mul_f32_e32 v12, v3, v7
	v_mul_f32_e32 v13, v2, v7
	;; [unrolled: 1-line block ×3, first 2 shown]
	v_fma_f32 v12, v2, v6, -v12
	v_fmac_f32_e32 v13, v3, v6
	v_fma_f32 v15, v2, v8, -v15
	v_mul_f32_e32 v2, v2, v9
	v_add_f32_e32 v12, v17, v12
	v_add_f32_e32 v13, v18, v13
	v_fmac_f32_e32 v2, v3, v8
	v_add_f32_e32 v3, v19, v15
	ds_read_b128 v[15:18], v52 offset:4256
	v_add_f32_e32 v2, v20, v2
	s_waitcnt lgkmcnt(0)
	v_mul_f32_e32 v19, v16, v7
	v_mul_f32_e32 v7, v15, v7
	v_fmac_f32_e32 v7, v16, v6
	v_fma_f32 v19, v15, v6, -v19
	v_add_f32_e32 v20, v30, v7
	v_mul_f32_e32 v6, v16, v9
	v_mul_f32_e32 v7, v15, v9
	v_fma_f32 v6, v15, v8, -v6
	v_fmac_f32_e32 v7, v16, v8
	v_add_f32_e32 v19, v21, v19
	v_add_f32_e32 v21, v10, v6
	;; [unrolled: 1-line block ×3, first 2 shown]
	ds_read2_b64 v[6:9], v14 offset0:160 offset1:176
	s_waitcnt lgkmcnt(0)
	v_mul_f32_e32 v10, v5, v7
	v_fma_f32 v10, v4, v6, -v10
	v_add_f32_e32 v10, v12, v10
	v_mul_f32_e32 v12, v5, v9
	v_mul_f32_e32 v11, v4, v7
	v_fma_f32 v12, v4, v8, -v12
	v_mul_f32_e32 v4, v4, v9
	v_fmac_f32_e32 v11, v5, v6
	v_fmac_f32_e32 v4, v5, v8
	v_add_f32_e32 v11, v13, v11
	v_add_f32_e32 v12, v3, v12
	;; [unrolled: 1-line block ×3, first 2 shown]
	v_mul_f32_e32 v2, v18, v7
	v_mul_f32_e32 v3, v17, v7
	v_fma_f32 v2, v17, v6, -v2
	v_fmac_f32_e32 v3, v18, v6
	v_add_f32_e32 v15, v19, v2
	v_add_f32_e32 v16, v20, v3
	v_mul_f32_e32 v2, v18, v9
	v_mul_f32_e32 v3, v17, v9
	v_fma_f32 v2, v17, v8, -v2
	v_fmac_f32_e32 v3, v18, v8
	v_add_f32_e32 v17, v21, v2
	v_add_f32_e32 v18, v30, v3
	ds_read_b128 v[2:5], v52 offset:176
	ds_read2_b64 v[6:9], v14 offset0:192 offset1:208
	s_waitcnt lgkmcnt(0)
	v_mul_f32_e32 v19, v3, v7
	v_mul_f32_e32 v20, v2, v7
	v_fma_f32 v19, v2, v6, -v19
	v_fmac_f32_e32 v20, v3, v6
	v_add_f32_e32 v19, v10, v19
	v_add_f32_e32 v20, v11, v20
	v_mul_f32_e32 v10, v3, v9
	v_mul_f32_e32 v11, v2, v9
	v_fma_f32 v10, v2, v8, -v10
	v_fmac_f32_e32 v11, v3, v8
	v_add_f32_e32 v2, v12, v10
	v_add_f32_e32 v3, v13, v11
	ds_read_b128 v[10:13], v52 offset:4272
	s_waitcnt lgkmcnt(0)
	v_mul_f32_e32 v21, v11, v7
	v_mul_f32_e32 v7, v10, v7
	v_fmac_f32_e32 v7, v11, v6
	v_fma_f32 v21, v10, v6, -v21
	v_add_f32_e32 v16, v16, v7
	v_mul_f32_e32 v6, v11, v9
	v_mul_f32_e32 v7, v10, v9
	v_fma_f32 v6, v10, v8, -v6
	v_fmac_f32_e32 v7, v11, v8
	v_add_f32_e32 v10, v17, v6
	v_add_f32_e32 v11, v18, v7
	ds_read2_b64 v[6:9], v14 offset0:224 offset1:240
	v_add_f32_e32 v15, v15, v21
	s_waitcnt lgkmcnt(0)
	v_mul_f32_e32 v14, v5, v7
	v_fma_f32 v14, v4, v6, -v14
	v_add_f32_e32 v18, v19, v14
	v_mul_f32_e32 v14, v5, v9
	v_mul_f32_e32 v17, v4, v7
	v_fma_f32 v14, v4, v8, -v14
	v_mul_f32_e32 v4, v4, v9
	v_fmac_f32_e32 v17, v5, v6
	v_fmac_f32_e32 v4, v5, v8
	v_add_f32_e32 v17, v20, v17
	v_add_f32_e32 v19, v2, v14
	;; [unrolled: 1-line block ×3, first 2 shown]
	v_mul_f32_e32 v2, v13, v7
	v_mul_f32_e32 v3, v12, v7
	v_fma_f32 v2, v12, v6, -v2
	v_fmac_f32_e32 v3, v13, v6
	v_add_f32_e32 v21, v15, v2
	v_add_f32_e32 v30, v16, v3
	v_mul_f32_e32 v2, v13, v9
	v_mul_f32_e32 v3, v12, v9
	v_fma_f32 v2, v12, v8, -v2
	v_fmac_f32_e32 v3, v13, v8
	v_add_u32_e32 v14, 0x1800, v50
	v_add_f32_e32 v10, v10, v2
	v_add_f32_e32 v11, v11, v3
	ds_read_b128 v[2:5], v52 offset:192
	ds_read2_b64 v[6:9], v14 offset1:16
	s_waitcnt lgkmcnt(0)
	v_mul_f32_e32 v12, v3, v7
	v_mul_f32_e32 v13, v2, v7
	;; [unrolled: 1-line block ×3, first 2 shown]
	v_fma_f32 v12, v2, v6, -v12
	v_fmac_f32_e32 v13, v3, v6
	v_fma_f32 v15, v2, v8, -v15
	v_mul_f32_e32 v2, v2, v9
	v_add_f32_e32 v12, v18, v12
	v_add_f32_e32 v13, v17, v13
	v_fmac_f32_e32 v2, v3, v8
	v_add_f32_e32 v3, v19, v15
	ds_read_b128 v[15:18], v52 offset:4288
	v_add_f32_e32 v2, v20, v2
	s_waitcnt lgkmcnt(0)
	v_mul_f32_e32 v19, v16, v7
	v_mul_f32_e32 v7, v15, v7
	v_fmac_f32_e32 v7, v16, v6
	v_fma_f32 v19, v15, v6, -v19
	v_add_f32_e32 v20, v30, v7
	v_mul_f32_e32 v6, v16, v9
	v_mul_f32_e32 v7, v15, v9
	v_fma_f32 v6, v15, v8, -v6
	v_fmac_f32_e32 v7, v16, v8
	v_add_f32_e32 v19, v21, v19
	v_add_f32_e32 v21, v10, v6
	v_add_f32_e32 v30, v11, v7
	ds_read2_b64 v[6:9], v14 offset0:32 offset1:48
	s_waitcnt lgkmcnt(0)
	v_mul_f32_e32 v10, v5, v7
	v_fma_f32 v10, v4, v6, -v10
	v_add_f32_e32 v10, v12, v10
	v_mul_f32_e32 v12, v5, v9
	v_mul_f32_e32 v11, v4, v7
	v_fma_f32 v12, v4, v8, -v12
	v_mul_f32_e32 v4, v4, v9
	v_fmac_f32_e32 v11, v5, v6
	v_fmac_f32_e32 v4, v5, v8
	v_add_f32_e32 v11, v13, v11
	v_add_f32_e32 v12, v3, v12
	;; [unrolled: 1-line block ×3, first 2 shown]
	v_mul_f32_e32 v2, v18, v7
	v_mul_f32_e32 v3, v17, v7
	v_fma_f32 v2, v17, v6, -v2
	v_fmac_f32_e32 v3, v18, v6
	v_add_f32_e32 v15, v19, v2
	v_add_f32_e32 v16, v20, v3
	v_mul_f32_e32 v2, v18, v9
	v_mul_f32_e32 v3, v17, v9
	v_fma_f32 v2, v17, v8, -v2
	v_fmac_f32_e32 v3, v18, v8
	v_add_f32_e32 v17, v21, v2
	v_add_f32_e32 v18, v30, v3
	ds_read_b128 v[2:5], v52 offset:208
	ds_read2_b64 v[6:9], v14 offset0:64 offset1:80
	s_waitcnt lgkmcnt(0)
	v_mul_f32_e32 v19, v3, v7
	v_mul_f32_e32 v20, v2, v7
	v_fma_f32 v19, v2, v6, -v19
	v_fmac_f32_e32 v20, v3, v6
	v_add_f32_e32 v19, v10, v19
	v_add_f32_e32 v20, v11, v20
	v_mul_f32_e32 v10, v3, v9
	v_mul_f32_e32 v11, v2, v9
	v_fma_f32 v10, v2, v8, -v10
	v_fmac_f32_e32 v11, v3, v8
	v_add_f32_e32 v2, v12, v10
	v_add_f32_e32 v3, v13, v11
	ds_read_b128 v[10:13], v52 offset:4304
	s_waitcnt lgkmcnt(0)
	v_mul_f32_e32 v21, v11, v7
	v_mul_f32_e32 v7, v10, v7
	v_fmac_f32_e32 v7, v11, v6
	v_fma_f32 v21, v10, v6, -v21
	v_add_f32_e32 v16, v16, v7
	v_mul_f32_e32 v6, v11, v9
	v_mul_f32_e32 v7, v10, v9
	v_fma_f32 v6, v10, v8, -v6
	v_fmac_f32_e32 v7, v11, v8
	v_add_f32_e32 v10, v17, v6
	v_add_f32_e32 v11, v18, v7
	ds_read2_b64 v[6:9], v14 offset0:96 offset1:112
	v_add_f32_e32 v15, v15, v21
	s_waitcnt lgkmcnt(0)
	v_mul_f32_e32 v17, v5, v7
	v_fma_f32 v17, v4, v6, -v17
	v_add_f32_e32 v17, v19, v17
	v_mul_f32_e32 v19, v5, v9
	v_mul_f32_e32 v18, v4, v7
	v_fma_f32 v19, v4, v8, -v19
	v_mul_f32_e32 v4, v4, v9
	v_fmac_f32_e32 v18, v5, v6
	v_fmac_f32_e32 v4, v5, v8
	v_add_f32_e32 v18, v20, v18
	v_add_f32_e32 v19, v2, v19
	;; [unrolled: 1-line block ×3, first 2 shown]
	v_mul_f32_e32 v2, v13, v7
	v_mul_f32_e32 v3, v12, v7
	v_fma_f32 v2, v12, v6, -v2
	v_fmac_f32_e32 v3, v13, v6
	v_add_f32_e32 v21, v15, v2
	v_add_f32_e32 v30, v16, v3
	v_mul_f32_e32 v2, v13, v9
	v_mul_f32_e32 v3, v12, v9
	v_fma_f32 v2, v12, v8, -v2
	v_fmac_f32_e32 v3, v13, v8
	v_add_f32_e32 v10, v10, v2
	v_add_f32_e32 v11, v11, v3
	ds_read_b128 v[2:5], v52 offset:224
	ds_read2_b64 v[6:9], v14 offset0:128 offset1:144
	s_waitcnt lgkmcnt(0)
	v_mul_f32_e32 v12, v3, v7
	v_mul_f32_e32 v13, v2, v7
	;; [unrolled: 1-line block ×3, first 2 shown]
	v_fma_f32 v12, v2, v6, -v12
	v_fmac_f32_e32 v13, v3, v6
	v_fma_f32 v15, v2, v8, -v15
	v_mul_f32_e32 v2, v2, v9
	v_add_f32_e32 v12, v17, v12
	v_add_f32_e32 v13, v18, v13
	v_fmac_f32_e32 v2, v3, v8
	v_add_f32_e32 v3, v19, v15
	ds_read_b128 v[15:18], v52 offset:4320
	v_add_f32_e32 v2, v20, v2
	s_waitcnt lgkmcnt(0)
	v_mul_f32_e32 v19, v16, v7
	v_mul_f32_e32 v7, v15, v7
	v_fmac_f32_e32 v7, v16, v6
	v_fma_f32 v19, v15, v6, -v19
	v_add_f32_e32 v20, v30, v7
	v_mul_f32_e32 v6, v16, v9
	v_mul_f32_e32 v7, v15, v9
	v_fma_f32 v6, v15, v8, -v6
	v_fmac_f32_e32 v7, v16, v8
	v_add_f32_e32 v19, v21, v19
	v_add_f32_e32 v21, v10, v6
	;; [unrolled: 1-line block ×3, first 2 shown]
	ds_read2_b64 v[6:9], v14 offset0:160 offset1:176
	s_waitcnt lgkmcnt(0)
	v_mul_f32_e32 v10, v5, v7
	v_fma_f32 v10, v4, v6, -v10
	v_add_f32_e32 v10, v12, v10
	v_mul_f32_e32 v12, v5, v9
	v_mul_f32_e32 v11, v4, v7
	v_fma_f32 v12, v4, v8, -v12
	v_mul_f32_e32 v4, v4, v9
	v_fmac_f32_e32 v11, v5, v6
	v_fmac_f32_e32 v4, v5, v8
	v_add_f32_e32 v11, v13, v11
	v_add_f32_e32 v12, v3, v12
	;; [unrolled: 1-line block ×3, first 2 shown]
	v_mul_f32_e32 v2, v18, v7
	v_mul_f32_e32 v3, v17, v7
	v_fma_f32 v2, v17, v6, -v2
	v_fmac_f32_e32 v3, v18, v6
	v_add_f32_e32 v15, v19, v2
	v_add_f32_e32 v16, v20, v3
	v_mul_f32_e32 v2, v18, v9
	v_mul_f32_e32 v3, v17, v9
	v_fma_f32 v2, v17, v8, -v2
	v_fmac_f32_e32 v3, v18, v8
	v_add_f32_e32 v17, v21, v2
	v_add_f32_e32 v18, v30, v3
	ds_read_b128 v[2:5], v52 offset:240
	ds_read2_b64 v[6:9], v14 offset0:192 offset1:208
	s_waitcnt lgkmcnt(0)
	v_mul_f32_e32 v19, v3, v7
	v_mul_f32_e32 v20, v2, v7
	v_fma_f32 v19, v2, v6, -v19
	v_fmac_f32_e32 v20, v3, v6
	v_add_f32_e32 v19, v10, v19
	v_add_f32_e32 v21, v11, v20
	v_mul_f32_e32 v10, v3, v9
	v_mul_f32_e32 v11, v2, v9
	v_fma_f32 v10, v2, v8, -v10
	v_fmac_f32_e32 v11, v3, v8
	v_add_f32_e32 v2, v12, v10
	v_add_f32_e32 v3, v13, v11
	ds_read_b128 v[10:13], v52 offset:4336
	s_waitcnt lgkmcnt(0)
	v_mul_f32_e32 v20, v11, v7
	v_mul_f32_e32 v7, v10, v7
	v_fmac_f32_e32 v7, v11, v6
	v_fma_f32 v20, v10, v6, -v20
	v_add_f32_e32 v30, v16, v7
	v_mul_f32_e32 v6, v11, v9
	v_mul_f32_e32 v7, v10, v9
	v_fma_f32 v6, v10, v8, -v6
	v_fmac_f32_e32 v7, v11, v8
	v_add_f32_e32 v10, v17, v6
	v_add_f32_e32 v11, v18, v7
	ds_read2_b64 v[6:9], v14 offset0:224 offset1:240
	v_add_f32_e32 v15, v15, v20
	s_waitcnt lgkmcnt(0)
	s_barrier
	v_mul_f32_e32 v14, v5, v7
	v_fma_f32 v14, v4, v6, -v14
	v_add_f32_e32 v20, v19, v14
	v_mul_f32_e32 v14, v5, v9
	v_mul_f32_e32 v16, v4, v7
	v_fma_f32 v14, v4, v8, -v14
	v_mul_f32_e32 v4, v4, v9
	v_fmac_f32_e32 v4, v5, v8
	v_add_f32_e32 v18, v2, v14
	v_add_f32_e32 v19, v3, v4
	v_mul_f32_e32 v2, v13, v7
	v_mul_f32_e32 v3, v12, v7
	v_fmac_f32_e32 v16, v5, v6
	v_fma_f32 v2, v12, v6, -v2
	v_fmac_f32_e32 v3, v13, v6
	v_add_f32_e32 v21, v21, v16
	v_add_f32_e32 v16, v15, v2
	;; [unrolled: 1-line block ×3, first 2 shown]
	v_mul_f32_e32 v2, v13, v9
	v_mul_f32_e32 v3, v12, v9
	v_fma_f32 v2, v12, v8, -v2
	v_fmac_f32_e32 v3, v13, v8
	v_add_f32_e32 v15, v10, v2
	v_add_f32_e32 v14, v11, v3
	s_cbranch_scc1 .LBB83_55
.LBB83_7:                               ;   Parent Loop BB83_4 Depth=1
                                        ; =>  This Inner Loop Header: Depth=2
	v_mov_b32_e32 v2, s27
	v_add_co_u32_e64 v4, s[10:11], s26, v1
	v_addc_co_u32_e64 v5, s[10:11], 0, v2, s[10:11]
	v_mov_b32_e32 v3, s23
	v_add_co_u32_e64 v2, s[10:11], s22, v48
	v_addc_co_u32_e64 v3, s[10:11], v49, v3, s[10:11]
	v_cmp_le_i64_e64 s[12:13], s[38:39], v[4:5]
	v_cmp_eq_u64_e64 s[16:17], s[26:27], v[26:27]
	v_cmp_gt_i64_e64 s[10:11], v[4:5], v[22:23]
	s_and_b64 s[44:45], s[36:37], s[16:17]
	s_or_b64 s[16:17], s[12:13], s[10:11]
	s_or_b64 s[16:17], s[16:17], s[44:45]
	s_nor_b64 s[16:17], s[0:1], s[16:17]
	s_and_saveexec_b64 s[18:19], s[16:17]
	s_xor_b64 s[16:17], exec, s[18:19]
	s_cbranch_execz .LBB83_9
; %bb.8:                                ;   in Loop: Header=BB83_7 Depth=2
	global_load_dwordx2 v[6:7], v[2:3], off
	s_waitcnt vmcnt(0)
	v_xor_b32_e32 v7, 0x80000000, v7
	ds_write_b64 v51, v[6:7]
.LBB83_9:                               ;   in Loop: Header=BB83_7 Depth=2
	s_or_saveexec_b64 s[16:17], s[16:17]
	s_xor_b64 s[28:29], s[44:45], -1
	s_xor_b64 exec, exec, s[16:17]
	s_cbranch_execz .LBB83_15
; %bb.10:                               ;   in Loop: Header=BB83_7 Depth=2
	s_and_saveexec_b64 s[18:19], s[28:29]
	s_xor_b64 s[18:19], exec, s[18:19]
; %bb.11:                               ;   in Loop: Header=BB83_7 Depth=2
	v_mov_b32_e32 v6, v39
	v_mov_b32_e32 v7, v39
	ds_write_b64 v51, v[6:7]
; %bb.12:                               ;   in Loop: Header=BB83_7 Depth=2
	s_andn2_saveexec_b64 s[18:19], s[18:19]
; %bb.13:                               ;   in Loop: Header=BB83_7 Depth=2
	ds_write_b64 v51, v[38:39]
; %bb.14:                               ;   in Loop: Header=BB83_7 Depth=2
	s_or_b64 exec, exec, s[18:19]
.LBB83_15:                              ;   in Loop: Header=BB83_7 Depth=2
	s_or_b64 exec, exec, s[16:17]
	v_cmp_eq_u64_e64 s[16:17], s[26:27], v[28:29]
	v_cmp_lt_i64_e64 s[18:19], v[24:25], v[4:5]
	s_and_b64 s[16:17], s[36:37], s[16:17]
	s_or_b64 s[12:13], s[12:13], s[18:19]
	s_or_b64 s[12:13], s[12:13], s[16:17]
	s_nor_b64 s[12:13], s[2:3], s[12:13]
	s_and_saveexec_b64 s[18:19], s[12:13]
	s_xor_b64 s[18:19], exec, s[18:19]
	s_cbranch_execz .LBB83_17
; %bb.16:                               ;   in Loop: Header=BB83_7 Depth=2
	v_mov_b32_e32 v7, s23
	v_add_co_u32_e64 v6, s[12:13], s22, v53
	v_addc_co_u32_e64 v7, s[12:13], v54, v7, s[12:13]
	global_load_dwordx2 v[6:7], v[6:7], off
	s_waitcnt vmcnt(0)
	v_xor_b32_e32 v7, 0x80000000, v7
	ds_write_b64 v51, v[6:7] offset:128
.LBB83_17:                              ;   in Loop: Header=BB83_7 Depth=2
	s_andn2_saveexec_b64 s[12:13], s[18:19]
	s_cbranch_execz .LBB83_23
; %bb.18:                               ;   in Loop: Header=BB83_7 Depth=2
	s_xor_b64 s[16:17], s[16:17], -1
	s_and_saveexec_b64 s[18:19], s[16:17]
	s_xor_b64 s[16:17], exec, s[18:19]
; %bb.19:                               ;   in Loop: Header=BB83_7 Depth=2
	v_mov_b32_e32 v6, v39
	v_mov_b32_e32 v7, v39
	ds_write_b64 v51, v[6:7] offset:128
; %bb.20:                               ;   in Loop: Header=BB83_7 Depth=2
	s_andn2_saveexec_b64 s[16:17], s[16:17]
; %bb.21:                               ;   in Loop: Header=BB83_7 Depth=2
	ds_write_b64 v51, v[38:39] offset:128
; %bb.22:                               ;   in Loop: Header=BB83_7 Depth=2
	s_or_b64 exec, exec, s[16:17]
.LBB83_23:                              ;   in Loop: Header=BB83_7 Depth=2
	s_or_b64 exec, exec, s[12:13]
	v_add_co_u32_e64 v4, s[12:13], 16, v4
	v_addc_co_u32_e64 v5, s[12:13], 0, v5, s[12:13]
	v_cmp_le_i64_e64 s[12:13], s[38:39], v[4:5]
	v_cmp_eq_u64_e64 s[16:17], s[26:27], v[32:33]
	v_cmp_gt_i64_e64 s[18:19], v[4:5], v[22:23]
	s_and_b64 s[46:47], s[36:37], s[16:17]
	s_or_b64 s[16:17], s[12:13], s[18:19]
	s_or_b64 s[16:17], s[16:17], s[46:47]
	s_nor_b64 s[16:17], s[0:1], s[16:17]
	s_and_saveexec_b64 s[18:19], s[16:17]
	s_xor_b64 s[16:17], exec, s[18:19]
	s_cbranch_execz .LBB83_25
; %bb.24:                               ;   in Loop: Header=BB83_7 Depth=2
	global_load_dwordx2 v[2:3], v[2:3], off offset:128
	s_waitcnt vmcnt(0)
	v_xor_b32_e32 v3, 0x80000000, v3
	ds_write_b64 v51, v[2:3] offset:4096
.LBB83_25:                              ;   in Loop: Header=BB83_7 Depth=2
	s_andn2_saveexec_b64 s[16:17], s[16:17]
	s_cbranch_execz .LBB83_31
; %bb.26:                               ;   in Loop: Header=BB83_7 Depth=2
	s_xor_b64 s[18:19], s[46:47], -1
	s_and_saveexec_b64 s[46:47], s[18:19]
	s_xor_b64 s[18:19], exec, s[46:47]
; %bb.27:                               ;   in Loop: Header=BB83_7 Depth=2
	v_mov_b32_e32 v2, v39
	v_mov_b32_e32 v3, v39
	ds_write_b64 v51, v[2:3] offset:4096
; %bb.28:                               ;   in Loop: Header=BB83_7 Depth=2
	s_andn2_saveexec_b64 s[18:19], s[18:19]
; %bb.29:                               ;   in Loop: Header=BB83_7 Depth=2
	ds_write_b64 v51, v[38:39] offset:4096
; %bb.30:                               ;   in Loop: Header=BB83_7 Depth=2
	s_or_b64 exec, exec, s[18:19]
.LBB83_31:                              ;   in Loop: Header=BB83_7 Depth=2
	s_or_b64 exec, exec, s[16:17]
	s_or_b64 s[10:11], s[12:13], s[10:11]
	s_or_b64 s[10:11], s[10:11], s[44:45]
	s_nor_b64 s[10:11], s[2:3], s[10:11]
	s_and_saveexec_b64 s[12:13], s[10:11]
	s_xor_b64 s[12:13], exec, s[12:13]
	s_cbranch_execz .LBB83_33
; %bb.32:                               ;   in Loop: Header=BB83_7 Depth=2
	v_mov_b32_e32 v3, s23
	v_add_co_u32_e64 v2, s[10:11], s22, v53
	v_addc_co_u32_e64 v3, s[10:11], v54, v3, s[10:11]
	global_load_dwordx2 v[2:3], v[2:3], off offset:128
	s_waitcnt vmcnt(0)
	v_xor_b32_e32 v3, 0x80000000, v3
	ds_write_b64 v51, v[2:3] offset:4224
.LBB83_33:                              ;   in Loop: Header=BB83_7 Depth=2
	s_andn2_saveexec_b64 s[10:11], s[12:13]
	s_cbranch_execz .LBB83_39
; %bb.34:                               ;   in Loop: Header=BB83_7 Depth=2
	s_and_saveexec_b64 s[12:13], s[28:29]
	s_xor_b64 s[12:13], exec, s[12:13]
; %bb.35:                               ;   in Loop: Header=BB83_7 Depth=2
	v_mov_b32_e32 v2, v39
	v_mov_b32_e32 v3, v39
	ds_write_b64 v51, v[2:3] offset:4224
; %bb.36:                               ;   in Loop: Header=BB83_7 Depth=2
	s_andn2_saveexec_b64 s[12:13], s[12:13]
; %bb.37:                               ;   in Loop: Header=BB83_7 Depth=2
	ds_write_b64 v51, v[38:39] offset:4224
; %bb.38:                               ;   in Loop: Header=BB83_7 Depth=2
	s_or_b64 exec, exec, s[12:13]
.LBB83_39:                              ;   in Loop: Header=BB83_7 Depth=2
	s_or_b64 exec, exec, s[10:11]
	v_mov_b32_e32 v3, s27
	v_add_co_u32_e64 v2, s[10:11], s26, v0
	v_addc_co_u32_e64 v3, s[10:11], 0, v3, s[10:11]
	v_cmp_gt_i64_e64 s[10:11], s[38:39], v[2:3]
	s_and_b64 s[12:13], vcc, s[10:11]
	s_xor_b64 s[12:13], s[12:13], -1
	s_and_saveexec_b64 s[16:17], s[12:13]
	s_xor_b64 s[12:13], exec, s[16:17]
; %bb.40:                               ;   in Loop: Header=BB83_7 Depth=2
	v_mov_b32_e32 v4, v39
	v_mov_b32_e32 v5, v39
	ds_write_b64 v55, v[4:5]
; %bb.41:                               ;   in Loop: Header=BB83_7 Depth=2
	s_or_saveexec_b64 s[16:17], s[12:13]
	v_mov_b32_e32 v5, s23
	v_add_co_u32_e64 v4, s[12:13], s22, v44
	v_addc_co_u32_e64 v5, s[12:13], v45, v5, s[12:13]
	s_xor_b64 exec, exec, s[16:17]
	s_cbranch_execz .LBB83_43
; %bb.42:                               ;   in Loop: Header=BB83_7 Depth=2
	global_load_dwordx2 v[6:7], v[4:5], off offset:-128
	s_waitcnt vmcnt(0)
	ds_write_b64 v55, v[6:7]
.LBB83_43:                              ;   in Loop: Header=BB83_7 Depth=2
	s_or_b64 exec, exec, s[16:17]
	v_cmp_gt_i64_e64 s[12:13], s[42:43], v[2:3]
	s_and_b64 s[16:17], vcc, s[12:13]
	s_xor_b64 s[16:17], s[16:17], -1
	s_and_saveexec_b64 s[18:19], s[16:17]
	s_xor_b64 s[16:17], exec, s[18:19]
; %bb.44:                               ;   in Loop: Header=BB83_7 Depth=2
	v_mov_b32_e32 v2, v39
	v_mov_b32_e32 v3, v39
	ds_write_b64 v55, v[2:3] offset:128
                                        ; implicit-def: $vgpr4_vgpr5
; %bb.45:                               ;   in Loop: Header=BB83_7 Depth=2
	s_andn2_saveexec_b64 s[16:17], s[16:17]
	s_cbranch_execz .LBB83_47
; %bb.46:                               ;   in Loop: Header=BB83_7 Depth=2
	global_load_dwordx2 v[2:3], v[4:5], off
	s_waitcnt vmcnt(0)
	ds_write_b64 v55, v[2:3] offset:128
.LBB83_47:                              ;   in Loop: Header=BB83_7 Depth=2
	s_or_b64 exec, exec, s[16:17]
	s_and_b64 s[10:11], s[8:9], s[10:11]
	s_xor_b64 s[10:11], s[10:11], -1
	s_and_saveexec_b64 s[16:17], s[10:11]
	s_xor_b64 s[10:11], exec, s[16:17]
; %bb.48:                               ;   in Loop: Header=BB83_7 Depth=2
	v_mov_b32_e32 v2, v39
	v_mov_b32_e32 v3, v39
	ds_write_b64 v55, v[2:3] offset:4096
; %bb.49:                               ;   in Loop: Header=BB83_7 Depth=2
	s_or_saveexec_b64 s[16:17], s[10:11]
	v_mov_b32_e32 v3, s23
	v_add_co_u32_e64 v2, s[10:11], s22, v46
	v_addc_co_u32_e64 v3, s[10:11], v47, v3, s[10:11]
	s_xor_b64 exec, exec, s[16:17]
	s_cbranch_execz .LBB83_51
; %bb.50:                               ;   in Loop: Header=BB83_7 Depth=2
	global_load_dwordx2 v[4:5], v[2:3], off
	s_waitcnt vmcnt(0)
	ds_write_b64 v55, v[4:5] offset:4096
.LBB83_51:                              ;   in Loop: Header=BB83_7 Depth=2
	s_or_b64 exec, exec, s[16:17]
	s_and_b64 s[10:11], s[8:9], s[12:13]
	s_xor_b64 s[10:11], s[10:11], -1
	s_and_saveexec_b64 s[12:13], s[10:11]
	s_xor_b64 s[10:11], exec, s[12:13]
; %bb.52:                               ;   in Loop: Header=BB83_7 Depth=2
	v_mov_b32_e32 v2, v39
	v_mov_b32_e32 v3, v39
	ds_write_b64 v55, v[2:3] offset:4224
                                        ; implicit-def: $vgpr2_vgpr3
; %bb.53:                               ;   in Loop: Header=BB83_7 Depth=2
	s_andn2_saveexec_b64 s[10:11], s[10:11]
	s_cbranch_execz .LBB83_6
; %bb.54:                               ;   in Loop: Header=BB83_7 Depth=2
	global_load_dwordx2 v[2:3], v[2:3], off offset:128
	s_waitcnt vmcnt(0)
	ds_write_b64 v55, v[2:3] offset:4224
	s_branch .LBB83_6
.LBB83_55:                              ;   in Loop: Header=BB83_4 Depth=1
	v_mul_lo_u32 v4, s41, v56
	v_mul_lo_u32 v5, s40, v57
	v_mad_u64_u32 v[2:3], s[8:9], s40, v56, 0
	v_cmp_gt_i32_e32 vcc, s30, v56
	v_add3_u32 v3, v3, v5, v4
	v_lshlrev_b64 v[2:3], 3, v[2:3]
	v_mov_b32_e32 v4, s50
	v_add_co_u32_e64 v2, s[8:9], s49, v2
	v_addc_co_u32_e64 v3, s[8:9], v4, v3, s[8:9]
	s_and_b64 s[8:9], s[4:5], vcc
	s_and_saveexec_b64 s[10:11], s[8:9]
	s_cbranch_execz .LBB83_57
; %bb.56:                               ;   in Loop: Header=BB83_4 Depth=1
	v_lshlrev_b64 v[4:5], 3, v[22:23]
	v_mul_f32_e32 v8, s33, v21
	v_add_co_u32_e64 v4, s[8:9], v2, v4
	v_addc_co_u32_e64 v5, s[8:9], v3, v5, s[8:9]
	global_load_dwordx2 v[6:7], v[4:5], off
	v_mul_f32_e32 v9, s31, v21
	v_fma_f32 v8, v20, s31, -v8
	v_fmac_f32_e32 v9, s33, v20
	s_waitcnt vmcnt(0)
	v_add_f32_e32 v6, v6, v8
	v_add_f32_e32 v7, v9, v7
	global_store_dwordx2 v[4:5], v[6:7], off
.LBB83_57:                              ;   in Loop: Header=BB83_4 Depth=1
	s_or_b64 exec, exec, s[10:11]
	s_and_b64 s[10:11], s[14:15], vcc
	s_and_saveexec_b64 s[8:9], s[10:11]
	s_cbranch_execz .LBB83_59
; %bb.58:                               ;   in Loop: Header=BB83_4 Depth=1
	v_add_co_u32_e32 v2, vcc, v2, v40
	v_addc_co_u32_e32 v3, vcc, v3, v41, vcc
	global_load_dwordx2 v[4:5], v[2:3], off
	v_mul_f32_e32 v6, s33, v19
	v_mul_f32_e32 v7, s31, v19
	v_fma_f32 v6, v18, s31, -v6
	v_fmac_f32_e32 v7, s33, v18
	s_waitcnt vmcnt(0)
	v_add_f32_e32 v4, v4, v6
	v_add_f32_e32 v5, v7, v5
	global_store_dwordx2 v[2:3], v[4:5], off
.LBB83_59:                              ;   in Loop: Header=BB83_4 Depth=1
	s_or_b64 exec, exec, s[8:9]
	v_add_u32_e32 v4, 16, v56
	v_ashrrev_i32_e32 v2, 31, v4
	v_mul_lo_u32 v5, s40, v2
	v_mul_lo_u32 v6, s41, v4
	v_mad_u64_u32 v[2:3], s[8:9], s40, v4, 0
	v_cmp_gt_i32_e32 vcc, s30, v4
	v_mov_b32_e32 v4, s50
	v_add3_u32 v3, v3, v5, v6
	v_lshlrev_b64 v[2:3], 3, v[2:3]
	v_add_co_u32_e64 v2, s[8:9], s49, v2
	v_addc_co_u32_e64 v3, s[8:9], v4, v3, s[8:9]
	s_and_b64 s[8:9], s[4:5], vcc
	s_and_saveexec_b64 s[10:11], s[8:9]
	s_cbranch_execz .LBB83_61
; %bb.60:                               ;   in Loop: Header=BB83_4 Depth=1
	v_lshlrev_b64 v[4:5], 3, v[22:23]
	v_mul_f32_e32 v8, s33, v17
	v_add_co_u32_e64 v4, s[8:9], v2, v4
	v_addc_co_u32_e64 v5, s[8:9], v3, v5, s[8:9]
	global_load_dwordx2 v[6:7], v[4:5], off
	v_mul_f32_e32 v9, s31, v17
	v_fma_f32 v8, v16, s31, -v8
	v_fmac_f32_e32 v9, s33, v16
	s_waitcnt vmcnt(0)
	v_add_f32_e32 v6, v6, v8
	v_add_f32_e32 v7, v9, v7
	global_store_dwordx2 v[4:5], v[6:7], off
.LBB83_61:                              ;   in Loop: Header=BB83_4 Depth=1
	s_or_b64 exec, exec, s[10:11]
	s_and_b64 s[10:11], s[14:15], vcc
	s_and_saveexec_b64 s[8:9], s[10:11]
	s_cbranch_execz .LBB83_3
; %bb.62:                               ;   in Loop: Header=BB83_4 Depth=1
	v_add_co_u32_e32 v2, vcc, v2, v40
	v_addc_co_u32_e32 v3, vcc, v3, v41, vcc
	global_load_dwordx2 v[4:5], v[2:3], off
	v_mul_f32_e32 v6, s33, v14
	v_mul_f32_e32 v7, s31, v14
	v_fma_f32 v6, v15, s31, -v6
	v_fmac_f32_e32 v7, s33, v15
	s_waitcnt vmcnt(0)
	v_add_f32_e32 v4, v4, v6
	v_add_f32_e32 v5, v7, v5
	global_store_dwordx2 v[2:3], v[4:5], off
	s_branch .LBB83_3
.LBB83_63:
	s_endpgm
	.section	.rodata,"a",@progbits
	.p2align	6, 0x0
	.amdhsa_kernel _ZL30rocblas_trmm_outofplace_kernelI19rocblas_complex_numIfELi32ELi2ELb1ELb1ELb1ELb1ES1_KS1_S1_Ev17rocblas_diagonal_iiT6_lPT7_lllS6_lllPT8_llli
		.amdhsa_group_segment_fixed_size 16384
		.amdhsa_private_segment_fixed_size 20
		.amdhsa_kernarg_size 392
		.amdhsa_user_sgpr_count 6
		.amdhsa_user_sgpr_private_segment_buffer 1
		.amdhsa_user_sgpr_dispatch_ptr 0
		.amdhsa_user_sgpr_queue_ptr 0
		.amdhsa_user_sgpr_kernarg_segment_ptr 1
		.amdhsa_user_sgpr_dispatch_id 0
		.amdhsa_user_sgpr_flat_scratch_init 0
		.amdhsa_user_sgpr_private_segment_size 0
		.amdhsa_uses_dynamic_stack 0
		.amdhsa_system_sgpr_private_segment_wavefront_offset 1
		.amdhsa_system_sgpr_workgroup_id_x 1
		.amdhsa_system_sgpr_workgroup_id_y 1
		.amdhsa_system_sgpr_workgroup_id_z 1
		.amdhsa_system_sgpr_workgroup_info 0
		.amdhsa_system_vgpr_workitem_id 1
		.amdhsa_next_free_vgpr 64
		.amdhsa_next_free_sgpr 61
		.amdhsa_reserve_vcc 1
		.amdhsa_reserve_flat_scratch 0
		.amdhsa_float_round_mode_32 0
		.amdhsa_float_round_mode_16_64 0
		.amdhsa_float_denorm_mode_32 3
		.amdhsa_float_denorm_mode_16_64 3
		.amdhsa_dx10_clamp 1
		.amdhsa_ieee_mode 1
		.amdhsa_fp16_overflow 0
		.amdhsa_exception_fp_ieee_invalid_op 0
		.amdhsa_exception_fp_denorm_src 0
		.amdhsa_exception_fp_ieee_div_zero 0
		.amdhsa_exception_fp_ieee_overflow 0
		.amdhsa_exception_fp_ieee_underflow 0
		.amdhsa_exception_fp_ieee_inexact 0
		.amdhsa_exception_int_div_zero 0
	.end_amdhsa_kernel
	.section	.text._ZL30rocblas_trmm_outofplace_kernelI19rocblas_complex_numIfELi32ELi2ELb1ELb1ELb1ELb1ES1_KS1_S1_Ev17rocblas_diagonal_iiT6_lPT7_lllS6_lllPT8_llli,"axG",@progbits,_ZL30rocblas_trmm_outofplace_kernelI19rocblas_complex_numIfELi32ELi2ELb1ELb1ELb1ELb1ES1_KS1_S1_Ev17rocblas_diagonal_iiT6_lPT7_lllS6_lllPT8_llli,comdat
.Lfunc_end83:
	.size	_ZL30rocblas_trmm_outofplace_kernelI19rocblas_complex_numIfELi32ELi2ELb1ELb1ELb1ELb1ES1_KS1_S1_Ev17rocblas_diagonal_iiT6_lPT7_lllS6_lllPT8_llli, .Lfunc_end83-_ZL30rocblas_trmm_outofplace_kernelI19rocblas_complex_numIfELi32ELi2ELb1ELb1ELb1ELb1ES1_KS1_S1_Ev17rocblas_diagonal_iiT6_lPT7_lllS6_lllPT8_llli
                                        ; -- End function
	.set _ZL30rocblas_trmm_outofplace_kernelI19rocblas_complex_numIfELi32ELi2ELb1ELb1ELb1ELb1ES1_KS1_S1_Ev17rocblas_diagonal_iiT6_lPT7_lllS6_lllPT8_llli.num_vgpr, 64
	.set _ZL30rocblas_trmm_outofplace_kernelI19rocblas_complex_numIfELi32ELi2ELb1ELb1ELb1ELb1ES1_KS1_S1_Ev17rocblas_diagonal_iiT6_lPT7_lllS6_lllPT8_llli.num_agpr, 0
	.set _ZL30rocblas_trmm_outofplace_kernelI19rocblas_complex_numIfELi32ELi2ELb1ELb1ELb1ELb1ES1_KS1_S1_Ev17rocblas_diagonal_iiT6_lPT7_lllS6_lllPT8_llli.numbered_sgpr, 60
	.set _ZL30rocblas_trmm_outofplace_kernelI19rocblas_complex_numIfELi32ELi2ELb1ELb1ELb1ELb1ES1_KS1_S1_Ev17rocblas_diagonal_iiT6_lPT7_lllS6_lllPT8_llli.num_named_barrier, 0
	.set _ZL30rocblas_trmm_outofplace_kernelI19rocblas_complex_numIfELi32ELi2ELb1ELb1ELb1ELb1ES1_KS1_S1_Ev17rocblas_diagonal_iiT6_lPT7_lllS6_lllPT8_llli.private_seg_size, 20
	.set _ZL30rocblas_trmm_outofplace_kernelI19rocblas_complex_numIfELi32ELi2ELb1ELb1ELb1ELb1ES1_KS1_S1_Ev17rocblas_diagonal_iiT6_lPT7_lllS6_lllPT8_llli.uses_vcc, 1
	.set _ZL30rocblas_trmm_outofplace_kernelI19rocblas_complex_numIfELi32ELi2ELb1ELb1ELb1ELb1ES1_KS1_S1_Ev17rocblas_diagonal_iiT6_lPT7_lllS6_lllPT8_llli.uses_flat_scratch, 0
	.set _ZL30rocblas_trmm_outofplace_kernelI19rocblas_complex_numIfELi32ELi2ELb1ELb1ELb1ELb1ES1_KS1_S1_Ev17rocblas_diagonal_iiT6_lPT7_lllS6_lllPT8_llli.has_dyn_sized_stack, 0
	.set _ZL30rocblas_trmm_outofplace_kernelI19rocblas_complex_numIfELi32ELi2ELb1ELb1ELb1ELb1ES1_KS1_S1_Ev17rocblas_diagonal_iiT6_lPT7_lllS6_lllPT8_llli.has_recursion, 0
	.set _ZL30rocblas_trmm_outofplace_kernelI19rocblas_complex_numIfELi32ELi2ELb1ELb1ELb1ELb1ES1_KS1_S1_Ev17rocblas_diagonal_iiT6_lPT7_lllS6_lllPT8_llli.has_indirect_call, 0
	.section	.AMDGPU.csdata,"",@progbits
; Kernel info:
; codeLenInByte = 6660
; TotalNumSgprs: 64
; NumVgprs: 64
; ScratchSize: 20
; MemoryBound: 0
; FloatMode: 240
; IeeeMode: 1
; LDSByteSize: 16384 bytes/workgroup (compile time only)
; SGPRBlocks: 8
; VGPRBlocks: 15
; NumSGPRsForWavesPerEU: 65
; NumVGPRsForWavesPerEU: 64
; Occupancy: 4
; WaveLimiterHint : 0
; COMPUTE_PGM_RSRC2:SCRATCH_EN: 1
; COMPUTE_PGM_RSRC2:USER_SGPR: 6
; COMPUTE_PGM_RSRC2:TRAP_HANDLER: 0
; COMPUTE_PGM_RSRC2:TGID_X_EN: 1
; COMPUTE_PGM_RSRC2:TGID_Y_EN: 1
; COMPUTE_PGM_RSRC2:TGID_Z_EN: 1
; COMPUTE_PGM_RSRC2:TIDIG_COMP_CNT: 1
	.section	.text._ZL30rocblas_trmm_outofplace_kernelI19rocblas_complex_numIfELi32ELi2ELb0ELb0ELb0ELb0EPKS1_S2_S1_Ev17rocblas_diagonal_iiT6_lPT7_lllS7_lllPT8_llli,"axG",@progbits,_ZL30rocblas_trmm_outofplace_kernelI19rocblas_complex_numIfELi32ELi2ELb0ELb0ELb0ELb0EPKS1_S2_S1_Ev17rocblas_diagonal_iiT6_lPT7_lllS7_lllPT8_llli,comdat
	.globl	_ZL30rocblas_trmm_outofplace_kernelI19rocblas_complex_numIfELi32ELi2ELb0ELb0ELb0ELb0EPKS1_S2_S1_Ev17rocblas_diagonal_iiT6_lPT7_lllS7_lllPT8_llli ; -- Begin function _ZL30rocblas_trmm_outofplace_kernelI19rocblas_complex_numIfELi32ELi2ELb0ELb0ELb0ELb0EPKS1_S2_S1_Ev17rocblas_diagonal_iiT6_lPT7_lllS7_lllPT8_llli
	.p2align	8
	.type	_ZL30rocblas_trmm_outofplace_kernelI19rocblas_complex_numIfELi32ELi2ELb0ELb0ELb0ELb0EPKS1_S2_S1_Ev17rocblas_diagonal_iiT6_lPT7_lllS7_lllPT8_llli,@function
_ZL30rocblas_trmm_outofplace_kernelI19rocblas_complex_numIfELi32ELi2ELb0ELb0ELb0ELb0EPKS1_S2_S1_Ev17rocblas_diagonal_iiT6_lPT7_lllS7_lllPT8_llli: ; @_ZL30rocblas_trmm_outofplace_kernelI19rocblas_complex_numIfELi32ELi2ELb0ELb0ELb0ELb0EPKS1_S2_S1_Ev17rocblas_diagonal_iiT6_lPT7_lllS7_lllPT8_llli
; %bb.0:
	s_load_dwordx16 s[16:31], s[4:5], 0x10
	s_mov_b64 s[66:67], s[2:3]
	s_mov_b64 s[64:65], s[0:1]
	s_add_u32 s64, s64, s9
	s_addc_u32 s65, s65, 0
	s_waitcnt lgkmcnt(0)
	s_mul_i32 s0, s19, s8
	s_mul_hi_u32 s1, s18, s8
	s_add_i32 s1, s1, s0
	s_mul_i32 s0, s18, s8
	s_lshl_b64 s[0:1], s[0:1], 3
	s_add_u32 s0, s16, s0
	s_addc_u32 s1, s17, s1
	s_load_dwordx2 s[34:35], s[0:1], 0x0
	s_waitcnt lgkmcnt(0)
	s_or_b32 s0, s34, s35
	s_bitset0_b32 s0, 31
	s_cmp_eq_u32 s0, 0
	s_cbranch_scc1 .LBB84_64
; %bb.1:
	s_load_dwordx4 s[44:47], s[4:5], 0x0
	s_waitcnt lgkmcnt(0)
	s_add_i32 s0, s46, -1
	s_ashr_i32 s1, s0, 31
	s_lshr_b32 s1, s1, 27
	s_add_i32 s0, s0, s1
	s_ashr_i32 s33, s0, 5
	s_cmp_gt_i32 s7, s33
	s_cbranch_scc1 .LBB84_64
; %bb.2:
	s_load_dwordx4 s[48:51], s[4:5], 0x70
	s_load_dwordx8 s[36:43], s[4:5], 0x50
	s_load_dword s56, s[4:5], 0x8c
	s_mul_hi_u32 s10, s26, s8
	v_lshl_add_u32 v2, s6, 5, v0
	s_waitcnt lgkmcnt(0)
	s_mul_i32 s1, s51, s8
	s_mul_hi_u32 s2, s50, s8
	s_mul_i32 s0, s50, s8
	s_add_i32 s1, s2, s1
	s_lshl_b64 s[0:1], s[0:1], 3
	s_add_u32 s2, s40, s0
	s_addc_u32 s3, s41, s1
	s_lshl_b64 s[0:1], s[42:43], 3
	s_add_u32 s57, s2, s0
	s_addc_u32 s58, s3, s1
	s_cmpk_eq_i32 s44, 0x84
	s_cselect_b64 s[40:41], -1, 0
	s_ashr_i32 s47, s46, 31
	s_ashr_i32 s0, s45, 31
	s_lshl_b64 s[42:43], s[36:37], 8
	s_add_u32 s50, s46, -16
	s_addc_u32 s51, s47, -1
	s_lshl_b32 s9, s7, 5
	v_add_u32_e32 v24, s9, v0
	v_add_u32_e32 v26, s9, v1
	s_mul_i32 s9, s27, s8
	s_add_i32 s11, s10, s9
	s_mul_i32 s10, s26, s8
	s_lshl_b32 s6, s56, 5
	s_lshl_b64 s[10:11], s[10:11], 3
	s_lshl_b64 s[12:13], s[22:23], 3
	s_add_u32 s9, s10, s12
	s_addc_u32 s10, s11, s13
	s_add_u32 s22, s20, s9
	v_ashrrev_i32_e32 v3, 31, v2
	v_mov_b32_e32 v5, s0
	v_sub_co_u32_e32 v4, vcc, s45, v2
	s_addc_u32 s23, s21, s10
	v_subb_co_u32_e32 v5, vcc, v5, v3, vcc
	s_add_u32 s26, s28, 0x80
	s_mul_i32 s9, s39, s8
	s_mul_hi_u32 s10, s38, s8
	v_cmp_gt_i64_e64 s[0:1], 1, v[4:5]
	v_cmp_gt_i64_e64 s[2:3], 17, v[4:5]
	v_add_u32_e32 v4, 16, v2
	s_addc_u32 s27, s29, 0
	s_add_i32 s9, s10, s9
	s_mul_i32 s8, s38, s8
	v_cmp_gt_i32_e64 s[4:5], s45, v2
	v_cmp_gt_i32_e64 s[16:17], s45, v4
	v_ashrrev_i32_e32 v5, 31, v4
	s_lshl_b64 s[44:45], s[36:37], 3
	s_lshl_b64 s[8:9], s[8:9], 3
	;; [unrolled: 1-line block ×3, first 2 shown]
	v_lshlrev_b64 v[2:3], 3, v[2:3]
	buffer_store_dword v4, off, s[64:67], 0 offset:8 ; 4-byte Folded Spill
	s_nop 0
	buffer_store_dword v5, off, s[64:67], 0 offset:12 ; 4-byte Folded Spill
	s_add_u32 s8, s8, s10
	v_add_co_u32_e32 v4, vcc, s8, v2
	buffer_store_dword v2, off, s[64:67], 0 offset:16 ; 4-byte Folded Spill
	s_nop 0
	buffer_store_dword v3, off, s[64:67], 0 offset:20 ; 4-byte Folded Spill
	v_lshlrev_b32_e32 v6, 3, v0
	s_addc_u32 s9, s9, s11
	v_lshlrev_b32_e32 v56, 8, v1
	v_or_b32_e32 v58, 0x2000, v6
	v_mov_b32_e32 v0, s9
	v_add_u32_e32 v57, v56, v6
	v_add_u32_e32 v59, v58, v56
	s_lshl_b64 s[30:31], s[24:25], 3
	v_mov_b32_e32 v33, 0
	v_mov_b32_e32 v32, 1.0
	s_movk_i32 s59, 0x100
	v_addc_co_u32_e32 v5, vcc, v0, v3, vcc
	buffer_store_dword v4, off, s[64:67], 0 offset:24 ; 4-byte Folded Spill
	s_nop 0
	buffer_store_dword v5, off, s[64:67], 0 offset:28 ; 4-byte Folded Spill
	s_branch .LBB84_4
.LBB84_3:                               ;   in Loop: Header=BB84_4 Depth=1
	s_or_b64 exec, exec, s[8:9]
	s_add_i32 s7, s56, s7
	v_add_u32_e32 v24, s6, v24
	s_cmp_le_i32 s7, s33
	v_add_u32_e32 v26, s6, v26
	s_cbranch_scc0 .LBB84_64
.LBB84_4:                               ; =>This Loop Header: Depth=1
                                        ;     Child Loop BB84_7 Depth 2
	s_lshl_b32 s8, s7, 5
	v_add_u32_e32 v34, s8, v1
	s_sub_i32 s60, s46, s8
	v_ashrrev_i32_e32 v25, 31, v24
	v_ashrrev_i32_e32 v27, 31, v26
	s_cmp_lt_i32 s60, 1
	v_ashrrev_i32_e32 v35, 31, v34
	s_cbranch_scc1 .LBB84_55
; %bb.5:                                ;   in Loop: Header=BB84_4 Depth=1
	v_sub_co_u32_e32 v36, vcc, v26, v24
	v_lshlrev_b64 v[2:3], 3, v[26:27]
	v_subb_co_u32_e32 v37, vcc, v27, v25, vcc
	v_add_co_u32_e32 v0, vcc, 0x80, v2
	v_addc_co_u32_e32 v6, vcc, 0, v3, vcc
	v_mov_b32_e32 v2, s22
	v_mov_b32_e32 v3, s23
	v_mad_u64_u32 v[38:39], s[8:9], s24, v0, v[2:3]
	v_mad_u64_u32 v[42:43], s[8:9], s30, v26, v[2:3]
	v_mov_b32_e32 v2, s28
	v_add_co_u32_e32 v46, vcc, 16, v34
	v_mov_b32_e32 v3, s29
	v_addc_co_u32_e32 v47, vcc, 0, v35, vcc
	v_mad_u64_u32 v[44:45], s[8:9], s36, v0, v[2:3]
	v_add_co_u32_e32 v2, vcc, 16, v36
	v_addc_co_u32_e32 v3, vcc, 0, v37, vcc
	buffer_store_dword v2, off, s[64:67], 0 ; 4-byte Folded Spill
	s_nop 0
	buffer_store_dword v3, off, s[64:67], 0 offset:4 ; 4-byte Folded Spill
	buffer_load_dword v54, off, s[64:67], 0 offset:24 ; 4-byte Folded Reload
	buffer_load_dword v55, off, s[64:67], 0 offset:28 ; 4-byte Folded Reload
	v_mov_b32_e32 v4, s26
	v_mov_b32_e32 v5, s27
	v_mul_lo_u32 v7, s24, v6
	v_mul_lo_u32 v8, s25, v0
	v_mad_u64_u32 v[40:41], s[8:9], s44, v26, v[4:5]
	v_mul_lo_u32 v4, s44, v27
	v_mul_lo_u32 v5, s45, v26
	;; [unrolled: 1-line block ×6, first 2 shown]
	v_cmp_le_i64_e64 s[10:11], s[46:47], v[46:47]
	v_add_co_u32_e32 v50, vcc, -16, v36
	v_lshlrev_b64 v[52:53], 3, v[24:25]
	v_add3_u32 v39, v8, v39, v7
	v_add3_u32 v41, v5, v41, v4
	;; [unrolled: 1-line block ×4, first 2 shown]
	v_cmp_le_i32_e64 s[8:9], s46, v34
	v_addc_co_u32_e32 v51, vcc, -1, v37, vcc
	v_mov_b32_e32 v0, 0
	s_mov_b64 s[38:39], 0
	v_mov_b32_e32 v14, 0
	v_mov_b32_e32 v16, 0
	;; [unrolled: 1-line block ×7, first 2 shown]
	s_branch .LBB84_7
.LBB84_6:                               ;   in Loop: Header=BB84_7 Depth=2
	s_or_b64 exec, exec, s[12:13]
	s_waitcnt lgkmcnt(0)
	s_barrier
	ds_read_b128 v[60:63], v56
	ds_read_b128 v[10:13], v56 offset:16
	ds_read_b128 v[6:9], v56 offset:32
	;; [unrolled: 1-line block ×3, first 2 shown]
	ds_read2_b64 v[28:31], v58 offset1:16
	v_add_co_u32_e32 v38, vcc, s59, v38
	v_addc_co_u32_e32 v39, vcc, 0, v39, vcc
	s_waitcnt lgkmcnt(0)
	v_mul_f32_e32 v21, v61, v29
	v_mul_f32_e32 v22, v60, v29
	v_fma_f32 v21, v60, v28, -v21
	v_fmac_f32_e32 v22, v61, v28
	v_add_f32_e32 v21, v19, v21
	v_add_f32_e32 v22, v20, v22
	v_mul_f32_e32 v19, v61, v31
	v_mul_f32_e32 v20, v60, v31
	v_fma_f32 v19, v60, v30, -v19
	v_fmac_f32_e32 v20, v61, v30
	v_add_f32_e32 v23, v17, v19
	v_add_f32_e32 v60, v18, v20
	ds_read_b128 v[17:20], v56 offset:4096
	v_add_co_u32_e32 v54, vcc, s42, v54
	s_add_u32 s38, s38, 32
	s_addc_u32 s39, s39, 0
	s_waitcnt lgkmcnt(0)
	v_mul_f32_e32 v61, v18, v29
	v_mul_f32_e32 v29, v17, v29
	v_fma_f32 v61, v17, v28, -v61
	v_fmac_f32_e32 v29, v18, v28
	v_add_f32_e32 v28, v15, v61
	v_add_f32_e32 v29, v16, v29
	v_mul_f32_e32 v15, v18, v31
	v_mul_f32_e32 v16, v17, v31
	v_fma_f32 v15, v17, v30, -v15
	v_fmac_f32_e32 v16, v18, v30
	v_add_f32_e32 v18, v14, v15
	v_add_f32_e32 v0, v0, v16
	ds_read2_b64 v[14:17], v58 offset0:32 offset1:48
	s_cmp_ge_i32 s38, s60
	s_waitcnt lgkmcnt(0)
	v_mul_f32_e32 v30, v63, v15
	v_fma_f32 v30, v62, v14, -v30
	v_add_f32_e32 v21, v21, v30
	v_mul_f32_e32 v30, v63, v17
	v_mul_f32_e32 v31, v62, v15
	v_fma_f32 v30, v62, v16, -v30
	v_fmac_f32_e32 v31, v63, v14
	v_add_f32_e32 v23, v23, v30
	v_mul_f32_e32 v30, v20, v15
	v_mul_f32_e32 v15, v19, v15
	v_add_f32_e32 v22, v22, v31
	v_mul_f32_e32 v31, v62, v17
	v_fmac_f32_e32 v15, v20, v14
	v_fmac_f32_e32 v31, v63, v16
	v_fma_f32 v30, v19, v14, -v30
	v_add_f32_e32 v63, v29, v15
	v_mul_f32_e32 v14, v20, v17
	v_mul_f32_e32 v15, v19, v17
	v_fma_f32 v14, v19, v16, -v14
	v_fmac_f32_e32 v15, v20, v16
	v_add_f32_e32 v48, v60, v31
	v_add_f32_e32 v62, v28, v30
	;; [unrolled: 1-line block ×4, first 2 shown]
	ds_read2_b64 v[14:17], v58 offset0:64 offset1:80
	s_waitcnt lgkmcnt(0)
	v_mul_f32_e32 v0, v11, v15
	v_mul_f32_e32 v18, v10, v15
	v_fma_f32 v0, v10, v14, -v0
	v_fmac_f32_e32 v18, v11, v14
	v_add_f32_e32 v60, v21, v0
	v_add_f32_e32 v61, v22, v18
	ds_read_b128 v[18:21], v56 offset:4112
	v_mul_f32_e32 v0, v11, v17
	v_fma_f32 v0, v10, v16, -v0
	v_mul_f32_e32 v10, v10, v17
	v_fmac_f32_e32 v10, v11, v16
	s_waitcnt lgkmcnt(0)
	v_mul_f32_e32 v11, v19, v15
	v_mul_f32_e32 v15, v18, v15
	v_fmac_f32_e32 v15, v19, v14
	v_fma_f32 v11, v18, v14, -v11
	v_add_f32_e32 v22, v63, v15
	v_mul_f32_e32 v14, v19, v17
	v_mul_f32_e32 v15, v18, v17
	v_fma_f32 v14, v18, v16, -v14
	v_fmac_f32_e32 v15, v19, v16
	v_add_f32_e32 v18, v30, v14
	v_add_f32_e32 v19, v31, v15
	ds_read2_b64 v[14:17], v58 offset0:96 offset1:112
	v_add_f32_e32 v0, v23, v0
	v_add_f32_e32 v10, v48, v10
	;; [unrolled: 1-line block ×3, first 2 shown]
	s_waitcnt lgkmcnt(0)
	v_mul_f32_e32 v23, v13, v15
	v_mul_f32_e32 v29, v13, v17
	v_fma_f32 v23, v12, v14, -v23
	v_mul_f32_e32 v28, v12, v15
	v_fma_f32 v29, v12, v16, -v29
	v_mul_f32_e32 v12, v12, v17
	v_fmac_f32_e32 v12, v13, v16
	v_add_f32_e32 v0, v0, v29
	v_add_f32_e32 v29, v10, v12
	v_mul_f32_e32 v10, v21, v15
	v_fma_f32 v10, v20, v14, -v10
	v_mul_f32_e32 v12, v20, v15
	v_fmac_f32_e32 v28, v13, v14
	v_fmac_f32_e32 v12, v21, v14
	v_add_f32_e32 v14, v11, v10
	v_mul_f32_e32 v10, v21, v17
	v_mul_f32_e32 v11, v20, v17
	v_fma_f32 v10, v20, v16, -v10
	v_fmac_f32_e32 v11, v21, v16
	v_add_f32_e32 v15, v22, v12
	v_add_f32_e32 v20, v18, v10
	;; [unrolled: 1-line block ×3, first 2 shown]
	ds_read2_b64 v[10:13], v58 offset0:128 offset1:144
	v_add_f32_e32 v23, v60, v23
	v_add_f32_e32 v28, v61, v28
	s_waitcnt lgkmcnt(0)
	v_mul_f32_e32 v16, v7, v11
	v_fma_f32 v16, v6, v10, -v16
	v_mul_f32_e32 v17, v6, v11
	v_add_f32_e32 v22, v23, v16
	v_mul_f32_e32 v16, v7, v13
	v_fmac_f32_e32 v17, v7, v10
	v_fma_f32 v16, v6, v12, -v16
	v_add_f32_e32 v23, v28, v17
	v_add_f32_e32 v0, v0, v16
	ds_read_b128 v[16:19], v56 offset:4128
	v_mul_f32_e32 v6, v6, v13
	v_fmac_f32_e32 v6, v7, v12
	v_add_f32_e32 v6, v29, v6
	s_waitcnt lgkmcnt(0)
	v_mul_f32_e32 v7, v17, v11
	v_mul_f32_e32 v11, v16, v11
	v_fma_f32 v7, v16, v10, -v7
	v_fmac_f32_e32 v11, v17, v10
	v_add_f32_e32 v7, v14, v7
	v_add_f32_e32 v14, v15, v11
	v_mul_f32_e32 v10, v17, v13
	v_mul_f32_e32 v11, v16, v13
	v_fma_f32 v10, v16, v12, -v10
	v_fmac_f32_e32 v11, v17, v12
	v_add_f32_e32 v15, v20, v10
	v_add_f32_e32 v20, v21, v11
	ds_read2_b64 v[10:13], v58 offset0:160 offset1:176
	s_waitcnt lgkmcnt(0)
	v_mul_f32_e32 v16, v9, v11
	v_fma_f32 v16, v8, v10, -v16
	v_add_f32_e32 v21, v22, v16
	v_mul_f32_e32 v16, v9, v13
	v_mul_f32_e32 v17, v8, v11
	v_fma_f32 v16, v8, v12, -v16
	v_mul_f32_e32 v8, v8, v13
	v_fmac_f32_e32 v17, v9, v10
	v_fmac_f32_e32 v8, v9, v12
	v_add_f32_e32 v22, v23, v17
	v_add_f32_e32 v23, v6, v8
	v_mul_f32_e32 v6, v19, v11
	v_fma_f32 v6, v18, v10, -v6
	v_add_f32_e32 v0, v0, v16
	v_mul_f32_e32 v8, v18, v11
	v_add_f32_e32 v16, v7, v6
	v_mul_f32_e32 v6, v19, v13
	v_mul_f32_e32 v7, v18, v13
	v_fmac_f32_e32 v8, v19, v10
	v_fma_f32 v6, v18, v12, -v6
	v_fmac_f32_e32 v7, v19, v12
	v_add_f32_e32 v17, v14, v8
	v_add_f32_e32 v18, v15, v6
	;; [unrolled: 1-line block ×3, first 2 shown]
	ds_read2_b64 v[6:9], v58 offset0:192 offset1:208
	s_waitcnt lgkmcnt(0)
	v_mul_f32_e32 v10, v3, v7
	v_fma_f32 v10, v2, v6, -v10
	v_mul_f32_e32 v11, v2, v7
	v_add_f32_e32 v14, v21, v10
	v_mul_f32_e32 v10, v3, v9
	v_fmac_f32_e32 v11, v3, v6
	v_fma_f32 v10, v2, v8, -v10
	v_add_f32_e32 v15, v22, v11
	v_add_f32_e32 v0, v0, v10
	ds_read_b128 v[10:13], v56 offset:4144
	v_mul_f32_e32 v2, v2, v9
	v_fmac_f32_e32 v2, v3, v8
	v_add_f32_e32 v2, v23, v2
	s_waitcnt lgkmcnt(0)
	v_mul_f32_e32 v3, v11, v7
	v_mul_f32_e32 v7, v10, v7
	v_fma_f32 v3, v10, v6, -v3
	v_fmac_f32_e32 v7, v11, v6
	v_add_f32_e32 v3, v16, v3
	v_add_f32_e32 v16, v17, v7
	v_mul_f32_e32 v6, v11, v9
	v_mul_f32_e32 v7, v10, v9
	v_fma_f32 v6, v10, v8, -v6
	v_fmac_f32_e32 v7, v11, v8
	v_add_f32_e32 v10, v18, v6
	v_add_f32_e32 v11, v19, v7
	ds_read2_b64 v[6:9], v58 offset0:224 offset1:240
	s_waitcnt lgkmcnt(0)
	v_mul_f32_e32 v17, v5, v7
	v_fma_f32 v17, v4, v6, -v17
	v_add_f32_e32 v14, v14, v17
	v_mul_f32_e32 v17, v5, v9
	v_mul_f32_e32 v18, v4, v7
	v_fma_f32 v17, v4, v8, -v17
	v_mul_f32_e32 v4, v4, v9
	v_fmac_f32_e32 v18, v5, v6
	v_fmac_f32_e32 v4, v5, v8
	v_add_f32_e32 v17, v0, v17
	v_mul_f32_e32 v0, v13, v7
	v_add_f32_e32 v15, v15, v18
	v_add_f32_e32 v18, v2, v4
	v_fma_f32 v0, v12, v6, -v0
	v_mul_f32_e32 v2, v12, v7
	v_fmac_f32_e32 v2, v13, v6
	v_add_f32_e32 v19, v3, v0
	v_mul_f32_e32 v0, v13, v9
	v_add_f32_e32 v20, v16, v2
	v_fma_f32 v0, v12, v8, -v0
	v_mul_f32_e32 v2, v12, v9
	v_fmac_f32_e32 v2, v13, v8
	v_add_f32_e32 v10, v10, v0
	v_add_u32_e32 v0, 0x800, v58
	v_add_f32_e32 v11, v11, v2
	ds_read_b128 v[2:5], v56 offset:64
	ds_read2_b64 v[6:9], v0 offset1:16
	s_waitcnt lgkmcnt(0)
	v_mul_f32_e32 v12, v3, v7
	v_fma_f32 v12, v2, v6, -v12
	v_mul_f32_e32 v13, v2, v7
	v_add_f32_e32 v12, v14, v12
	v_mul_f32_e32 v14, v3, v9
	v_fmac_f32_e32 v13, v3, v6
	v_fma_f32 v14, v2, v8, -v14
	v_mul_f32_e32 v2, v2, v9
	v_add_f32_e32 v13, v15, v13
	v_fmac_f32_e32 v2, v3, v8
	v_add_f32_e32 v3, v17, v14
	ds_read_b128 v[14:17], v56 offset:4160
	v_add_f32_e32 v2, v18, v2
	s_waitcnt lgkmcnt(0)
	v_mul_f32_e32 v18, v15, v7
	v_mul_f32_e32 v7, v14, v7
	v_fma_f32 v18, v14, v6, -v18
	v_fmac_f32_e32 v7, v15, v6
	v_add_f32_e32 v18, v19, v18
	v_add_f32_e32 v19, v20, v7
	v_mul_f32_e32 v6, v15, v9
	v_mul_f32_e32 v7, v14, v9
	v_fma_f32 v6, v14, v8, -v6
	v_fmac_f32_e32 v7, v15, v8
	v_add_f32_e32 v20, v10, v6
	v_add_f32_e32 v21, v11, v7
	ds_read2_b64 v[6:9], v0 offset0:32 offset1:48
	s_waitcnt lgkmcnt(0)
	v_mul_f32_e32 v10, v5, v7
	v_fma_f32 v10, v4, v6, -v10
	v_add_f32_e32 v10, v12, v10
	v_mul_f32_e32 v12, v5, v9
	v_mul_f32_e32 v11, v4, v7
	v_fma_f32 v12, v4, v8, -v12
	v_mul_f32_e32 v4, v4, v9
	v_fmac_f32_e32 v11, v5, v6
	v_fmac_f32_e32 v4, v5, v8
	v_add_f32_e32 v11, v13, v11
	v_add_f32_e32 v12, v3, v12
	;; [unrolled: 1-line block ×3, first 2 shown]
	v_mul_f32_e32 v2, v17, v7
	v_mul_f32_e32 v3, v16, v7
	v_fma_f32 v2, v16, v6, -v2
	v_fmac_f32_e32 v3, v17, v6
	v_add_f32_e32 v14, v18, v2
	v_add_f32_e32 v15, v19, v3
	v_mul_f32_e32 v2, v17, v9
	v_mul_f32_e32 v3, v16, v9
	v_fma_f32 v2, v16, v8, -v2
	v_fmac_f32_e32 v3, v17, v8
	v_add_f32_e32 v16, v20, v2
	v_add_f32_e32 v17, v21, v3
	ds_read_b128 v[2:5], v56 offset:80
	ds_read2_b64 v[6:9], v0 offset0:64 offset1:80
	s_waitcnt lgkmcnt(0)
	v_mul_f32_e32 v18, v3, v7
	v_mul_f32_e32 v19, v2, v7
	v_fma_f32 v18, v2, v6, -v18
	v_fmac_f32_e32 v19, v3, v6
	v_add_f32_e32 v18, v10, v18
	v_add_f32_e32 v19, v11, v19
	v_mul_f32_e32 v10, v3, v9
	v_mul_f32_e32 v11, v2, v9
	v_fma_f32 v10, v2, v8, -v10
	v_fmac_f32_e32 v11, v3, v8
	v_add_f32_e32 v2, v12, v10
	v_add_f32_e32 v3, v13, v11
	ds_read_b128 v[10:13], v56 offset:4176
	s_waitcnt lgkmcnt(0)
	v_mul_f32_e32 v20, v11, v7
	v_mul_f32_e32 v7, v10, v7
	v_fmac_f32_e32 v7, v11, v6
	v_fma_f32 v20, v10, v6, -v20
	v_add_f32_e32 v15, v15, v7
	v_mul_f32_e32 v6, v11, v9
	v_mul_f32_e32 v7, v10, v9
	v_fma_f32 v6, v10, v8, -v6
	v_fmac_f32_e32 v7, v11, v8
	v_add_f32_e32 v10, v16, v6
	v_add_f32_e32 v11, v17, v7
	ds_read2_b64 v[6:9], v0 offset0:96 offset1:112
	v_add_f32_e32 v14, v14, v20
	s_waitcnt lgkmcnt(0)
	v_mul_f32_e32 v16, v5, v7
	v_fma_f32 v16, v4, v6, -v16
	v_add_f32_e32 v16, v18, v16
	v_mul_f32_e32 v18, v5, v9
	v_mul_f32_e32 v17, v4, v7
	v_fma_f32 v18, v4, v8, -v18
	v_mul_f32_e32 v4, v4, v9
	v_fmac_f32_e32 v17, v5, v6
	v_fmac_f32_e32 v4, v5, v8
	v_add_f32_e32 v17, v19, v17
	v_add_f32_e32 v18, v2, v18
	;; [unrolled: 1-line block ×3, first 2 shown]
	v_mul_f32_e32 v2, v13, v7
	v_mul_f32_e32 v3, v12, v7
	v_fma_f32 v2, v12, v6, -v2
	v_fmac_f32_e32 v3, v13, v6
	v_add_f32_e32 v20, v14, v2
	v_add_f32_e32 v21, v15, v3
	v_mul_f32_e32 v2, v13, v9
	v_mul_f32_e32 v3, v12, v9
	v_fma_f32 v2, v12, v8, -v2
	v_fmac_f32_e32 v3, v13, v8
	v_add_f32_e32 v10, v10, v2
	v_add_f32_e32 v11, v11, v3
	ds_read_b128 v[2:5], v56 offset:96
	ds_read2_b64 v[6:9], v0 offset0:128 offset1:144
	s_waitcnt lgkmcnt(0)
	v_mul_f32_e32 v12, v3, v7
	v_mul_f32_e32 v13, v2, v7
	;; [unrolled: 1-line block ×3, first 2 shown]
	v_fma_f32 v12, v2, v6, -v12
	v_fmac_f32_e32 v13, v3, v6
	v_fma_f32 v14, v2, v8, -v14
	v_mul_f32_e32 v2, v2, v9
	v_add_f32_e32 v12, v16, v12
	v_add_f32_e32 v13, v17, v13
	v_fmac_f32_e32 v2, v3, v8
	v_add_f32_e32 v3, v18, v14
	ds_read_b128 v[14:17], v56 offset:4192
	v_add_f32_e32 v2, v19, v2
	s_waitcnt lgkmcnt(0)
	v_mul_f32_e32 v18, v15, v7
	v_mul_f32_e32 v7, v14, v7
	v_fmac_f32_e32 v7, v15, v6
	v_fma_f32 v18, v14, v6, -v18
	v_add_f32_e32 v19, v21, v7
	v_mul_f32_e32 v6, v15, v9
	v_mul_f32_e32 v7, v14, v9
	v_fma_f32 v6, v14, v8, -v6
	v_fmac_f32_e32 v7, v15, v8
	v_add_f32_e32 v18, v20, v18
	v_add_f32_e32 v20, v10, v6
	;; [unrolled: 1-line block ×3, first 2 shown]
	ds_read2_b64 v[6:9], v0 offset0:160 offset1:176
	s_waitcnt lgkmcnt(0)
	v_mul_f32_e32 v10, v5, v7
	v_fma_f32 v10, v4, v6, -v10
	v_add_f32_e32 v10, v12, v10
	v_mul_f32_e32 v12, v5, v9
	v_mul_f32_e32 v11, v4, v7
	v_fma_f32 v12, v4, v8, -v12
	v_mul_f32_e32 v4, v4, v9
	v_fmac_f32_e32 v11, v5, v6
	v_fmac_f32_e32 v4, v5, v8
	v_add_f32_e32 v11, v13, v11
	v_add_f32_e32 v12, v3, v12
	;; [unrolled: 1-line block ×3, first 2 shown]
	v_mul_f32_e32 v2, v17, v7
	v_mul_f32_e32 v3, v16, v7
	v_fma_f32 v2, v16, v6, -v2
	v_fmac_f32_e32 v3, v17, v6
	v_add_f32_e32 v14, v18, v2
	v_add_f32_e32 v15, v19, v3
	v_mul_f32_e32 v2, v17, v9
	v_mul_f32_e32 v3, v16, v9
	v_fma_f32 v2, v16, v8, -v2
	v_fmac_f32_e32 v3, v17, v8
	v_add_f32_e32 v16, v20, v2
	v_add_f32_e32 v17, v21, v3
	ds_read_b128 v[2:5], v56 offset:112
	ds_read2_b64 v[6:9], v0 offset0:192 offset1:208
	s_waitcnt lgkmcnt(0)
	v_mul_f32_e32 v18, v3, v7
	v_mul_f32_e32 v19, v2, v7
	v_fma_f32 v18, v2, v6, -v18
	v_fmac_f32_e32 v19, v3, v6
	v_add_f32_e32 v18, v10, v18
	v_add_f32_e32 v19, v11, v19
	v_mul_f32_e32 v10, v3, v9
	v_mul_f32_e32 v11, v2, v9
	v_fma_f32 v10, v2, v8, -v10
	v_fmac_f32_e32 v11, v3, v8
	v_add_f32_e32 v2, v12, v10
	v_add_f32_e32 v3, v13, v11
	ds_read_b128 v[10:13], v56 offset:4208
	s_waitcnt lgkmcnt(0)
	v_mul_f32_e32 v20, v11, v7
	v_mul_f32_e32 v7, v10, v7
	v_fmac_f32_e32 v7, v11, v6
	v_fma_f32 v20, v10, v6, -v20
	v_add_f32_e32 v15, v15, v7
	v_mul_f32_e32 v6, v11, v9
	v_mul_f32_e32 v7, v10, v9
	v_fma_f32 v6, v10, v8, -v6
	v_fmac_f32_e32 v7, v11, v8
	v_add_f32_e32 v10, v16, v6
	v_add_f32_e32 v11, v17, v7
	ds_read2_b64 v[6:9], v0 offset0:224 offset1:240
	v_add_f32_e32 v14, v14, v20
	s_waitcnt lgkmcnt(0)
	v_mul_f32_e32 v0, v5, v7
	v_fma_f32 v0, v4, v6, -v0
	v_add_f32_e32 v17, v18, v0
	v_mul_f32_e32 v0, v5, v9
	v_fma_f32 v0, v4, v8, -v0
	v_add_f32_e32 v18, v2, v0
	v_mul_f32_e32 v0, v13, v7
	v_fma_f32 v0, v12, v6, -v0
	v_mul_f32_e32 v2, v12, v7
	v_fmac_f32_e32 v2, v13, v6
	v_add_f32_e32 v20, v14, v0
	v_mul_f32_e32 v0, v13, v9
	v_mul_f32_e32 v16, v4, v7
	;; [unrolled: 1-line block ×3, first 2 shown]
	v_add_f32_e32 v21, v15, v2
	v_fma_f32 v0, v12, v8, -v0
	v_mul_f32_e32 v2, v12, v9
	v_fmac_f32_e32 v16, v5, v6
	v_fmac_f32_e32 v4, v5, v8
	;; [unrolled: 1-line block ×3, first 2 shown]
	v_add_f32_e32 v10, v10, v0
	v_add_u32_e32 v0, 0x1000, v58
	v_add_f32_e32 v16, v19, v16
	v_add_f32_e32 v19, v3, v4
	;; [unrolled: 1-line block ×3, first 2 shown]
	ds_read_b128 v[2:5], v56 offset:128
	ds_read2_b64 v[6:9], v0 offset1:16
	s_waitcnt lgkmcnt(0)
	v_mul_f32_e32 v12, v3, v7
	v_mul_f32_e32 v13, v2, v7
	;; [unrolled: 1-line block ×3, first 2 shown]
	v_fma_f32 v12, v2, v6, -v12
	v_fmac_f32_e32 v13, v3, v6
	v_fma_f32 v14, v2, v8, -v14
	v_mul_f32_e32 v2, v2, v9
	v_add_f32_e32 v12, v17, v12
	v_add_f32_e32 v13, v16, v13
	v_fmac_f32_e32 v2, v3, v8
	v_add_f32_e32 v3, v18, v14
	ds_read_b128 v[14:17], v56 offset:4224
	v_add_f32_e32 v2, v19, v2
	s_waitcnt lgkmcnt(0)
	v_mul_f32_e32 v18, v15, v7
	v_mul_f32_e32 v7, v14, v7
	v_fmac_f32_e32 v7, v15, v6
	v_fma_f32 v18, v14, v6, -v18
	v_add_f32_e32 v19, v21, v7
	v_mul_f32_e32 v6, v15, v9
	v_mul_f32_e32 v7, v14, v9
	v_fma_f32 v6, v14, v8, -v6
	v_fmac_f32_e32 v7, v15, v8
	v_add_f32_e32 v18, v20, v18
	v_add_f32_e32 v20, v10, v6
	;; [unrolled: 1-line block ×3, first 2 shown]
	ds_read2_b64 v[6:9], v0 offset0:32 offset1:48
	s_waitcnt lgkmcnt(0)
	v_mul_f32_e32 v10, v5, v7
	v_fma_f32 v10, v4, v6, -v10
	v_add_f32_e32 v10, v12, v10
	v_mul_f32_e32 v12, v5, v9
	v_mul_f32_e32 v11, v4, v7
	v_fma_f32 v12, v4, v8, -v12
	v_mul_f32_e32 v4, v4, v9
	v_fmac_f32_e32 v11, v5, v6
	v_fmac_f32_e32 v4, v5, v8
	v_add_f32_e32 v11, v13, v11
	v_add_f32_e32 v12, v3, v12
	;; [unrolled: 1-line block ×3, first 2 shown]
	v_mul_f32_e32 v2, v17, v7
	v_mul_f32_e32 v3, v16, v7
	v_fma_f32 v2, v16, v6, -v2
	v_fmac_f32_e32 v3, v17, v6
	v_add_f32_e32 v14, v18, v2
	v_add_f32_e32 v15, v19, v3
	v_mul_f32_e32 v2, v17, v9
	v_mul_f32_e32 v3, v16, v9
	v_fma_f32 v2, v16, v8, -v2
	v_fmac_f32_e32 v3, v17, v8
	v_add_f32_e32 v16, v20, v2
	v_add_f32_e32 v17, v21, v3
	ds_read_b128 v[2:5], v56 offset:144
	ds_read2_b64 v[6:9], v0 offset0:64 offset1:80
	s_waitcnt lgkmcnt(0)
	v_mul_f32_e32 v18, v3, v7
	v_mul_f32_e32 v19, v2, v7
	v_fma_f32 v18, v2, v6, -v18
	v_fmac_f32_e32 v19, v3, v6
	v_add_f32_e32 v18, v10, v18
	v_add_f32_e32 v19, v11, v19
	v_mul_f32_e32 v10, v3, v9
	v_mul_f32_e32 v11, v2, v9
	v_fma_f32 v10, v2, v8, -v10
	v_fmac_f32_e32 v11, v3, v8
	v_add_f32_e32 v2, v12, v10
	v_add_f32_e32 v3, v13, v11
	ds_read_b128 v[10:13], v56 offset:4240
	s_waitcnt lgkmcnt(0)
	v_mul_f32_e32 v20, v11, v7
	v_mul_f32_e32 v7, v10, v7
	v_fmac_f32_e32 v7, v11, v6
	v_fma_f32 v20, v10, v6, -v20
	v_add_f32_e32 v15, v15, v7
	v_mul_f32_e32 v6, v11, v9
	v_mul_f32_e32 v7, v10, v9
	v_fma_f32 v6, v10, v8, -v6
	v_fmac_f32_e32 v7, v11, v8
	v_add_f32_e32 v10, v16, v6
	v_add_f32_e32 v11, v17, v7
	ds_read2_b64 v[6:9], v0 offset0:96 offset1:112
	v_add_f32_e32 v14, v14, v20
	s_waitcnt lgkmcnt(0)
	v_mul_f32_e32 v16, v5, v7
	v_fma_f32 v16, v4, v6, -v16
	v_add_f32_e32 v16, v18, v16
	v_mul_f32_e32 v18, v5, v9
	v_mul_f32_e32 v17, v4, v7
	v_fma_f32 v18, v4, v8, -v18
	v_mul_f32_e32 v4, v4, v9
	v_fmac_f32_e32 v17, v5, v6
	v_fmac_f32_e32 v4, v5, v8
	v_add_f32_e32 v17, v19, v17
	v_add_f32_e32 v18, v2, v18
	;; [unrolled: 1-line block ×3, first 2 shown]
	v_mul_f32_e32 v2, v13, v7
	v_mul_f32_e32 v3, v12, v7
	v_fma_f32 v2, v12, v6, -v2
	v_fmac_f32_e32 v3, v13, v6
	v_add_f32_e32 v20, v14, v2
	v_add_f32_e32 v21, v15, v3
	v_mul_f32_e32 v2, v13, v9
	v_mul_f32_e32 v3, v12, v9
	v_fma_f32 v2, v12, v8, -v2
	v_fmac_f32_e32 v3, v13, v8
	v_add_f32_e32 v10, v10, v2
	v_add_f32_e32 v11, v11, v3
	ds_read_b128 v[2:5], v56 offset:160
	ds_read2_b64 v[6:9], v0 offset0:128 offset1:144
	s_waitcnt lgkmcnt(0)
	v_mul_f32_e32 v12, v3, v7
	v_mul_f32_e32 v13, v2, v7
	;; [unrolled: 1-line block ×3, first 2 shown]
	v_fma_f32 v12, v2, v6, -v12
	v_fmac_f32_e32 v13, v3, v6
	v_fma_f32 v14, v2, v8, -v14
	v_mul_f32_e32 v2, v2, v9
	v_add_f32_e32 v12, v16, v12
	v_add_f32_e32 v13, v17, v13
	v_fmac_f32_e32 v2, v3, v8
	v_add_f32_e32 v3, v18, v14
	ds_read_b128 v[14:17], v56 offset:4256
	v_add_f32_e32 v2, v19, v2
	s_waitcnt lgkmcnt(0)
	v_mul_f32_e32 v18, v15, v7
	v_mul_f32_e32 v7, v14, v7
	v_fmac_f32_e32 v7, v15, v6
	v_fma_f32 v18, v14, v6, -v18
	v_add_f32_e32 v19, v21, v7
	v_mul_f32_e32 v6, v15, v9
	v_mul_f32_e32 v7, v14, v9
	v_fma_f32 v6, v14, v8, -v6
	v_fmac_f32_e32 v7, v15, v8
	v_add_f32_e32 v18, v20, v18
	v_add_f32_e32 v20, v10, v6
	;; [unrolled: 1-line block ×3, first 2 shown]
	ds_read2_b64 v[6:9], v0 offset0:160 offset1:176
	s_waitcnt lgkmcnt(0)
	v_mul_f32_e32 v10, v5, v7
	v_fma_f32 v10, v4, v6, -v10
	v_add_f32_e32 v10, v12, v10
	v_mul_f32_e32 v12, v5, v9
	v_mul_f32_e32 v11, v4, v7
	v_fma_f32 v12, v4, v8, -v12
	v_mul_f32_e32 v4, v4, v9
	v_fmac_f32_e32 v11, v5, v6
	v_fmac_f32_e32 v4, v5, v8
	v_add_f32_e32 v11, v13, v11
	v_add_f32_e32 v12, v3, v12
	;; [unrolled: 1-line block ×3, first 2 shown]
	v_mul_f32_e32 v2, v17, v7
	v_mul_f32_e32 v3, v16, v7
	v_fma_f32 v2, v16, v6, -v2
	v_fmac_f32_e32 v3, v17, v6
	v_add_f32_e32 v14, v18, v2
	v_add_f32_e32 v15, v19, v3
	v_mul_f32_e32 v2, v17, v9
	v_mul_f32_e32 v3, v16, v9
	v_fma_f32 v2, v16, v8, -v2
	v_fmac_f32_e32 v3, v17, v8
	v_add_f32_e32 v16, v20, v2
	v_add_f32_e32 v17, v21, v3
	ds_read_b128 v[2:5], v56 offset:176
	ds_read2_b64 v[6:9], v0 offset0:192 offset1:208
	s_waitcnt lgkmcnt(0)
	v_mul_f32_e32 v18, v3, v7
	v_mul_f32_e32 v19, v2, v7
	v_fma_f32 v18, v2, v6, -v18
	v_fmac_f32_e32 v19, v3, v6
	v_add_f32_e32 v18, v10, v18
	v_add_f32_e32 v19, v11, v19
	v_mul_f32_e32 v10, v3, v9
	v_mul_f32_e32 v11, v2, v9
	v_fma_f32 v10, v2, v8, -v10
	v_fmac_f32_e32 v11, v3, v8
	v_add_f32_e32 v2, v12, v10
	v_add_f32_e32 v3, v13, v11
	ds_read_b128 v[10:13], v56 offset:4272
	s_waitcnt lgkmcnt(0)
	v_mul_f32_e32 v20, v11, v7
	v_mul_f32_e32 v7, v10, v7
	v_fmac_f32_e32 v7, v11, v6
	v_fma_f32 v20, v10, v6, -v20
	v_add_f32_e32 v15, v15, v7
	v_mul_f32_e32 v6, v11, v9
	v_mul_f32_e32 v7, v10, v9
	v_fma_f32 v6, v10, v8, -v6
	v_fmac_f32_e32 v7, v11, v8
	v_add_f32_e32 v10, v16, v6
	v_add_f32_e32 v11, v17, v7
	ds_read2_b64 v[6:9], v0 offset0:224 offset1:240
	v_add_f32_e32 v14, v14, v20
	s_waitcnt lgkmcnt(0)
	v_mul_f32_e32 v0, v5, v7
	v_fma_f32 v0, v4, v6, -v0
	v_add_f32_e32 v17, v18, v0
	v_mul_f32_e32 v0, v5, v9
	v_fma_f32 v0, v4, v8, -v0
	v_add_f32_e32 v18, v2, v0
	v_mul_f32_e32 v0, v13, v7
	v_fma_f32 v0, v12, v6, -v0
	v_mul_f32_e32 v2, v12, v7
	v_fmac_f32_e32 v2, v13, v6
	v_add_f32_e32 v20, v14, v0
	v_mul_f32_e32 v0, v13, v9
	v_mul_f32_e32 v16, v4, v7
	;; [unrolled: 1-line block ×3, first 2 shown]
	v_add_f32_e32 v21, v15, v2
	v_fma_f32 v0, v12, v8, -v0
	v_mul_f32_e32 v2, v12, v9
	v_fmac_f32_e32 v16, v5, v6
	v_fmac_f32_e32 v4, v5, v8
	;; [unrolled: 1-line block ×3, first 2 shown]
	v_add_f32_e32 v10, v10, v0
	v_add_u32_e32 v0, 0x1800, v58
	v_add_f32_e32 v16, v19, v16
	v_add_f32_e32 v19, v3, v4
	;; [unrolled: 1-line block ×3, first 2 shown]
	ds_read_b128 v[2:5], v56 offset:192
	ds_read2_b64 v[6:9], v0 offset1:16
	s_waitcnt lgkmcnt(0)
	v_mul_f32_e32 v12, v3, v7
	v_mul_f32_e32 v13, v2, v7
	;; [unrolled: 1-line block ×3, first 2 shown]
	v_fma_f32 v12, v2, v6, -v12
	v_fmac_f32_e32 v13, v3, v6
	v_fma_f32 v14, v2, v8, -v14
	v_mul_f32_e32 v2, v2, v9
	v_add_f32_e32 v12, v17, v12
	v_add_f32_e32 v13, v16, v13
	v_fmac_f32_e32 v2, v3, v8
	v_add_f32_e32 v3, v18, v14
	ds_read_b128 v[14:17], v56 offset:4288
	v_add_f32_e32 v2, v19, v2
	s_waitcnt lgkmcnt(0)
	v_mul_f32_e32 v18, v15, v7
	v_mul_f32_e32 v7, v14, v7
	v_fmac_f32_e32 v7, v15, v6
	v_fma_f32 v18, v14, v6, -v18
	v_add_f32_e32 v19, v21, v7
	v_mul_f32_e32 v6, v15, v9
	v_mul_f32_e32 v7, v14, v9
	v_fma_f32 v6, v14, v8, -v6
	v_fmac_f32_e32 v7, v15, v8
	v_add_f32_e32 v18, v20, v18
	v_add_f32_e32 v20, v10, v6
	;; [unrolled: 1-line block ×3, first 2 shown]
	ds_read2_b64 v[6:9], v0 offset0:32 offset1:48
	s_waitcnt lgkmcnt(0)
	v_mul_f32_e32 v10, v5, v7
	v_fma_f32 v10, v4, v6, -v10
	v_add_f32_e32 v10, v12, v10
	v_mul_f32_e32 v12, v5, v9
	v_mul_f32_e32 v11, v4, v7
	v_fma_f32 v12, v4, v8, -v12
	v_mul_f32_e32 v4, v4, v9
	v_fmac_f32_e32 v11, v5, v6
	v_fmac_f32_e32 v4, v5, v8
	v_add_f32_e32 v11, v13, v11
	v_add_f32_e32 v12, v3, v12
	;; [unrolled: 1-line block ×3, first 2 shown]
	v_mul_f32_e32 v2, v17, v7
	v_mul_f32_e32 v3, v16, v7
	v_fma_f32 v2, v16, v6, -v2
	v_fmac_f32_e32 v3, v17, v6
	v_add_f32_e32 v14, v18, v2
	v_add_f32_e32 v15, v19, v3
	v_mul_f32_e32 v2, v17, v9
	v_mul_f32_e32 v3, v16, v9
	v_fma_f32 v2, v16, v8, -v2
	v_fmac_f32_e32 v3, v17, v8
	v_add_f32_e32 v16, v20, v2
	v_add_f32_e32 v17, v21, v3
	ds_read_b128 v[2:5], v56 offset:208
	ds_read2_b64 v[6:9], v0 offset0:64 offset1:80
	s_waitcnt lgkmcnt(0)
	v_mul_f32_e32 v18, v3, v7
	v_mul_f32_e32 v19, v2, v7
	v_fma_f32 v18, v2, v6, -v18
	v_fmac_f32_e32 v19, v3, v6
	v_add_f32_e32 v18, v10, v18
	v_add_f32_e32 v19, v11, v19
	v_mul_f32_e32 v10, v3, v9
	v_mul_f32_e32 v11, v2, v9
	v_fma_f32 v10, v2, v8, -v10
	v_fmac_f32_e32 v11, v3, v8
	v_add_f32_e32 v2, v12, v10
	v_add_f32_e32 v3, v13, v11
	ds_read_b128 v[10:13], v56 offset:4304
	s_waitcnt lgkmcnt(0)
	v_mul_f32_e32 v20, v11, v7
	v_mul_f32_e32 v7, v10, v7
	v_fmac_f32_e32 v7, v11, v6
	v_fma_f32 v20, v10, v6, -v20
	v_add_f32_e32 v15, v15, v7
	v_mul_f32_e32 v6, v11, v9
	v_mul_f32_e32 v7, v10, v9
	v_fma_f32 v6, v10, v8, -v6
	v_fmac_f32_e32 v7, v11, v8
	v_add_f32_e32 v10, v16, v6
	v_add_f32_e32 v11, v17, v7
	ds_read2_b64 v[6:9], v0 offset0:96 offset1:112
	v_add_f32_e32 v14, v14, v20
	s_waitcnt lgkmcnt(0)
	v_mul_f32_e32 v16, v5, v7
	v_fma_f32 v16, v4, v6, -v16
	v_add_f32_e32 v16, v18, v16
	v_mul_f32_e32 v18, v5, v9
	v_mul_f32_e32 v17, v4, v7
	v_fma_f32 v18, v4, v8, -v18
	v_mul_f32_e32 v4, v4, v9
	v_fmac_f32_e32 v17, v5, v6
	v_fmac_f32_e32 v4, v5, v8
	v_add_f32_e32 v17, v19, v17
	v_add_f32_e32 v18, v2, v18
	;; [unrolled: 1-line block ×3, first 2 shown]
	v_mul_f32_e32 v2, v13, v7
	v_mul_f32_e32 v3, v12, v7
	v_fma_f32 v2, v12, v6, -v2
	v_fmac_f32_e32 v3, v13, v6
	v_add_f32_e32 v20, v14, v2
	v_add_f32_e32 v21, v15, v3
	v_mul_f32_e32 v2, v13, v9
	v_mul_f32_e32 v3, v12, v9
	v_fma_f32 v2, v12, v8, -v2
	v_fmac_f32_e32 v3, v13, v8
	v_add_f32_e32 v10, v10, v2
	v_add_f32_e32 v11, v11, v3
	ds_read_b128 v[2:5], v56 offset:224
	ds_read2_b64 v[6:9], v0 offset0:128 offset1:144
	s_waitcnt lgkmcnt(0)
	v_mul_f32_e32 v12, v3, v7
	v_mul_f32_e32 v13, v2, v7
	;; [unrolled: 1-line block ×3, first 2 shown]
	v_fma_f32 v12, v2, v6, -v12
	v_fmac_f32_e32 v13, v3, v6
	v_fma_f32 v14, v2, v8, -v14
	v_mul_f32_e32 v2, v2, v9
	v_add_f32_e32 v12, v16, v12
	v_add_f32_e32 v13, v17, v13
	v_fmac_f32_e32 v2, v3, v8
	v_add_f32_e32 v3, v18, v14
	ds_read_b128 v[14:17], v56 offset:4320
	v_add_f32_e32 v2, v19, v2
	s_waitcnt lgkmcnt(0)
	v_mul_f32_e32 v18, v15, v7
	v_mul_f32_e32 v7, v14, v7
	v_fmac_f32_e32 v7, v15, v6
	v_fma_f32 v18, v14, v6, -v18
	v_add_f32_e32 v19, v21, v7
	v_mul_f32_e32 v6, v15, v9
	v_mul_f32_e32 v7, v14, v9
	v_fma_f32 v6, v14, v8, -v6
	v_fmac_f32_e32 v7, v15, v8
	v_add_f32_e32 v18, v20, v18
	v_add_f32_e32 v20, v10, v6
	;; [unrolled: 1-line block ×3, first 2 shown]
	ds_read2_b64 v[6:9], v0 offset0:160 offset1:176
	s_waitcnt lgkmcnt(0)
	v_mul_f32_e32 v10, v5, v7
	v_fma_f32 v10, v4, v6, -v10
	v_add_f32_e32 v10, v12, v10
	v_mul_f32_e32 v12, v5, v9
	v_mul_f32_e32 v11, v4, v7
	v_fma_f32 v12, v4, v8, -v12
	v_mul_f32_e32 v4, v4, v9
	v_fmac_f32_e32 v11, v5, v6
	v_fmac_f32_e32 v4, v5, v8
	v_add_f32_e32 v11, v13, v11
	v_add_f32_e32 v12, v3, v12
	;; [unrolled: 1-line block ×3, first 2 shown]
	v_mul_f32_e32 v2, v17, v7
	v_mul_f32_e32 v3, v16, v7
	v_fma_f32 v2, v16, v6, -v2
	v_fmac_f32_e32 v3, v17, v6
	v_add_f32_e32 v14, v18, v2
	v_add_f32_e32 v15, v19, v3
	v_mul_f32_e32 v2, v17, v9
	v_mul_f32_e32 v3, v16, v9
	v_fma_f32 v2, v16, v8, -v2
	v_fmac_f32_e32 v3, v17, v8
	v_add_f32_e32 v16, v20, v2
	v_add_f32_e32 v17, v21, v3
	ds_read_b128 v[2:5], v56 offset:240
	ds_read2_b64 v[6:9], v0 offset0:192 offset1:208
	s_waitcnt lgkmcnt(0)
	v_mul_f32_e32 v18, v3, v7
	v_mul_f32_e32 v19, v2, v7
	v_fma_f32 v18, v2, v6, -v18
	v_fmac_f32_e32 v19, v3, v6
	v_add_f32_e32 v18, v10, v18
	v_add_f32_e32 v20, v11, v19
	v_mul_f32_e32 v10, v3, v9
	v_mul_f32_e32 v11, v2, v9
	v_fma_f32 v10, v2, v8, -v10
	v_fmac_f32_e32 v11, v3, v8
	v_add_f32_e32 v2, v12, v10
	v_add_f32_e32 v3, v13, v11
	ds_read_b128 v[10:13], v56 offset:4336
	s_waitcnt lgkmcnt(0)
	v_mul_f32_e32 v19, v11, v7
	v_mul_f32_e32 v7, v10, v7
	v_fmac_f32_e32 v7, v11, v6
	v_fma_f32 v19, v10, v6, -v19
	v_add_f32_e32 v21, v15, v7
	v_mul_f32_e32 v6, v11, v9
	v_mul_f32_e32 v7, v10, v9
	v_fma_f32 v6, v10, v8, -v6
	v_fmac_f32_e32 v7, v11, v8
	v_add_f32_e32 v10, v16, v6
	v_add_f32_e32 v11, v17, v7
	ds_read2_b64 v[6:9], v0 offset0:224 offset1:240
	v_add_f32_e32 v14, v14, v19
	s_waitcnt lgkmcnt(0)
	s_barrier
	v_mul_f32_e32 v0, v5, v7
	v_fma_f32 v0, v4, v6, -v0
	v_add_f32_e32 v19, v18, v0
	v_mul_f32_e32 v0, v5, v9
	v_fma_f32 v0, v4, v8, -v0
	v_mul_f32_e32 v15, v4, v7
	v_add_f32_e32 v17, v2, v0
	v_mul_f32_e32 v0, v13, v7
	v_mul_f32_e32 v2, v12, v7
	v_fmac_f32_e32 v15, v5, v6
	v_fma_f32 v0, v12, v6, -v0
	v_fmac_f32_e32 v2, v13, v6
	v_add_f32_e32 v20, v20, v15
	v_add_f32_e32 v15, v14, v0
	;; [unrolled: 1-line block ×3, first 2 shown]
	v_mul_f32_e32 v0, v13, v9
	v_mul_f32_e32 v2, v12, v9
	v_fma_f32 v0, v12, v8, -v0
	v_fmac_f32_e32 v2, v13, v8
	v_add_f32_e32 v14, v10, v0
	v_add_f32_e32 v0, v11, v2
	v_mov_b32_e32 v2, s43
	v_mul_f32_e32 v4, v4, v9
	v_addc_co_u32_e32 v55, vcc, v55, v2, vcc
	v_fmac_f32_e32 v4, v5, v8
	v_add_co_u32_e32 v42, vcc, 0x100, v42
	v_add_f32_e32 v18, v3, v4
	v_addc_co_u32_e32 v43, vcc, 0, v43, vcc
	s_cbranch_scc1 .LBB84_56
.LBB84_7:                               ;   Parent Loop BB84_4 Depth=1
                                        ; =>  This Inner Loop Header: Depth=2
	v_mov_b32_e32 v3, s39
	v_add_co_u32_e32 v2, vcc, s38, v24
	v_addc_co_u32_e32 v3, vcc, v25, v3, vcc
	v_cmp_eq_u64_e32 vcc, s[38:39], v[36:37]
	v_add_co_u32_e64 v4, s[12:13], v42, v52
	v_addc_co_u32_e64 v5, s[12:13], v43, v53, s[12:13]
	s_and_b64 s[52:53], s[40:41], vcc
	v_cmp_lt_i64_e32 vcc, v[2:3], v[34:35]
	v_cmp_le_i64_e64 s[12:13], s[46:47], v[2:3]
	s_or_b64 s[14:15], s[8:9], vcc
	s_or_b64 s[14:15], s[12:13], s[14:15]
	s_nor_b64 s[14:15], s[14:15], s[52:53]
	s_and_saveexec_b64 s[18:19], s[14:15]
	s_xor_b64 s[14:15], exec, s[18:19]
	s_cbranch_execz .LBB84_9
; %bb.8:                                ;   in Loop: Header=BB84_7 Depth=2
	global_load_dwordx2 v[6:7], v[4:5], off
	s_waitcnt vmcnt(0)
	ds_write_b64 v57, v[6:7]
.LBB84_9:                               ;   in Loop: Header=BB84_7 Depth=2
	s_or_saveexec_b64 s[14:15], s[14:15]
	s_xor_b64 s[54:55], s[52:53], -1
	s_xor_b64 exec, exec, s[14:15]
	s_cbranch_execz .LBB84_15
; %bb.10:                               ;   in Loop: Header=BB84_7 Depth=2
	s_and_saveexec_b64 s[18:19], s[54:55]
	s_xor_b64 s[18:19], exec, s[18:19]
; %bb.11:                               ;   in Loop: Header=BB84_7 Depth=2
	v_mov_b32_e32 v6, v33
	v_mov_b32_e32 v7, v33
	ds_write_b64 v57, v[6:7]
; %bb.12:                               ;   in Loop: Header=BB84_7 Depth=2
	s_andn2_saveexec_b64 s[18:19], s[18:19]
; %bb.13:                               ;   in Loop: Header=BB84_7 Depth=2
	ds_write_b64 v57, v[32:33]
; %bb.14:                               ;   in Loop: Header=BB84_7 Depth=2
	s_or_b64 exec, exec, s[18:19]
.LBB84_15:                              ;   in Loop: Header=BB84_7 Depth=2
	s_or_b64 exec, exec, s[14:15]
	v_add_co_u32_e64 v6, s[18:19], 16, v2
	v_cmp_eq_u64_e64 s[14:15], s[38:39], v[50:51]
	v_addc_co_u32_e64 v7, s[18:19], 0, v3, s[18:19]
	v_cmp_lt_i64_e64 s[18:19], v[6:7], v[34:35]
	s_and_b64 s[20:21], s[40:41], s[14:15]
	v_cmp_le_i64_e64 s[14:15], s[46:47], v[6:7]
	s_or_b64 s[18:19], s[8:9], s[18:19]
	s_or_b64 s[18:19], s[14:15], s[18:19]
	s_nor_b64 s[18:19], s[18:19], s[20:21]
	s_and_saveexec_b64 s[62:63], s[18:19]
	s_xor_b64 s[18:19], exec, s[62:63]
	s_cbranch_execz .LBB84_17
; %bb.16:                               ;   in Loop: Header=BB84_7 Depth=2
	global_load_dwordx2 v[4:5], v[4:5], off offset:128
	s_waitcnt vmcnt(0)
	ds_write_b64 v57, v[4:5] offset:128
.LBB84_17:                              ;   in Loop: Header=BB84_7 Depth=2
	s_andn2_saveexec_b64 s[18:19], s[18:19]
	s_cbranch_execz .LBB84_23
; %bb.18:                               ;   in Loop: Header=BB84_7 Depth=2
	s_xor_b64 s[20:21], s[20:21], -1
	s_and_saveexec_b64 s[62:63], s[20:21]
	s_xor_b64 s[20:21], exec, s[62:63]
; %bb.19:                               ;   in Loop: Header=BB84_7 Depth=2
	v_mov_b32_e32 v4, v33
	v_mov_b32_e32 v5, v33
	ds_write_b64 v57, v[4:5] offset:128
; %bb.20:                               ;   in Loop: Header=BB84_7 Depth=2
	s_andn2_saveexec_b64 s[20:21], s[20:21]
; %bb.21:                               ;   in Loop: Header=BB84_7 Depth=2
	ds_write_b64 v57, v[32:33] offset:128
; %bb.22:                               ;   in Loop: Header=BB84_7 Depth=2
	s_or_b64 exec, exec, s[20:21]
.LBB84_23:                              ;   in Loop: Header=BB84_7 Depth=2
	s_or_b64 exec, exec, s[18:19]
	buffer_load_dword v6, off, s[64:67], 0  ; 4-byte Folded Reload
	buffer_load_dword v7, off, s[64:67], 0 offset:4 ; 4-byte Folded Reload
	v_add_co_u32_e64 v4, s[18:19], v38, v52
	v_addc_co_u32_e64 v5, s[18:19], v39, v53, s[18:19]
	v_cmp_lt_i64_e64 s[20:21], v[2:3], v[46:47]
	s_or_b64 s[20:21], s[10:11], s[20:21]
	s_waitcnt vmcnt(0)
	v_cmp_eq_u64_e64 s[18:19], s[38:39], v[6:7]
	s_and_b64 s[18:19], s[40:41], s[18:19]
	s_or_b64 s[20:21], s[20:21], s[18:19]
	s_nor_b64 s[12:13], s[12:13], s[20:21]
	s_and_saveexec_b64 s[20:21], s[12:13]
	s_xor_b64 s[12:13], exec, s[20:21]
	s_cbranch_execz .LBB84_25
; %bb.24:                               ;   in Loop: Header=BB84_7 Depth=2
	global_load_dwordx2 v[2:3], v[4:5], off
	s_waitcnt vmcnt(0)
	ds_write_b64 v57, v[2:3] offset:4096
.LBB84_25:                              ;   in Loop: Header=BB84_7 Depth=2
	s_andn2_saveexec_b64 s[12:13], s[12:13]
	s_cbranch_execz .LBB84_31
; %bb.26:                               ;   in Loop: Header=BB84_7 Depth=2
	s_xor_b64 s[18:19], s[18:19], -1
	s_and_saveexec_b64 s[20:21], s[18:19]
	s_xor_b64 s[18:19], exec, s[20:21]
; %bb.27:                               ;   in Loop: Header=BB84_7 Depth=2
	v_mov_b32_e32 v2, v33
	v_mov_b32_e32 v3, v33
	ds_write_b64 v57, v[2:3] offset:4096
; %bb.28:                               ;   in Loop: Header=BB84_7 Depth=2
	s_andn2_saveexec_b64 s[18:19], s[18:19]
; %bb.29:                               ;   in Loop: Header=BB84_7 Depth=2
	ds_write_b64 v57, v[32:33] offset:4096
; %bb.30:                               ;   in Loop: Header=BB84_7 Depth=2
	s_or_b64 exec, exec, s[18:19]
.LBB84_31:                              ;   in Loop: Header=BB84_7 Depth=2
	s_or_b64 exec, exec, s[12:13]
	s_or_b64 s[12:13], s[10:11], vcc
	s_or_b64 s[12:13], s[14:15], s[12:13]
	s_nor_b64 s[12:13], s[12:13], s[52:53]
	s_and_saveexec_b64 s[14:15], s[12:13]
	s_xor_b64 s[12:13], exec, s[14:15]
	s_cbranch_execz .LBB84_33
; %bb.32:                               ;   in Loop: Header=BB84_7 Depth=2
	global_load_dwordx2 v[2:3], v[4:5], off offset:128
	s_waitcnt vmcnt(0)
	ds_write_b64 v57, v[2:3] offset:4224
.LBB84_33:                              ;   in Loop: Header=BB84_7 Depth=2
	s_andn2_saveexec_b64 s[12:13], s[12:13]
	s_cbranch_execz .LBB84_39
; %bb.34:                               ;   in Loop: Header=BB84_7 Depth=2
	s_and_saveexec_b64 s[14:15], s[54:55]
	s_xor_b64 s[14:15], exec, s[14:15]
; %bb.35:                               ;   in Loop: Header=BB84_7 Depth=2
	v_mov_b32_e32 v2, v33
	v_mov_b32_e32 v3, v33
	ds_write_b64 v57, v[2:3] offset:4224
; %bb.36:                               ;   in Loop: Header=BB84_7 Depth=2
	s_andn2_saveexec_b64 s[14:15], s[14:15]
; %bb.37:                               ;   in Loop: Header=BB84_7 Depth=2
	ds_write_b64 v57, v[32:33] offset:4224
; %bb.38:                               ;   in Loop: Header=BB84_7 Depth=2
	s_or_b64 exec, exec, s[14:15]
.LBB84_39:                              ;   in Loop: Header=BB84_7 Depth=2
	s_or_b64 exec, exec, s[12:13]
	v_mov_b32_e32 v3, s39
	v_add_co_u32_e32 v2, vcc, s38, v26
	v_addc_co_u32_e32 v3, vcc, v27, v3, vcc
	v_cmp_le_i64_e32 vcc, s[46:47], v[2:3]
	v_add_co_u32_e64 v4, s[12:13], v40, v54
	v_addc_co_u32_e64 v5, s[12:13], v41, v55, s[12:13]
	s_nor_b64 s[12:13], vcc, s[0:1]
	s_and_saveexec_b64 s[14:15], s[12:13]
	s_xor_b64 s[12:13], exec, s[14:15]
	s_cbranch_execz .LBB84_41
; %bb.40:                               ;   in Loop: Header=BB84_7 Depth=2
	global_load_dwordx2 v[6:7], v[4:5], off offset:-128
	s_waitcnt vmcnt(0)
	ds_write_b64 v59, v[6:7]
.LBB84_41:                              ;   in Loop: Header=BB84_7 Depth=2
	s_andn2_saveexec_b64 s[12:13], s[12:13]
; %bb.42:                               ;   in Loop: Header=BB84_7 Depth=2
	v_mov_b32_e32 v6, v33
	v_mov_b32_e32 v7, v33
	ds_write_b64 v59, v[6:7]
; %bb.43:                               ;   in Loop: Header=BB84_7 Depth=2
	s_or_b64 exec, exec, s[12:13]
	s_nor_b64 s[12:13], vcc, s[2:3]
	s_and_saveexec_b64 s[14:15], s[12:13]
	s_xor_b64 s[12:13], exec, s[14:15]
	s_cbranch_execz .LBB84_45
; %bb.44:                               ;   in Loop: Header=BB84_7 Depth=2
	global_load_dwordx2 v[4:5], v[4:5], off
	s_waitcnt vmcnt(0)
	ds_write_b64 v59, v[4:5] offset:128
.LBB84_45:                              ;   in Loop: Header=BB84_7 Depth=2
	s_andn2_saveexec_b64 s[12:13], s[12:13]
; %bb.46:                               ;   in Loop: Header=BB84_7 Depth=2
	v_mov_b32_e32 v4, v33
	v_mov_b32_e32 v5, v33
	ds_write_b64 v59, v[4:5] offset:128
; %bb.47:                               ;   in Loop: Header=BB84_7 Depth=2
	s_or_b64 exec, exec, s[12:13]
	v_cmp_le_i64_e32 vcc, s[50:51], v[2:3]
	v_add_co_u32_e64 v2, s[12:13], v44, v54
	v_addc_co_u32_e64 v3, s[12:13], v45, v55, s[12:13]
	s_nor_b64 s[12:13], vcc, s[0:1]
	s_and_saveexec_b64 s[14:15], s[12:13]
	s_xor_b64 s[12:13], exec, s[14:15]
	s_cbranch_execz .LBB84_49
; %bb.48:                               ;   in Loop: Header=BB84_7 Depth=2
	global_load_dwordx2 v[4:5], v[2:3], off
	s_waitcnt vmcnt(0)
	ds_write_b64 v59, v[4:5] offset:4096
.LBB84_49:                              ;   in Loop: Header=BB84_7 Depth=2
	s_andn2_saveexec_b64 s[12:13], s[12:13]
; %bb.50:                               ;   in Loop: Header=BB84_7 Depth=2
	v_mov_b32_e32 v4, v33
	v_mov_b32_e32 v5, v33
	ds_write_b64 v59, v[4:5] offset:4096
; %bb.51:                               ;   in Loop: Header=BB84_7 Depth=2
	s_or_b64 exec, exec, s[12:13]
	s_nor_b64 s[12:13], vcc, s[2:3]
	s_and_saveexec_b64 s[14:15], s[12:13]
	s_xor_b64 s[12:13], exec, s[14:15]
	s_cbranch_execz .LBB84_53
; %bb.52:                               ;   in Loop: Header=BB84_7 Depth=2
	global_load_dwordx2 v[2:3], v[2:3], off offset:128
	s_waitcnt vmcnt(0)
	ds_write_b64 v59, v[2:3] offset:4224
.LBB84_53:                              ;   in Loop: Header=BB84_7 Depth=2
	s_andn2_saveexec_b64 s[12:13], s[12:13]
	s_cbranch_execz .LBB84_6
; %bb.54:                               ;   in Loop: Header=BB84_7 Depth=2
	v_mov_b32_e32 v2, v33
	v_mov_b32_e32 v3, v33
	ds_write_b64 v59, v[2:3] offset:4224
	s_branch .LBB84_6
.LBB84_55:                              ;   in Loop: Header=BB84_4 Depth=1
	v_mov_b32_e32 v19, 0
	v_mov_b32_e32 v20, 0
	;; [unrolled: 1-line block ×8, first 2 shown]
.LBB84_56:                              ;   in Loop: Header=BB84_4 Depth=1
	v_mul_lo_u32 v4, s49, v34
	v_mul_lo_u32 v5, s48, v35
	v_mad_u64_u32 v[2:3], s[8:9], s48, v34, 0
	v_cmp_gt_i32_e32 vcc, s46, v34
	v_add3_u32 v3, v3, v5, v4
	v_lshlrev_b64 v[2:3], 3, v[2:3]
	v_mov_b32_e32 v4, s58
	v_add_co_u32_e64 v2, s[8:9], s57, v2
	v_addc_co_u32_e64 v3, s[8:9], v4, v3, s[8:9]
	s_and_b64 s[8:9], s[4:5], vcc
	s_and_saveexec_b64 s[10:11], s[8:9]
	s_cbranch_execz .LBB84_58
; %bb.57:                               ;   in Loop: Header=BB84_4 Depth=1
	buffer_load_dword v4, off, s[64:67], 0 offset:16 ; 4-byte Folded Reload
	buffer_load_dword v5, off, s[64:67], 0 offset:20 ; 4-byte Folded Reload
	v_mul_f32_e32 v8, s35, v20
	v_mul_f32_e32 v9, s34, v20
	v_fma_f32 v8, v19, s34, -v8
	v_fmac_f32_e32 v9, s35, v19
	s_waitcnt vmcnt(1)
	v_add_co_u32_e64 v4, s[8:9], v2, v4
	s_waitcnt vmcnt(0)
	v_addc_co_u32_e64 v5, s[8:9], v3, v5, s[8:9]
	global_load_dwordx2 v[6:7], v[4:5], off
	s_waitcnt vmcnt(0)
	v_add_f32_e32 v6, v6, v8
	v_add_f32_e32 v7, v9, v7
	global_store_dwordx2 v[4:5], v[6:7], off
.LBB84_58:                              ;   in Loop: Header=BB84_4 Depth=1
	s_or_b64 exec, exec, s[10:11]
	s_and_b64 s[10:11], s[16:17], vcc
	s_and_saveexec_b64 s[8:9], s[10:11]
	s_cbranch_execz .LBB84_60
; %bb.59:                               ;   in Loop: Header=BB84_4 Depth=1
	buffer_load_dword v4, off, s[64:67], 0 offset:8 ; 4-byte Folded Reload
	buffer_load_dword v5, off, s[64:67], 0 offset:12 ; 4-byte Folded Reload
	v_mul_f32_e32 v6, s35, v18
	v_mul_f32_e32 v7, s34, v18
	v_fma_f32 v6, v17, s34, -v6
	v_fmac_f32_e32 v7, s35, v17
	s_waitcnt vmcnt(0)
	v_lshlrev_b64 v[4:5], 3, v[4:5]
	v_add_co_u32_e32 v2, vcc, v2, v4
	v_addc_co_u32_e32 v3, vcc, v3, v5, vcc
	global_load_dwordx2 v[4:5], v[2:3], off
	s_waitcnt vmcnt(0)
	v_add_f32_e32 v4, v4, v6
	v_add_f32_e32 v5, v7, v5
	global_store_dwordx2 v[2:3], v[4:5], off
.LBB84_60:                              ;   in Loop: Header=BB84_4 Depth=1
	s_or_b64 exec, exec, s[8:9]
	v_add_u32_e32 v4, 16, v34
	v_ashrrev_i32_e32 v2, 31, v4
	v_mul_lo_u32 v5, s48, v2
	v_mul_lo_u32 v6, s49, v4
	v_mad_u64_u32 v[2:3], s[8:9], s48, v4, 0
	v_cmp_gt_i32_e32 vcc, s46, v4
	v_mov_b32_e32 v4, s58
	v_add3_u32 v3, v3, v5, v6
	v_lshlrev_b64 v[2:3], 3, v[2:3]
	v_add_co_u32_e64 v2, s[8:9], s57, v2
	v_addc_co_u32_e64 v3, s[8:9], v4, v3, s[8:9]
	s_and_b64 s[8:9], s[4:5], vcc
	s_and_saveexec_b64 s[10:11], s[8:9]
	s_cbranch_execz .LBB84_62
; %bb.61:                               ;   in Loop: Header=BB84_4 Depth=1
	buffer_load_dword v4, off, s[64:67], 0 offset:16 ; 4-byte Folded Reload
	buffer_load_dword v5, off, s[64:67], 0 offset:20 ; 4-byte Folded Reload
	v_mul_f32_e32 v8, s35, v16
	v_mul_f32_e32 v9, s34, v16
	v_fma_f32 v8, v15, s34, -v8
	v_fmac_f32_e32 v9, s35, v15
	s_waitcnt vmcnt(1)
	v_add_co_u32_e64 v4, s[8:9], v2, v4
	s_waitcnt vmcnt(0)
	v_addc_co_u32_e64 v5, s[8:9], v3, v5, s[8:9]
	global_load_dwordx2 v[6:7], v[4:5], off
	s_waitcnt vmcnt(0)
	v_add_f32_e32 v6, v6, v8
	v_add_f32_e32 v7, v9, v7
	global_store_dwordx2 v[4:5], v[6:7], off
.LBB84_62:                              ;   in Loop: Header=BB84_4 Depth=1
	s_or_b64 exec, exec, s[10:11]
	s_and_b64 s[10:11], s[16:17], vcc
	s_and_saveexec_b64 s[8:9], s[10:11]
	s_cbranch_execz .LBB84_3
; %bb.63:                               ;   in Loop: Header=BB84_4 Depth=1
	buffer_load_dword v4, off, s[64:67], 0 offset:8 ; 4-byte Folded Reload
	buffer_load_dword v5, off, s[64:67], 0 offset:12 ; 4-byte Folded Reload
	v_mul_f32_e32 v6, s35, v0
	v_mul_f32_e32 v0, s34, v0
	v_fma_f32 v6, v14, s34, -v6
	v_fmac_f32_e32 v0, s35, v14
	s_waitcnt vmcnt(0)
	v_lshlrev_b64 v[4:5], 3, v[4:5]
	v_add_co_u32_e32 v2, vcc, v2, v4
	v_addc_co_u32_e32 v3, vcc, v3, v5, vcc
	global_load_dwordx2 v[4:5], v[2:3], off
	s_waitcnt vmcnt(0)
	v_add_f32_e32 v4, v4, v6
	v_add_f32_e32 v5, v0, v5
	global_store_dwordx2 v[2:3], v[4:5], off
	s_branch .LBB84_3
.LBB84_64:
	s_endpgm
	.section	.rodata,"a",@progbits
	.p2align	6, 0x0
	.amdhsa_kernel _ZL30rocblas_trmm_outofplace_kernelI19rocblas_complex_numIfELi32ELi2ELb0ELb0ELb0ELb0EPKS1_S2_S1_Ev17rocblas_diagonal_iiT6_lPT7_lllS7_lllPT8_llli
		.amdhsa_group_segment_fixed_size 16384
		.amdhsa_private_segment_fixed_size 36
		.amdhsa_kernarg_size 392
		.amdhsa_user_sgpr_count 6
		.amdhsa_user_sgpr_private_segment_buffer 1
		.amdhsa_user_sgpr_dispatch_ptr 0
		.amdhsa_user_sgpr_queue_ptr 0
		.amdhsa_user_sgpr_kernarg_segment_ptr 1
		.amdhsa_user_sgpr_dispatch_id 0
		.amdhsa_user_sgpr_flat_scratch_init 0
		.amdhsa_user_sgpr_private_segment_size 0
		.amdhsa_uses_dynamic_stack 0
		.amdhsa_system_sgpr_private_segment_wavefront_offset 1
		.amdhsa_system_sgpr_workgroup_id_x 1
		.amdhsa_system_sgpr_workgroup_id_y 1
		.amdhsa_system_sgpr_workgroup_id_z 1
		.amdhsa_system_sgpr_workgroup_info 0
		.amdhsa_system_vgpr_workitem_id 1
		.amdhsa_next_free_vgpr 64
		.amdhsa_next_free_sgpr 68
		.amdhsa_reserve_vcc 1
		.amdhsa_reserve_flat_scratch 0
		.amdhsa_float_round_mode_32 0
		.amdhsa_float_round_mode_16_64 0
		.amdhsa_float_denorm_mode_32 3
		.amdhsa_float_denorm_mode_16_64 3
		.amdhsa_dx10_clamp 1
		.amdhsa_ieee_mode 1
		.amdhsa_fp16_overflow 0
		.amdhsa_exception_fp_ieee_invalid_op 0
		.amdhsa_exception_fp_denorm_src 0
		.amdhsa_exception_fp_ieee_div_zero 0
		.amdhsa_exception_fp_ieee_overflow 0
		.amdhsa_exception_fp_ieee_underflow 0
		.amdhsa_exception_fp_ieee_inexact 0
		.amdhsa_exception_int_div_zero 0
	.end_amdhsa_kernel
	.section	.text._ZL30rocblas_trmm_outofplace_kernelI19rocblas_complex_numIfELi32ELi2ELb0ELb0ELb0ELb0EPKS1_S2_S1_Ev17rocblas_diagonal_iiT6_lPT7_lllS7_lllPT8_llli,"axG",@progbits,_ZL30rocblas_trmm_outofplace_kernelI19rocblas_complex_numIfELi32ELi2ELb0ELb0ELb0ELb0EPKS1_S2_S1_Ev17rocblas_diagonal_iiT6_lPT7_lllS7_lllPT8_llli,comdat
.Lfunc_end84:
	.size	_ZL30rocblas_trmm_outofplace_kernelI19rocblas_complex_numIfELi32ELi2ELb0ELb0ELb0ELb0EPKS1_S2_S1_Ev17rocblas_diagonal_iiT6_lPT7_lllS7_lllPT8_llli, .Lfunc_end84-_ZL30rocblas_trmm_outofplace_kernelI19rocblas_complex_numIfELi32ELi2ELb0ELb0ELb0ELb0EPKS1_S2_S1_Ev17rocblas_diagonal_iiT6_lPT7_lllS7_lllPT8_llli
                                        ; -- End function
	.set _ZL30rocblas_trmm_outofplace_kernelI19rocblas_complex_numIfELi32ELi2ELb0ELb0ELb0ELb0EPKS1_S2_S1_Ev17rocblas_diagonal_iiT6_lPT7_lllS7_lllPT8_llli.num_vgpr, 64
	.set _ZL30rocblas_trmm_outofplace_kernelI19rocblas_complex_numIfELi32ELi2ELb0ELb0ELb0ELb0EPKS1_S2_S1_Ev17rocblas_diagonal_iiT6_lPT7_lllS7_lllPT8_llli.num_agpr, 0
	.set _ZL30rocblas_trmm_outofplace_kernelI19rocblas_complex_numIfELi32ELi2ELb0ELb0ELb0ELb0EPKS1_S2_S1_Ev17rocblas_diagonal_iiT6_lPT7_lllS7_lllPT8_llli.numbered_sgpr, 68
	.set _ZL30rocblas_trmm_outofplace_kernelI19rocblas_complex_numIfELi32ELi2ELb0ELb0ELb0ELb0EPKS1_S2_S1_Ev17rocblas_diagonal_iiT6_lPT7_lllS7_lllPT8_llli.num_named_barrier, 0
	.set _ZL30rocblas_trmm_outofplace_kernelI19rocblas_complex_numIfELi32ELi2ELb0ELb0ELb0ELb0EPKS1_S2_S1_Ev17rocblas_diagonal_iiT6_lPT7_lllS7_lllPT8_llli.private_seg_size, 36
	.set _ZL30rocblas_trmm_outofplace_kernelI19rocblas_complex_numIfELi32ELi2ELb0ELb0ELb0ELb0EPKS1_S2_S1_Ev17rocblas_diagonal_iiT6_lPT7_lllS7_lllPT8_llli.uses_vcc, 1
	.set _ZL30rocblas_trmm_outofplace_kernelI19rocblas_complex_numIfELi32ELi2ELb0ELb0ELb0ELb0EPKS1_S2_S1_Ev17rocblas_diagonal_iiT6_lPT7_lllS7_lllPT8_llli.uses_flat_scratch, 0
	.set _ZL30rocblas_trmm_outofplace_kernelI19rocblas_complex_numIfELi32ELi2ELb0ELb0ELb0ELb0EPKS1_S2_S1_Ev17rocblas_diagonal_iiT6_lPT7_lllS7_lllPT8_llli.has_dyn_sized_stack, 0
	.set _ZL30rocblas_trmm_outofplace_kernelI19rocblas_complex_numIfELi32ELi2ELb0ELb0ELb0ELb0EPKS1_S2_S1_Ev17rocblas_diagonal_iiT6_lPT7_lllS7_lllPT8_llli.has_recursion, 0
	.set _ZL30rocblas_trmm_outofplace_kernelI19rocblas_complex_numIfELi32ELi2ELb0ELb0ELb0ELb0EPKS1_S2_S1_Ev17rocblas_diagonal_iiT6_lPT7_lllS7_lllPT8_llli.has_indirect_call, 0
	.section	.AMDGPU.csdata,"",@progbits
; Kernel info:
; codeLenInByte = 6672
; TotalNumSgprs: 72
; NumVgprs: 64
; ScratchSize: 36
; MemoryBound: 1
; FloatMode: 240
; IeeeMode: 1
; LDSByteSize: 16384 bytes/workgroup (compile time only)
; SGPRBlocks: 8
; VGPRBlocks: 15
; NumSGPRsForWavesPerEU: 72
; NumVGPRsForWavesPerEU: 64
; Occupancy: 4
; WaveLimiterHint : 0
; COMPUTE_PGM_RSRC2:SCRATCH_EN: 1
; COMPUTE_PGM_RSRC2:USER_SGPR: 6
; COMPUTE_PGM_RSRC2:TRAP_HANDLER: 0
; COMPUTE_PGM_RSRC2:TGID_X_EN: 1
; COMPUTE_PGM_RSRC2:TGID_Y_EN: 1
; COMPUTE_PGM_RSRC2:TGID_Z_EN: 1
; COMPUTE_PGM_RSRC2:TIDIG_COMP_CNT: 1
	.section	.text._ZL30rocblas_trmm_outofplace_kernelI19rocblas_complex_numIfELi32ELi2ELb0ELb0ELb0ELb0ES1_KS1_S1_Ev17rocblas_diagonal_iiT6_lPT7_lllS6_lllPT8_llli,"axG",@progbits,_ZL30rocblas_trmm_outofplace_kernelI19rocblas_complex_numIfELi32ELi2ELb0ELb0ELb0ELb0ES1_KS1_S1_Ev17rocblas_diagonal_iiT6_lPT7_lllS6_lllPT8_llli,comdat
	.globl	_ZL30rocblas_trmm_outofplace_kernelI19rocblas_complex_numIfELi32ELi2ELb0ELb0ELb0ELb0ES1_KS1_S1_Ev17rocblas_diagonal_iiT6_lPT7_lllS6_lllPT8_llli ; -- Begin function _ZL30rocblas_trmm_outofplace_kernelI19rocblas_complex_numIfELi32ELi2ELb0ELb0ELb0ELb0ES1_KS1_S1_Ev17rocblas_diagonal_iiT6_lPT7_lllS6_lllPT8_llli
	.p2align	8
	.type	_ZL30rocblas_trmm_outofplace_kernelI19rocblas_complex_numIfELi32ELi2ELb0ELb0ELb0ELb0ES1_KS1_S1_Ev17rocblas_diagonal_iiT6_lPT7_lllS6_lllPT8_llli,@function
_ZL30rocblas_trmm_outofplace_kernelI19rocblas_complex_numIfELi32ELi2ELb0ELb0ELb0ELb0ES1_KS1_S1_Ev17rocblas_diagonal_iiT6_lPT7_lllS6_lllPT8_llli: ; @_ZL30rocblas_trmm_outofplace_kernelI19rocblas_complex_numIfELi32ELi2ELb0ELb0ELb0ELb0ES1_KS1_S1_Ev17rocblas_diagonal_iiT6_lPT7_lllS6_lllPT8_llli
; %bb.0:
	s_load_dwordx4 s[28:31], s[4:5], 0x0
	s_load_dword s33, s[4:5], 0x10
	s_mov_b64 s[66:67], s[2:3]
	s_mov_b64 s[64:65], s[0:1]
	s_add_u32 s64, s64, s9
	s_addc_u32 s65, s65, 0
	s_waitcnt lgkmcnt(0)
	s_or_b32 s0, s31, s33
	s_bitset0_b32 s0, 31
	s_cmp_eq_u32 s0, 0
	s_cbranch_scc1 .LBB85_64
; %bb.1:
	s_add_i32 s0, s30, -1
	s_ashr_i32 s1, s0, 31
	s_lshr_b32 s1, s1, 27
	s_add_i32 s0, s0, s1
	s_ashr_i32 s56, s0, 5
	s_cmp_gt_i32 s7, s56
	s_cbranch_scc1 .LBB85_64
; %bb.2:
	s_load_dwordx8 s[20:27], s[4:5], 0x60
	s_load_dwordx16 s[36:51], s[4:5], 0x20
	v_lshl_add_u32 v2, s6, 5, v0
	s_load_dword s6, s[4:5], 0x8c
	v_ashrrev_i32_e32 v3, 31, v2
	s_waitcnt lgkmcnt(0)
	s_mul_i32 s1, s27, s8
	s_mul_hi_u32 s2, s26, s8
	s_mul_i32 s0, s26, s8
	s_add_i32 s1, s2, s1
	s_lshl_b64 s[0:1], s[0:1], 3
	s_add_u32 s2, s20, s0
	s_addc_u32 s3, s21, s1
	s_lshl_b64 s[0:1], s[22:23], 3
	s_add_u32 s57, s2, s0
	s_addc_u32 s58, s3, s1
	s_cmpk_eq_i32 s28, 0x84
	s_cselect_b64 s[22:23], -1, 0
	s_ashr_i32 s27, s30, 31
	s_ashr_i32 s0, s29, 31
	s_lshl_b64 s[34:35], s[48:49], 8
	s_add_u32 s52, s30, -16
	s_addc_u32 s53, s27, -1
	s_lshl_b32 s9, s7, 5
	v_add_u32_e32 v24, s9, v0
	v_add_u32_e32 v26, s9, v1
	s_mul_i32 s9, s43, s8
	s_mul_hi_u32 s10, s42, s8
	s_add_i32 s11, s10, s9
	s_mul_i32 s10, s42, s8
	s_lshl_b32 s59, s6, 5
	s_lshl_b64 s[10:11], s[10:11], 3
	s_lshl_b64 s[12:13], s[38:39], 3
	v_mov_b32_e32 v5, s0
	v_sub_co_u32_e32 v4, vcc, s29, v2
	s_add_u32 s9, s10, s12
	v_subb_co_u32_e32 v5, vcc, v5, v3, vcc
	s_addc_u32 s10, s11, s13
	v_cmp_gt_i64_e64 s[0:1], 1, v[4:5]
	v_cmp_gt_i64_e64 s[2:3], 17, v[4:5]
	v_add_u32_e32 v4, 16, v2
	s_add_u32 s28, s36, s9
	v_cmp_gt_i32_e64 s[4:5], s29, v2
	v_cmp_gt_i32_e64 s[16:17], s29, v4
	s_addc_u32 s29, s37, s10
	s_add_u32 s36, s44, 0x80
	s_mul_i32 s9, s51, s8
	s_mul_hi_u32 s10, s50, s8
	s_addc_u32 s37, s45, 0
	s_add_i32 s9, s10, s9
	s_mul_i32 s8, s50, s8
	v_ashrrev_i32_e32 v5, 31, v4
	s_lshl_b64 s[38:39], s[48:49], 3
	s_lshl_b64 s[8:9], s[8:9], 3
	;; [unrolled: 1-line block ×3, first 2 shown]
	v_lshlrev_b64 v[2:3], 3, v[2:3]
	buffer_store_dword v4, off, s[64:67], 0 offset:8 ; 4-byte Folded Spill
	s_nop 0
	buffer_store_dword v5, off, s[64:67], 0 offset:12 ; 4-byte Folded Spill
	s_add_u32 s8, s8, s10
	v_add_co_u32_e32 v4, vcc, s8, v2
	buffer_store_dword v2, off, s[64:67], 0 offset:16 ; 4-byte Folded Spill
	s_nop 0
	buffer_store_dword v3, off, s[64:67], 0 offset:20 ; 4-byte Folded Spill
	v_lshlrev_b32_e32 v6, 3, v0
	s_addc_u32 s9, s9, s11
	v_lshlrev_b32_e32 v56, 8, v1
	v_or_b32_e32 v58, 0x2000, v6
	v_mov_b32_e32 v0, s9
	s_mov_b32 s26, s30
	v_add_u32_e32 v57, v56, v6
	v_add_u32_e32 v59, v58, v56
	s_lshl_b64 s[42:43], s[40:41], 3
	v_mov_b32_e32 v33, 0
	v_mov_b32_e32 v32, 1.0
	s_movk_i32 s60, 0x100
	v_addc_co_u32_e32 v5, vcc, v0, v3, vcc
	buffer_store_dword v4, off, s[64:67], 0 offset:24 ; 4-byte Folded Spill
	s_nop 0
	buffer_store_dword v5, off, s[64:67], 0 offset:28 ; 4-byte Folded Spill
	s_branch .LBB85_4
.LBB85_3:                               ;   in Loop: Header=BB85_4 Depth=1
	s_or_b64 exec, exec, s[8:9]
	s_add_i32 s7, s6, s7
	v_add_u32_e32 v24, s59, v24
	s_cmp_le_i32 s7, s56
	v_add_u32_e32 v26, s59, v26
	s_cbranch_scc0 .LBB85_64
.LBB85_4:                               ; =>This Loop Header: Depth=1
                                        ;     Child Loop BB85_7 Depth 2
	s_lshl_b32 s8, s7, 5
	v_add_u32_e32 v34, s8, v1
	s_sub_i32 s61, s30, s8
	v_ashrrev_i32_e32 v25, 31, v24
	v_ashrrev_i32_e32 v27, 31, v26
	s_cmp_lt_i32 s61, 1
	v_ashrrev_i32_e32 v35, 31, v34
	s_cbranch_scc1 .LBB85_55
; %bb.5:                                ;   in Loop: Header=BB85_4 Depth=1
	v_sub_co_u32_e32 v36, vcc, v26, v24
	v_lshlrev_b64 v[2:3], 3, v[26:27]
	v_subb_co_u32_e32 v37, vcc, v27, v25, vcc
	v_add_co_u32_e32 v0, vcc, 0x80, v2
	v_addc_co_u32_e32 v6, vcc, 0, v3, vcc
	v_mov_b32_e32 v2, s28
	v_mov_b32_e32 v3, s29
	v_mad_u64_u32 v[38:39], s[8:9], s40, v0, v[2:3]
	v_mad_u64_u32 v[42:43], s[8:9], s42, v26, v[2:3]
	v_mov_b32_e32 v2, s44
	v_add_co_u32_e32 v46, vcc, 16, v34
	v_mov_b32_e32 v3, s45
	v_addc_co_u32_e32 v47, vcc, 0, v35, vcc
	v_mad_u64_u32 v[44:45], s[8:9], s48, v0, v[2:3]
	v_add_co_u32_e32 v2, vcc, 16, v36
	v_addc_co_u32_e32 v3, vcc, 0, v37, vcc
	buffer_store_dword v2, off, s[64:67], 0 ; 4-byte Folded Spill
	s_nop 0
	buffer_store_dword v3, off, s[64:67], 0 offset:4 ; 4-byte Folded Spill
	buffer_load_dword v54, off, s[64:67], 0 offset:24 ; 4-byte Folded Reload
	buffer_load_dword v55, off, s[64:67], 0 offset:28 ; 4-byte Folded Reload
	v_mov_b32_e32 v4, s36
	v_mov_b32_e32 v5, s37
	v_mul_lo_u32 v7, s40, v6
	v_mul_lo_u32 v8, s41, v0
	v_mad_u64_u32 v[40:41], s[8:9], s38, v26, v[4:5]
	v_mul_lo_u32 v4, s38, v27
	v_mul_lo_u32 v5, s39, v26
	;; [unrolled: 1-line block ×6, first 2 shown]
	v_cmp_le_i64_e64 s[10:11], s[26:27], v[46:47]
	v_add_co_u32_e32 v50, vcc, -16, v36
	v_lshlrev_b64 v[52:53], 3, v[24:25]
	v_add3_u32 v39, v8, v39, v7
	v_add3_u32 v41, v5, v41, v4
	;; [unrolled: 1-line block ×4, first 2 shown]
	v_cmp_le_i32_e64 s[8:9], s30, v34
	v_addc_co_u32_e32 v51, vcc, -1, v37, vcc
	v_mov_b32_e32 v0, 0
	s_mov_b64 s[46:47], 0
	v_mov_b32_e32 v14, 0
	v_mov_b32_e32 v16, 0
	;; [unrolled: 1-line block ×7, first 2 shown]
	s_branch .LBB85_7
.LBB85_6:                               ;   in Loop: Header=BB85_7 Depth=2
	s_or_b64 exec, exec, s[12:13]
	s_waitcnt lgkmcnt(0)
	s_barrier
	ds_read_b128 v[60:63], v56
	ds_read_b128 v[10:13], v56 offset:16
	ds_read_b128 v[6:9], v56 offset:32
	;; [unrolled: 1-line block ×3, first 2 shown]
	ds_read2_b64 v[28:31], v58 offset1:16
	v_add_co_u32_e32 v38, vcc, s60, v38
	v_addc_co_u32_e32 v39, vcc, 0, v39, vcc
	s_waitcnt lgkmcnt(0)
	v_mul_f32_e32 v21, v61, v29
	v_mul_f32_e32 v22, v60, v29
	v_fma_f32 v21, v60, v28, -v21
	v_fmac_f32_e32 v22, v61, v28
	v_add_f32_e32 v21, v19, v21
	v_add_f32_e32 v22, v20, v22
	v_mul_f32_e32 v19, v61, v31
	v_mul_f32_e32 v20, v60, v31
	v_fma_f32 v19, v60, v30, -v19
	v_fmac_f32_e32 v20, v61, v30
	v_add_f32_e32 v23, v17, v19
	v_add_f32_e32 v60, v18, v20
	ds_read_b128 v[17:20], v56 offset:4096
	v_add_co_u32_e32 v54, vcc, s34, v54
	s_add_u32 s46, s46, 32
	s_addc_u32 s47, s47, 0
	s_waitcnt lgkmcnt(0)
	v_mul_f32_e32 v61, v18, v29
	v_mul_f32_e32 v29, v17, v29
	v_fma_f32 v61, v17, v28, -v61
	v_fmac_f32_e32 v29, v18, v28
	v_add_f32_e32 v28, v15, v61
	v_add_f32_e32 v29, v16, v29
	v_mul_f32_e32 v15, v18, v31
	v_mul_f32_e32 v16, v17, v31
	v_fma_f32 v15, v17, v30, -v15
	v_fmac_f32_e32 v16, v18, v30
	v_add_f32_e32 v18, v14, v15
	v_add_f32_e32 v0, v0, v16
	ds_read2_b64 v[14:17], v58 offset0:32 offset1:48
	s_cmp_ge_i32 s46, s61
	s_waitcnt lgkmcnt(0)
	v_mul_f32_e32 v30, v63, v15
	v_fma_f32 v30, v62, v14, -v30
	v_add_f32_e32 v21, v21, v30
	v_mul_f32_e32 v30, v63, v17
	v_mul_f32_e32 v31, v62, v15
	v_fma_f32 v30, v62, v16, -v30
	v_fmac_f32_e32 v31, v63, v14
	v_add_f32_e32 v23, v23, v30
	v_mul_f32_e32 v30, v20, v15
	v_mul_f32_e32 v15, v19, v15
	v_add_f32_e32 v22, v22, v31
	v_mul_f32_e32 v31, v62, v17
	v_fmac_f32_e32 v15, v20, v14
	v_fmac_f32_e32 v31, v63, v16
	v_fma_f32 v30, v19, v14, -v30
	v_add_f32_e32 v63, v29, v15
	v_mul_f32_e32 v14, v20, v17
	v_mul_f32_e32 v15, v19, v17
	v_fma_f32 v14, v19, v16, -v14
	v_fmac_f32_e32 v15, v20, v16
	v_add_f32_e32 v48, v60, v31
	v_add_f32_e32 v62, v28, v30
	;; [unrolled: 1-line block ×4, first 2 shown]
	ds_read2_b64 v[14:17], v58 offset0:64 offset1:80
	s_waitcnt lgkmcnt(0)
	v_mul_f32_e32 v0, v11, v15
	v_mul_f32_e32 v18, v10, v15
	v_fma_f32 v0, v10, v14, -v0
	v_fmac_f32_e32 v18, v11, v14
	v_add_f32_e32 v60, v21, v0
	v_add_f32_e32 v61, v22, v18
	ds_read_b128 v[18:21], v56 offset:4112
	v_mul_f32_e32 v0, v11, v17
	v_fma_f32 v0, v10, v16, -v0
	v_mul_f32_e32 v10, v10, v17
	v_fmac_f32_e32 v10, v11, v16
	s_waitcnt lgkmcnt(0)
	v_mul_f32_e32 v11, v19, v15
	v_mul_f32_e32 v15, v18, v15
	v_fmac_f32_e32 v15, v19, v14
	v_fma_f32 v11, v18, v14, -v11
	v_add_f32_e32 v22, v63, v15
	v_mul_f32_e32 v14, v19, v17
	v_mul_f32_e32 v15, v18, v17
	v_fma_f32 v14, v18, v16, -v14
	v_fmac_f32_e32 v15, v19, v16
	v_add_f32_e32 v18, v30, v14
	v_add_f32_e32 v19, v31, v15
	ds_read2_b64 v[14:17], v58 offset0:96 offset1:112
	v_add_f32_e32 v0, v23, v0
	v_add_f32_e32 v10, v48, v10
	;; [unrolled: 1-line block ×3, first 2 shown]
	s_waitcnt lgkmcnt(0)
	v_mul_f32_e32 v23, v13, v15
	v_mul_f32_e32 v29, v13, v17
	v_fma_f32 v23, v12, v14, -v23
	v_mul_f32_e32 v28, v12, v15
	v_fma_f32 v29, v12, v16, -v29
	v_mul_f32_e32 v12, v12, v17
	v_fmac_f32_e32 v12, v13, v16
	v_add_f32_e32 v0, v0, v29
	v_add_f32_e32 v29, v10, v12
	v_mul_f32_e32 v10, v21, v15
	v_fma_f32 v10, v20, v14, -v10
	v_mul_f32_e32 v12, v20, v15
	v_fmac_f32_e32 v28, v13, v14
	v_fmac_f32_e32 v12, v21, v14
	v_add_f32_e32 v14, v11, v10
	v_mul_f32_e32 v10, v21, v17
	v_mul_f32_e32 v11, v20, v17
	v_fma_f32 v10, v20, v16, -v10
	v_fmac_f32_e32 v11, v21, v16
	v_add_f32_e32 v15, v22, v12
	v_add_f32_e32 v20, v18, v10
	;; [unrolled: 1-line block ×3, first 2 shown]
	ds_read2_b64 v[10:13], v58 offset0:128 offset1:144
	v_add_f32_e32 v23, v60, v23
	v_add_f32_e32 v28, v61, v28
	s_waitcnt lgkmcnt(0)
	v_mul_f32_e32 v16, v7, v11
	v_fma_f32 v16, v6, v10, -v16
	v_mul_f32_e32 v17, v6, v11
	v_add_f32_e32 v22, v23, v16
	v_mul_f32_e32 v16, v7, v13
	v_fmac_f32_e32 v17, v7, v10
	v_fma_f32 v16, v6, v12, -v16
	v_add_f32_e32 v23, v28, v17
	v_add_f32_e32 v0, v0, v16
	ds_read_b128 v[16:19], v56 offset:4128
	v_mul_f32_e32 v6, v6, v13
	v_fmac_f32_e32 v6, v7, v12
	v_add_f32_e32 v6, v29, v6
	s_waitcnt lgkmcnt(0)
	v_mul_f32_e32 v7, v17, v11
	v_mul_f32_e32 v11, v16, v11
	v_fma_f32 v7, v16, v10, -v7
	v_fmac_f32_e32 v11, v17, v10
	v_add_f32_e32 v7, v14, v7
	v_add_f32_e32 v14, v15, v11
	v_mul_f32_e32 v10, v17, v13
	v_mul_f32_e32 v11, v16, v13
	v_fma_f32 v10, v16, v12, -v10
	v_fmac_f32_e32 v11, v17, v12
	v_add_f32_e32 v15, v20, v10
	v_add_f32_e32 v20, v21, v11
	ds_read2_b64 v[10:13], v58 offset0:160 offset1:176
	s_waitcnt lgkmcnt(0)
	v_mul_f32_e32 v16, v9, v11
	v_fma_f32 v16, v8, v10, -v16
	v_add_f32_e32 v21, v22, v16
	v_mul_f32_e32 v16, v9, v13
	v_mul_f32_e32 v17, v8, v11
	v_fma_f32 v16, v8, v12, -v16
	v_mul_f32_e32 v8, v8, v13
	v_fmac_f32_e32 v17, v9, v10
	v_fmac_f32_e32 v8, v9, v12
	v_add_f32_e32 v22, v23, v17
	v_add_f32_e32 v23, v6, v8
	v_mul_f32_e32 v6, v19, v11
	v_fma_f32 v6, v18, v10, -v6
	v_add_f32_e32 v0, v0, v16
	v_mul_f32_e32 v8, v18, v11
	v_add_f32_e32 v16, v7, v6
	v_mul_f32_e32 v6, v19, v13
	v_mul_f32_e32 v7, v18, v13
	v_fmac_f32_e32 v8, v19, v10
	v_fma_f32 v6, v18, v12, -v6
	v_fmac_f32_e32 v7, v19, v12
	v_add_f32_e32 v17, v14, v8
	v_add_f32_e32 v18, v15, v6
	;; [unrolled: 1-line block ×3, first 2 shown]
	ds_read2_b64 v[6:9], v58 offset0:192 offset1:208
	s_waitcnt lgkmcnt(0)
	v_mul_f32_e32 v10, v3, v7
	v_fma_f32 v10, v2, v6, -v10
	v_mul_f32_e32 v11, v2, v7
	v_add_f32_e32 v14, v21, v10
	v_mul_f32_e32 v10, v3, v9
	v_fmac_f32_e32 v11, v3, v6
	v_fma_f32 v10, v2, v8, -v10
	v_add_f32_e32 v15, v22, v11
	v_add_f32_e32 v0, v0, v10
	ds_read_b128 v[10:13], v56 offset:4144
	v_mul_f32_e32 v2, v2, v9
	v_fmac_f32_e32 v2, v3, v8
	v_add_f32_e32 v2, v23, v2
	s_waitcnt lgkmcnt(0)
	v_mul_f32_e32 v3, v11, v7
	v_mul_f32_e32 v7, v10, v7
	v_fma_f32 v3, v10, v6, -v3
	v_fmac_f32_e32 v7, v11, v6
	v_add_f32_e32 v3, v16, v3
	v_add_f32_e32 v16, v17, v7
	v_mul_f32_e32 v6, v11, v9
	v_mul_f32_e32 v7, v10, v9
	v_fma_f32 v6, v10, v8, -v6
	v_fmac_f32_e32 v7, v11, v8
	v_add_f32_e32 v10, v18, v6
	v_add_f32_e32 v11, v19, v7
	ds_read2_b64 v[6:9], v58 offset0:224 offset1:240
	s_waitcnt lgkmcnt(0)
	v_mul_f32_e32 v17, v5, v7
	v_fma_f32 v17, v4, v6, -v17
	v_add_f32_e32 v14, v14, v17
	v_mul_f32_e32 v17, v5, v9
	v_mul_f32_e32 v18, v4, v7
	v_fma_f32 v17, v4, v8, -v17
	v_mul_f32_e32 v4, v4, v9
	v_fmac_f32_e32 v18, v5, v6
	v_fmac_f32_e32 v4, v5, v8
	v_add_f32_e32 v17, v0, v17
	v_mul_f32_e32 v0, v13, v7
	v_add_f32_e32 v15, v15, v18
	v_add_f32_e32 v18, v2, v4
	v_fma_f32 v0, v12, v6, -v0
	v_mul_f32_e32 v2, v12, v7
	v_fmac_f32_e32 v2, v13, v6
	v_add_f32_e32 v19, v3, v0
	v_mul_f32_e32 v0, v13, v9
	v_add_f32_e32 v20, v16, v2
	v_fma_f32 v0, v12, v8, -v0
	v_mul_f32_e32 v2, v12, v9
	v_fmac_f32_e32 v2, v13, v8
	v_add_f32_e32 v10, v10, v0
	v_add_u32_e32 v0, 0x800, v58
	v_add_f32_e32 v11, v11, v2
	ds_read_b128 v[2:5], v56 offset:64
	ds_read2_b64 v[6:9], v0 offset1:16
	s_waitcnt lgkmcnt(0)
	v_mul_f32_e32 v12, v3, v7
	v_fma_f32 v12, v2, v6, -v12
	v_mul_f32_e32 v13, v2, v7
	v_add_f32_e32 v12, v14, v12
	v_mul_f32_e32 v14, v3, v9
	v_fmac_f32_e32 v13, v3, v6
	v_fma_f32 v14, v2, v8, -v14
	v_mul_f32_e32 v2, v2, v9
	v_add_f32_e32 v13, v15, v13
	v_fmac_f32_e32 v2, v3, v8
	v_add_f32_e32 v3, v17, v14
	ds_read_b128 v[14:17], v56 offset:4160
	v_add_f32_e32 v2, v18, v2
	s_waitcnt lgkmcnt(0)
	v_mul_f32_e32 v18, v15, v7
	v_mul_f32_e32 v7, v14, v7
	v_fma_f32 v18, v14, v6, -v18
	v_fmac_f32_e32 v7, v15, v6
	v_add_f32_e32 v18, v19, v18
	v_add_f32_e32 v19, v20, v7
	v_mul_f32_e32 v6, v15, v9
	v_mul_f32_e32 v7, v14, v9
	v_fma_f32 v6, v14, v8, -v6
	v_fmac_f32_e32 v7, v15, v8
	v_add_f32_e32 v20, v10, v6
	v_add_f32_e32 v21, v11, v7
	ds_read2_b64 v[6:9], v0 offset0:32 offset1:48
	s_waitcnt lgkmcnt(0)
	v_mul_f32_e32 v10, v5, v7
	v_fma_f32 v10, v4, v6, -v10
	v_add_f32_e32 v10, v12, v10
	v_mul_f32_e32 v12, v5, v9
	v_mul_f32_e32 v11, v4, v7
	v_fma_f32 v12, v4, v8, -v12
	v_mul_f32_e32 v4, v4, v9
	v_fmac_f32_e32 v11, v5, v6
	v_fmac_f32_e32 v4, v5, v8
	v_add_f32_e32 v11, v13, v11
	v_add_f32_e32 v12, v3, v12
	v_add_f32_e32 v13, v2, v4
	v_mul_f32_e32 v2, v17, v7
	v_mul_f32_e32 v3, v16, v7
	v_fma_f32 v2, v16, v6, -v2
	v_fmac_f32_e32 v3, v17, v6
	v_add_f32_e32 v14, v18, v2
	v_add_f32_e32 v15, v19, v3
	v_mul_f32_e32 v2, v17, v9
	v_mul_f32_e32 v3, v16, v9
	v_fma_f32 v2, v16, v8, -v2
	v_fmac_f32_e32 v3, v17, v8
	v_add_f32_e32 v16, v20, v2
	v_add_f32_e32 v17, v21, v3
	ds_read_b128 v[2:5], v56 offset:80
	ds_read2_b64 v[6:9], v0 offset0:64 offset1:80
	s_waitcnt lgkmcnt(0)
	v_mul_f32_e32 v18, v3, v7
	v_mul_f32_e32 v19, v2, v7
	v_fma_f32 v18, v2, v6, -v18
	v_fmac_f32_e32 v19, v3, v6
	v_add_f32_e32 v18, v10, v18
	v_add_f32_e32 v19, v11, v19
	v_mul_f32_e32 v10, v3, v9
	v_mul_f32_e32 v11, v2, v9
	v_fma_f32 v10, v2, v8, -v10
	v_fmac_f32_e32 v11, v3, v8
	v_add_f32_e32 v2, v12, v10
	v_add_f32_e32 v3, v13, v11
	ds_read_b128 v[10:13], v56 offset:4176
	s_waitcnt lgkmcnt(0)
	v_mul_f32_e32 v20, v11, v7
	v_mul_f32_e32 v7, v10, v7
	v_fmac_f32_e32 v7, v11, v6
	v_fma_f32 v20, v10, v6, -v20
	v_add_f32_e32 v15, v15, v7
	v_mul_f32_e32 v6, v11, v9
	v_mul_f32_e32 v7, v10, v9
	v_fma_f32 v6, v10, v8, -v6
	v_fmac_f32_e32 v7, v11, v8
	v_add_f32_e32 v10, v16, v6
	v_add_f32_e32 v11, v17, v7
	ds_read2_b64 v[6:9], v0 offset0:96 offset1:112
	v_add_f32_e32 v14, v14, v20
	s_waitcnt lgkmcnt(0)
	v_mul_f32_e32 v16, v5, v7
	v_fma_f32 v16, v4, v6, -v16
	v_add_f32_e32 v16, v18, v16
	v_mul_f32_e32 v18, v5, v9
	v_mul_f32_e32 v17, v4, v7
	v_fma_f32 v18, v4, v8, -v18
	v_mul_f32_e32 v4, v4, v9
	v_fmac_f32_e32 v17, v5, v6
	v_fmac_f32_e32 v4, v5, v8
	v_add_f32_e32 v17, v19, v17
	v_add_f32_e32 v18, v2, v18
	v_add_f32_e32 v19, v3, v4
	v_mul_f32_e32 v2, v13, v7
	v_mul_f32_e32 v3, v12, v7
	v_fma_f32 v2, v12, v6, -v2
	v_fmac_f32_e32 v3, v13, v6
	v_add_f32_e32 v20, v14, v2
	v_add_f32_e32 v21, v15, v3
	v_mul_f32_e32 v2, v13, v9
	v_mul_f32_e32 v3, v12, v9
	v_fma_f32 v2, v12, v8, -v2
	v_fmac_f32_e32 v3, v13, v8
	v_add_f32_e32 v10, v10, v2
	v_add_f32_e32 v11, v11, v3
	ds_read_b128 v[2:5], v56 offset:96
	ds_read2_b64 v[6:9], v0 offset0:128 offset1:144
	s_waitcnt lgkmcnt(0)
	v_mul_f32_e32 v12, v3, v7
	v_mul_f32_e32 v13, v2, v7
	v_mul_f32_e32 v14, v3, v9
	v_fma_f32 v12, v2, v6, -v12
	v_fmac_f32_e32 v13, v3, v6
	v_fma_f32 v14, v2, v8, -v14
	v_mul_f32_e32 v2, v2, v9
	v_add_f32_e32 v12, v16, v12
	v_add_f32_e32 v13, v17, v13
	v_fmac_f32_e32 v2, v3, v8
	v_add_f32_e32 v3, v18, v14
	ds_read_b128 v[14:17], v56 offset:4192
	v_add_f32_e32 v2, v19, v2
	s_waitcnt lgkmcnt(0)
	v_mul_f32_e32 v18, v15, v7
	v_mul_f32_e32 v7, v14, v7
	v_fmac_f32_e32 v7, v15, v6
	v_fma_f32 v18, v14, v6, -v18
	v_add_f32_e32 v19, v21, v7
	v_mul_f32_e32 v6, v15, v9
	v_mul_f32_e32 v7, v14, v9
	v_fma_f32 v6, v14, v8, -v6
	v_fmac_f32_e32 v7, v15, v8
	v_add_f32_e32 v18, v20, v18
	v_add_f32_e32 v20, v10, v6
	;; [unrolled: 1-line block ×3, first 2 shown]
	ds_read2_b64 v[6:9], v0 offset0:160 offset1:176
	s_waitcnt lgkmcnt(0)
	v_mul_f32_e32 v10, v5, v7
	v_fma_f32 v10, v4, v6, -v10
	v_add_f32_e32 v10, v12, v10
	v_mul_f32_e32 v12, v5, v9
	v_mul_f32_e32 v11, v4, v7
	v_fma_f32 v12, v4, v8, -v12
	v_mul_f32_e32 v4, v4, v9
	v_fmac_f32_e32 v11, v5, v6
	v_fmac_f32_e32 v4, v5, v8
	v_add_f32_e32 v11, v13, v11
	v_add_f32_e32 v12, v3, v12
	;; [unrolled: 1-line block ×3, first 2 shown]
	v_mul_f32_e32 v2, v17, v7
	v_mul_f32_e32 v3, v16, v7
	v_fma_f32 v2, v16, v6, -v2
	v_fmac_f32_e32 v3, v17, v6
	v_add_f32_e32 v14, v18, v2
	v_add_f32_e32 v15, v19, v3
	v_mul_f32_e32 v2, v17, v9
	v_mul_f32_e32 v3, v16, v9
	v_fma_f32 v2, v16, v8, -v2
	v_fmac_f32_e32 v3, v17, v8
	v_add_f32_e32 v16, v20, v2
	v_add_f32_e32 v17, v21, v3
	ds_read_b128 v[2:5], v56 offset:112
	ds_read2_b64 v[6:9], v0 offset0:192 offset1:208
	s_waitcnt lgkmcnt(0)
	v_mul_f32_e32 v18, v3, v7
	v_mul_f32_e32 v19, v2, v7
	v_fma_f32 v18, v2, v6, -v18
	v_fmac_f32_e32 v19, v3, v6
	v_add_f32_e32 v18, v10, v18
	v_add_f32_e32 v19, v11, v19
	v_mul_f32_e32 v10, v3, v9
	v_mul_f32_e32 v11, v2, v9
	v_fma_f32 v10, v2, v8, -v10
	v_fmac_f32_e32 v11, v3, v8
	v_add_f32_e32 v2, v12, v10
	v_add_f32_e32 v3, v13, v11
	ds_read_b128 v[10:13], v56 offset:4208
	s_waitcnt lgkmcnt(0)
	v_mul_f32_e32 v20, v11, v7
	v_mul_f32_e32 v7, v10, v7
	v_fmac_f32_e32 v7, v11, v6
	v_fma_f32 v20, v10, v6, -v20
	v_add_f32_e32 v15, v15, v7
	v_mul_f32_e32 v6, v11, v9
	v_mul_f32_e32 v7, v10, v9
	v_fma_f32 v6, v10, v8, -v6
	v_fmac_f32_e32 v7, v11, v8
	v_add_f32_e32 v10, v16, v6
	v_add_f32_e32 v11, v17, v7
	ds_read2_b64 v[6:9], v0 offset0:224 offset1:240
	v_add_f32_e32 v14, v14, v20
	s_waitcnt lgkmcnt(0)
	v_mul_f32_e32 v0, v5, v7
	v_fma_f32 v0, v4, v6, -v0
	v_add_f32_e32 v17, v18, v0
	v_mul_f32_e32 v0, v5, v9
	v_fma_f32 v0, v4, v8, -v0
	v_add_f32_e32 v18, v2, v0
	v_mul_f32_e32 v0, v13, v7
	v_fma_f32 v0, v12, v6, -v0
	v_mul_f32_e32 v2, v12, v7
	v_fmac_f32_e32 v2, v13, v6
	v_add_f32_e32 v20, v14, v0
	v_mul_f32_e32 v0, v13, v9
	v_mul_f32_e32 v16, v4, v7
	;; [unrolled: 1-line block ×3, first 2 shown]
	v_add_f32_e32 v21, v15, v2
	v_fma_f32 v0, v12, v8, -v0
	v_mul_f32_e32 v2, v12, v9
	v_fmac_f32_e32 v16, v5, v6
	v_fmac_f32_e32 v4, v5, v8
	;; [unrolled: 1-line block ×3, first 2 shown]
	v_add_f32_e32 v10, v10, v0
	v_add_u32_e32 v0, 0x1000, v58
	v_add_f32_e32 v16, v19, v16
	v_add_f32_e32 v19, v3, v4
	;; [unrolled: 1-line block ×3, first 2 shown]
	ds_read_b128 v[2:5], v56 offset:128
	ds_read2_b64 v[6:9], v0 offset1:16
	s_waitcnt lgkmcnt(0)
	v_mul_f32_e32 v12, v3, v7
	v_mul_f32_e32 v13, v2, v7
	v_mul_f32_e32 v14, v3, v9
	v_fma_f32 v12, v2, v6, -v12
	v_fmac_f32_e32 v13, v3, v6
	v_fma_f32 v14, v2, v8, -v14
	v_mul_f32_e32 v2, v2, v9
	v_add_f32_e32 v12, v17, v12
	v_add_f32_e32 v13, v16, v13
	v_fmac_f32_e32 v2, v3, v8
	v_add_f32_e32 v3, v18, v14
	ds_read_b128 v[14:17], v56 offset:4224
	v_add_f32_e32 v2, v19, v2
	s_waitcnt lgkmcnt(0)
	v_mul_f32_e32 v18, v15, v7
	v_mul_f32_e32 v7, v14, v7
	v_fmac_f32_e32 v7, v15, v6
	v_fma_f32 v18, v14, v6, -v18
	v_add_f32_e32 v19, v21, v7
	v_mul_f32_e32 v6, v15, v9
	v_mul_f32_e32 v7, v14, v9
	v_fma_f32 v6, v14, v8, -v6
	v_fmac_f32_e32 v7, v15, v8
	v_add_f32_e32 v18, v20, v18
	v_add_f32_e32 v20, v10, v6
	;; [unrolled: 1-line block ×3, first 2 shown]
	ds_read2_b64 v[6:9], v0 offset0:32 offset1:48
	s_waitcnt lgkmcnt(0)
	v_mul_f32_e32 v10, v5, v7
	v_fma_f32 v10, v4, v6, -v10
	v_add_f32_e32 v10, v12, v10
	v_mul_f32_e32 v12, v5, v9
	v_mul_f32_e32 v11, v4, v7
	v_fma_f32 v12, v4, v8, -v12
	v_mul_f32_e32 v4, v4, v9
	v_fmac_f32_e32 v11, v5, v6
	v_fmac_f32_e32 v4, v5, v8
	v_add_f32_e32 v11, v13, v11
	v_add_f32_e32 v12, v3, v12
	;; [unrolled: 1-line block ×3, first 2 shown]
	v_mul_f32_e32 v2, v17, v7
	v_mul_f32_e32 v3, v16, v7
	v_fma_f32 v2, v16, v6, -v2
	v_fmac_f32_e32 v3, v17, v6
	v_add_f32_e32 v14, v18, v2
	v_add_f32_e32 v15, v19, v3
	v_mul_f32_e32 v2, v17, v9
	v_mul_f32_e32 v3, v16, v9
	v_fma_f32 v2, v16, v8, -v2
	v_fmac_f32_e32 v3, v17, v8
	v_add_f32_e32 v16, v20, v2
	v_add_f32_e32 v17, v21, v3
	ds_read_b128 v[2:5], v56 offset:144
	ds_read2_b64 v[6:9], v0 offset0:64 offset1:80
	s_waitcnt lgkmcnt(0)
	v_mul_f32_e32 v18, v3, v7
	v_mul_f32_e32 v19, v2, v7
	v_fma_f32 v18, v2, v6, -v18
	v_fmac_f32_e32 v19, v3, v6
	v_add_f32_e32 v18, v10, v18
	v_add_f32_e32 v19, v11, v19
	v_mul_f32_e32 v10, v3, v9
	v_mul_f32_e32 v11, v2, v9
	v_fma_f32 v10, v2, v8, -v10
	v_fmac_f32_e32 v11, v3, v8
	v_add_f32_e32 v2, v12, v10
	v_add_f32_e32 v3, v13, v11
	ds_read_b128 v[10:13], v56 offset:4240
	s_waitcnt lgkmcnt(0)
	v_mul_f32_e32 v20, v11, v7
	v_mul_f32_e32 v7, v10, v7
	v_fmac_f32_e32 v7, v11, v6
	v_fma_f32 v20, v10, v6, -v20
	v_add_f32_e32 v15, v15, v7
	v_mul_f32_e32 v6, v11, v9
	v_mul_f32_e32 v7, v10, v9
	v_fma_f32 v6, v10, v8, -v6
	v_fmac_f32_e32 v7, v11, v8
	v_add_f32_e32 v10, v16, v6
	v_add_f32_e32 v11, v17, v7
	ds_read2_b64 v[6:9], v0 offset0:96 offset1:112
	v_add_f32_e32 v14, v14, v20
	s_waitcnt lgkmcnt(0)
	v_mul_f32_e32 v16, v5, v7
	v_fma_f32 v16, v4, v6, -v16
	v_add_f32_e32 v16, v18, v16
	v_mul_f32_e32 v18, v5, v9
	v_mul_f32_e32 v17, v4, v7
	v_fma_f32 v18, v4, v8, -v18
	v_mul_f32_e32 v4, v4, v9
	v_fmac_f32_e32 v17, v5, v6
	v_fmac_f32_e32 v4, v5, v8
	v_add_f32_e32 v17, v19, v17
	v_add_f32_e32 v18, v2, v18
	;; [unrolled: 1-line block ×3, first 2 shown]
	v_mul_f32_e32 v2, v13, v7
	v_mul_f32_e32 v3, v12, v7
	v_fma_f32 v2, v12, v6, -v2
	v_fmac_f32_e32 v3, v13, v6
	v_add_f32_e32 v20, v14, v2
	v_add_f32_e32 v21, v15, v3
	v_mul_f32_e32 v2, v13, v9
	v_mul_f32_e32 v3, v12, v9
	v_fma_f32 v2, v12, v8, -v2
	v_fmac_f32_e32 v3, v13, v8
	v_add_f32_e32 v10, v10, v2
	v_add_f32_e32 v11, v11, v3
	ds_read_b128 v[2:5], v56 offset:160
	ds_read2_b64 v[6:9], v0 offset0:128 offset1:144
	s_waitcnt lgkmcnt(0)
	v_mul_f32_e32 v12, v3, v7
	v_mul_f32_e32 v13, v2, v7
	v_mul_f32_e32 v14, v3, v9
	v_fma_f32 v12, v2, v6, -v12
	v_fmac_f32_e32 v13, v3, v6
	v_fma_f32 v14, v2, v8, -v14
	v_mul_f32_e32 v2, v2, v9
	v_add_f32_e32 v12, v16, v12
	v_add_f32_e32 v13, v17, v13
	v_fmac_f32_e32 v2, v3, v8
	v_add_f32_e32 v3, v18, v14
	ds_read_b128 v[14:17], v56 offset:4256
	v_add_f32_e32 v2, v19, v2
	s_waitcnt lgkmcnt(0)
	v_mul_f32_e32 v18, v15, v7
	v_mul_f32_e32 v7, v14, v7
	v_fmac_f32_e32 v7, v15, v6
	v_fma_f32 v18, v14, v6, -v18
	v_add_f32_e32 v19, v21, v7
	v_mul_f32_e32 v6, v15, v9
	v_mul_f32_e32 v7, v14, v9
	v_fma_f32 v6, v14, v8, -v6
	v_fmac_f32_e32 v7, v15, v8
	v_add_f32_e32 v18, v20, v18
	v_add_f32_e32 v20, v10, v6
	v_add_f32_e32 v21, v11, v7
	ds_read2_b64 v[6:9], v0 offset0:160 offset1:176
	s_waitcnt lgkmcnt(0)
	v_mul_f32_e32 v10, v5, v7
	v_fma_f32 v10, v4, v6, -v10
	v_add_f32_e32 v10, v12, v10
	v_mul_f32_e32 v12, v5, v9
	v_mul_f32_e32 v11, v4, v7
	v_fma_f32 v12, v4, v8, -v12
	v_mul_f32_e32 v4, v4, v9
	v_fmac_f32_e32 v11, v5, v6
	v_fmac_f32_e32 v4, v5, v8
	v_add_f32_e32 v11, v13, v11
	v_add_f32_e32 v12, v3, v12
	;; [unrolled: 1-line block ×3, first 2 shown]
	v_mul_f32_e32 v2, v17, v7
	v_mul_f32_e32 v3, v16, v7
	v_fma_f32 v2, v16, v6, -v2
	v_fmac_f32_e32 v3, v17, v6
	v_add_f32_e32 v14, v18, v2
	v_add_f32_e32 v15, v19, v3
	v_mul_f32_e32 v2, v17, v9
	v_mul_f32_e32 v3, v16, v9
	v_fma_f32 v2, v16, v8, -v2
	v_fmac_f32_e32 v3, v17, v8
	v_add_f32_e32 v16, v20, v2
	v_add_f32_e32 v17, v21, v3
	ds_read_b128 v[2:5], v56 offset:176
	ds_read2_b64 v[6:9], v0 offset0:192 offset1:208
	s_waitcnt lgkmcnt(0)
	v_mul_f32_e32 v18, v3, v7
	v_mul_f32_e32 v19, v2, v7
	v_fma_f32 v18, v2, v6, -v18
	v_fmac_f32_e32 v19, v3, v6
	v_add_f32_e32 v18, v10, v18
	v_add_f32_e32 v19, v11, v19
	v_mul_f32_e32 v10, v3, v9
	v_mul_f32_e32 v11, v2, v9
	v_fma_f32 v10, v2, v8, -v10
	v_fmac_f32_e32 v11, v3, v8
	v_add_f32_e32 v2, v12, v10
	v_add_f32_e32 v3, v13, v11
	ds_read_b128 v[10:13], v56 offset:4272
	s_waitcnt lgkmcnt(0)
	v_mul_f32_e32 v20, v11, v7
	v_mul_f32_e32 v7, v10, v7
	v_fmac_f32_e32 v7, v11, v6
	v_fma_f32 v20, v10, v6, -v20
	v_add_f32_e32 v15, v15, v7
	v_mul_f32_e32 v6, v11, v9
	v_mul_f32_e32 v7, v10, v9
	v_fma_f32 v6, v10, v8, -v6
	v_fmac_f32_e32 v7, v11, v8
	v_add_f32_e32 v10, v16, v6
	v_add_f32_e32 v11, v17, v7
	ds_read2_b64 v[6:9], v0 offset0:224 offset1:240
	v_add_f32_e32 v14, v14, v20
	s_waitcnt lgkmcnt(0)
	v_mul_f32_e32 v0, v5, v7
	v_fma_f32 v0, v4, v6, -v0
	v_add_f32_e32 v17, v18, v0
	v_mul_f32_e32 v0, v5, v9
	v_fma_f32 v0, v4, v8, -v0
	v_add_f32_e32 v18, v2, v0
	v_mul_f32_e32 v0, v13, v7
	v_fma_f32 v0, v12, v6, -v0
	v_mul_f32_e32 v2, v12, v7
	v_fmac_f32_e32 v2, v13, v6
	v_add_f32_e32 v20, v14, v0
	v_mul_f32_e32 v0, v13, v9
	v_mul_f32_e32 v16, v4, v7
	;; [unrolled: 1-line block ×3, first 2 shown]
	v_add_f32_e32 v21, v15, v2
	v_fma_f32 v0, v12, v8, -v0
	v_mul_f32_e32 v2, v12, v9
	v_fmac_f32_e32 v16, v5, v6
	v_fmac_f32_e32 v4, v5, v8
	;; [unrolled: 1-line block ×3, first 2 shown]
	v_add_f32_e32 v10, v10, v0
	v_add_u32_e32 v0, 0x1800, v58
	v_add_f32_e32 v16, v19, v16
	v_add_f32_e32 v19, v3, v4
	;; [unrolled: 1-line block ×3, first 2 shown]
	ds_read_b128 v[2:5], v56 offset:192
	ds_read2_b64 v[6:9], v0 offset1:16
	s_waitcnt lgkmcnt(0)
	v_mul_f32_e32 v12, v3, v7
	v_mul_f32_e32 v13, v2, v7
	;; [unrolled: 1-line block ×3, first 2 shown]
	v_fma_f32 v12, v2, v6, -v12
	v_fmac_f32_e32 v13, v3, v6
	v_fma_f32 v14, v2, v8, -v14
	v_mul_f32_e32 v2, v2, v9
	v_add_f32_e32 v12, v17, v12
	v_add_f32_e32 v13, v16, v13
	v_fmac_f32_e32 v2, v3, v8
	v_add_f32_e32 v3, v18, v14
	ds_read_b128 v[14:17], v56 offset:4288
	v_add_f32_e32 v2, v19, v2
	s_waitcnt lgkmcnt(0)
	v_mul_f32_e32 v18, v15, v7
	v_mul_f32_e32 v7, v14, v7
	v_fmac_f32_e32 v7, v15, v6
	v_fma_f32 v18, v14, v6, -v18
	v_add_f32_e32 v19, v21, v7
	v_mul_f32_e32 v6, v15, v9
	v_mul_f32_e32 v7, v14, v9
	v_fma_f32 v6, v14, v8, -v6
	v_fmac_f32_e32 v7, v15, v8
	v_add_f32_e32 v18, v20, v18
	v_add_f32_e32 v20, v10, v6
	;; [unrolled: 1-line block ×3, first 2 shown]
	ds_read2_b64 v[6:9], v0 offset0:32 offset1:48
	s_waitcnt lgkmcnt(0)
	v_mul_f32_e32 v10, v5, v7
	v_fma_f32 v10, v4, v6, -v10
	v_add_f32_e32 v10, v12, v10
	v_mul_f32_e32 v12, v5, v9
	v_mul_f32_e32 v11, v4, v7
	v_fma_f32 v12, v4, v8, -v12
	v_mul_f32_e32 v4, v4, v9
	v_fmac_f32_e32 v11, v5, v6
	v_fmac_f32_e32 v4, v5, v8
	v_add_f32_e32 v11, v13, v11
	v_add_f32_e32 v12, v3, v12
	;; [unrolled: 1-line block ×3, first 2 shown]
	v_mul_f32_e32 v2, v17, v7
	v_mul_f32_e32 v3, v16, v7
	v_fma_f32 v2, v16, v6, -v2
	v_fmac_f32_e32 v3, v17, v6
	v_add_f32_e32 v14, v18, v2
	v_add_f32_e32 v15, v19, v3
	v_mul_f32_e32 v2, v17, v9
	v_mul_f32_e32 v3, v16, v9
	v_fma_f32 v2, v16, v8, -v2
	v_fmac_f32_e32 v3, v17, v8
	v_add_f32_e32 v16, v20, v2
	v_add_f32_e32 v17, v21, v3
	ds_read_b128 v[2:5], v56 offset:208
	ds_read2_b64 v[6:9], v0 offset0:64 offset1:80
	s_waitcnt lgkmcnt(0)
	v_mul_f32_e32 v18, v3, v7
	v_mul_f32_e32 v19, v2, v7
	v_fma_f32 v18, v2, v6, -v18
	v_fmac_f32_e32 v19, v3, v6
	v_add_f32_e32 v18, v10, v18
	v_add_f32_e32 v19, v11, v19
	v_mul_f32_e32 v10, v3, v9
	v_mul_f32_e32 v11, v2, v9
	v_fma_f32 v10, v2, v8, -v10
	v_fmac_f32_e32 v11, v3, v8
	v_add_f32_e32 v2, v12, v10
	v_add_f32_e32 v3, v13, v11
	ds_read_b128 v[10:13], v56 offset:4304
	s_waitcnt lgkmcnt(0)
	v_mul_f32_e32 v20, v11, v7
	v_mul_f32_e32 v7, v10, v7
	v_fmac_f32_e32 v7, v11, v6
	v_fma_f32 v20, v10, v6, -v20
	v_add_f32_e32 v15, v15, v7
	v_mul_f32_e32 v6, v11, v9
	v_mul_f32_e32 v7, v10, v9
	v_fma_f32 v6, v10, v8, -v6
	v_fmac_f32_e32 v7, v11, v8
	v_add_f32_e32 v10, v16, v6
	v_add_f32_e32 v11, v17, v7
	ds_read2_b64 v[6:9], v0 offset0:96 offset1:112
	v_add_f32_e32 v14, v14, v20
	s_waitcnt lgkmcnt(0)
	v_mul_f32_e32 v16, v5, v7
	v_fma_f32 v16, v4, v6, -v16
	v_add_f32_e32 v16, v18, v16
	v_mul_f32_e32 v18, v5, v9
	v_mul_f32_e32 v17, v4, v7
	v_fma_f32 v18, v4, v8, -v18
	v_mul_f32_e32 v4, v4, v9
	v_fmac_f32_e32 v17, v5, v6
	v_fmac_f32_e32 v4, v5, v8
	v_add_f32_e32 v17, v19, v17
	v_add_f32_e32 v18, v2, v18
	;; [unrolled: 1-line block ×3, first 2 shown]
	v_mul_f32_e32 v2, v13, v7
	v_mul_f32_e32 v3, v12, v7
	v_fma_f32 v2, v12, v6, -v2
	v_fmac_f32_e32 v3, v13, v6
	v_add_f32_e32 v20, v14, v2
	v_add_f32_e32 v21, v15, v3
	v_mul_f32_e32 v2, v13, v9
	v_mul_f32_e32 v3, v12, v9
	v_fma_f32 v2, v12, v8, -v2
	v_fmac_f32_e32 v3, v13, v8
	v_add_f32_e32 v10, v10, v2
	v_add_f32_e32 v11, v11, v3
	ds_read_b128 v[2:5], v56 offset:224
	ds_read2_b64 v[6:9], v0 offset0:128 offset1:144
	s_waitcnt lgkmcnt(0)
	v_mul_f32_e32 v12, v3, v7
	v_mul_f32_e32 v13, v2, v7
	;; [unrolled: 1-line block ×3, first 2 shown]
	v_fma_f32 v12, v2, v6, -v12
	v_fmac_f32_e32 v13, v3, v6
	v_fma_f32 v14, v2, v8, -v14
	v_mul_f32_e32 v2, v2, v9
	v_add_f32_e32 v12, v16, v12
	v_add_f32_e32 v13, v17, v13
	v_fmac_f32_e32 v2, v3, v8
	v_add_f32_e32 v3, v18, v14
	ds_read_b128 v[14:17], v56 offset:4320
	v_add_f32_e32 v2, v19, v2
	s_waitcnt lgkmcnt(0)
	v_mul_f32_e32 v18, v15, v7
	v_mul_f32_e32 v7, v14, v7
	v_fmac_f32_e32 v7, v15, v6
	v_fma_f32 v18, v14, v6, -v18
	v_add_f32_e32 v19, v21, v7
	v_mul_f32_e32 v6, v15, v9
	v_mul_f32_e32 v7, v14, v9
	v_fma_f32 v6, v14, v8, -v6
	v_fmac_f32_e32 v7, v15, v8
	v_add_f32_e32 v18, v20, v18
	v_add_f32_e32 v20, v10, v6
	;; [unrolled: 1-line block ×3, first 2 shown]
	ds_read2_b64 v[6:9], v0 offset0:160 offset1:176
	s_waitcnt lgkmcnt(0)
	v_mul_f32_e32 v10, v5, v7
	v_fma_f32 v10, v4, v6, -v10
	v_add_f32_e32 v10, v12, v10
	v_mul_f32_e32 v12, v5, v9
	v_mul_f32_e32 v11, v4, v7
	v_fma_f32 v12, v4, v8, -v12
	v_mul_f32_e32 v4, v4, v9
	v_fmac_f32_e32 v11, v5, v6
	v_fmac_f32_e32 v4, v5, v8
	v_add_f32_e32 v11, v13, v11
	v_add_f32_e32 v12, v3, v12
	;; [unrolled: 1-line block ×3, first 2 shown]
	v_mul_f32_e32 v2, v17, v7
	v_mul_f32_e32 v3, v16, v7
	v_fma_f32 v2, v16, v6, -v2
	v_fmac_f32_e32 v3, v17, v6
	v_add_f32_e32 v14, v18, v2
	v_add_f32_e32 v15, v19, v3
	v_mul_f32_e32 v2, v17, v9
	v_mul_f32_e32 v3, v16, v9
	v_fma_f32 v2, v16, v8, -v2
	v_fmac_f32_e32 v3, v17, v8
	v_add_f32_e32 v16, v20, v2
	v_add_f32_e32 v17, v21, v3
	ds_read_b128 v[2:5], v56 offset:240
	ds_read2_b64 v[6:9], v0 offset0:192 offset1:208
	s_waitcnt lgkmcnt(0)
	v_mul_f32_e32 v18, v3, v7
	v_mul_f32_e32 v19, v2, v7
	v_fma_f32 v18, v2, v6, -v18
	v_fmac_f32_e32 v19, v3, v6
	v_add_f32_e32 v18, v10, v18
	v_add_f32_e32 v20, v11, v19
	v_mul_f32_e32 v10, v3, v9
	v_mul_f32_e32 v11, v2, v9
	v_fma_f32 v10, v2, v8, -v10
	v_fmac_f32_e32 v11, v3, v8
	v_add_f32_e32 v2, v12, v10
	v_add_f32_e32 v3, v13, v11
	ds_read_b128 v[10:13], v56 offset:4336
	s_waitcnt lgkmcnt(0)
	v_mul_f32_e32 v19, v11, v7
	v_mul_f32_e32 v7, v10, v7
	v_fmac_f32_e32 v7, v11, v6
	v_fma_f32 v19, v10, v6, -v19
	v_add_f32_e32 v21, v15, v7
	v_mul_f32_e32 v6, v11, v9
	v_mul_f32_e32 v7, v10, v9
	v_fma_f32 v6, v10, v8, -v6
	v_fmac_f32_e32 v7, v11, v8
	v_add_f32_e32 v10, v16, v6
	v_add_f32_e32 v11, v17, v7
	ds_read2_b64 v[6:9], v0 offset0:224 offset1:240
	v_add_f32_e32 v14, v14, v19
	s_waitcnt lgkmcnt(0)
	s_barrier
	v_mul_f32_e32 v0, v5, v7
	v_fma_f32 v0, v4, v6, -v0
	v_add_f32_e32 v19, v18, v0
	v_mul_f32_e32 v0, v5, v9
	v_fma_f32 v0, v4, v8, -v0
	v_mul_f32_e32 v15, v4, v7
	v_add_f32_e32 v17, v2, v0
	v_mul_f32_e32 v0, v13, v7
	v_mul_f32_e32 v2, v12, v7
	v_fmac_f32_e32 v15, v5, v6
	v_fma_f32 v0, v12, v6, -v0
	v_fmac_f32_e32 v2, v13, v6
	v_add_f32_e32 v20, v20, v15
	v_add_f32_e32 v15, v14, v0
	;; [unrolled: 1-line block ×3, first 2 shown]
	v_mul_f32_e32 v0, v13, v9
	v_mul_f32_e32 v2, v12, v9
	v_fma_f32 v0, v12, v8, -v0
	v_fmac_f32_e32 v2, v13, v8
	v_add_f32_e32 v14, v10, v0
	v_add_f32_e32 v0, v11, v2
	v_mov_b32_e32 v2, s35
	v_mul_f32_e32 v4, v4, v9
	v_addc_co_u32_e32 v55, vcc, v55, v2, vcc
	v_fmac_f32_e32 v4, v5, v8
	v_add_co_u32_e32 v42, vcc, 0x100, v42
	v_add_f32_e32 v18, v3, v4
	v_addc_co_u32_e32 v43, vcc, 0, v43, vcc
	s_cbranch_scc1 .LBB85_56
.LBB85_7:                               ;   Parent Loop BB85_4 Depth=1
                                        ; =>  This Inner Loop Header: Depth=2
	v_mov_b32_e32 v3, s47
	v_add_co_u32_e32 v2, vcc, s46, v24
	v_addc_co_u32_e32 v3, vcc, v25, v3, vcc
	v_cmp_eq_u64_e32 vcc, s[46:47], v[36:37]
	v_add_co_u32_e64 v4, s[12:13], v42, v52
	v_addc_co_u32_e64 v5, s[12:13], v43, v53, s[12:13]
	s_and_b64 s[50:51], s[22:23], vcc
	v_cmp_lt_i64_e32 vcc, v[2:3], v[34:35]
	v_cmp_le_i64_e64 s[12:13], s[26:27], v[2:3]
	s_or_b64 s[14:15], s[8:9], vcc
	s_or_b64 s[14:15], s[12:13], s[14:15]
	s_nor_b64 s[14:15], s[14:15], s[50:51]
	s_and_saveexec_b64 s[18:19], s[14:15]
	s_xor_b64 s[14:15], exec, s[18:19]
	s_cbranch_execz .LBB85_9
; %bb.8:                                ;   in Loop: Header=BB85_7 Depth=2
	global_load_dwordx2 v[6:7], v[4:5], off
	s_waitcnt vmcnt(0)
	ds_write_b64 v57, v[6:7]
.LBB85_9:                               ;   in Loop: Header=BB85_7 Depth=2
	s_or_saveexec_b64 s[14:15], s[14:15]
	s_xor_b64 s[54:55], s[50:51], -1
	s_xor_b64 exec, exec, s[14:15]
	s_cbranch_execz .LBB85_15
; %bb.10:                               ;   in Loop: Header=BB85_7 Depth=2
	s_and_saveexec_b64 s[18:19], s[54:55]
	s_xor_b64 s[18:19], exec, s[18:19]
; %bb.11:                               ;   in Loop: Header=BB85_7 Depth=2
	v_mov_b32_e32 v6, v33
	v_mov_b32_e32 v7, v33
	ds_write_b64 v57, v[6:7]
; %bb.12:                               ;   in Loop: Header=BB85_7 Depth=2
	s_andn2_saveexec_b64 s[18:19], s[18:19]
; %bb.13:                               ;   in Loop: Header=BB85_7 Depth=2
	ds_write_b64 v57, v[32:33]
; %bb.14:                               ;   in Loop: Header=BB85_7 Depth=2
	s_or_b64 exec, exec, s[18:19]
.LBB85_15:                              ;   in Loop: Header=BB85_7 Depth=2
	s_or_b64 exec, exec, s[14:15]
	v_add_co_u32_e64 v6, s[18:19], 16, v2
	v_cmp_eq_u64_e64 s[14:15], s[46:47], v[50:51]
	v_addc_co_u32_e64 v7, s[18:19], 0, v3, s[18:19]
	v_cmp_lt_i64_e64 s[18:19], v[6:7], v[34:35]
	s_and_b64 s[20:21], s[22:23], s[14:15]
	v_cmp_le_i64_e64 s[14:15], s[26:27], v[6:7]
	s_or_b64 s[18:19], s[8:9], s[18:19]
	s_or_b64 s[18:19], s[14:15], s[18:19]
	s_nor_b64 s[18:19], s[18:19], s[20:21]
	s_and_saveexec_b64 s[62:63], s[18:19]
	s_xor_b64 s[18:19], exec, s[62:63]
	s_cbranch_execz .LBB85_17
; %bb.16:                               ;   in Loop: Header=BB85_7 Depth=2
	global_load_dwordx2 v[4:5], v[4:5], off offset:128
	s_waitcnt vmcnt(0)
	ds_write_b64 v57, v[4:5] offset:128
.LBB85_17:                              ;   in Loop: Header=BB85_7 Depth=2
	s_andn2_saveexec_b64 s[18:19], s[18:19]
	s_cbranch_execz .LBB85_23
; %bb.18:                               ;   in Loop: Header=BB85_7 Depth=2
	s_xor_b64 s[20:21], s[20:21], -1
	s_and_saveexec_b64 s[62:63], s[20:21]
	s_xor_b64 s[20:21], exec, s[62:63]
; %bb.19:                               ;   in Loop: Header=BB85_7 Depth=2
	v_mov_b32_e32 v4, v33
	v_mov_b32_e32 v5, v33
	ds_write_b64 v57, v[4:5] offset:128
; %bb.20:                               ;   in Loop: Header=BB85_7 Depth=2
	s_andn2_saveexec_b64 s[20:21], s[20:21]
; %bb.21:                               ;   in Loop: Header=BB85_7 Depth=2
	ds_write_b64 v57, v[32:33] offset:128
; %bb.22:                               ;   in Loop: Header=BB85_7 Depth=2
	s_or_b64 exec, exec, s[20:21]
.LBB85_23:                              ;   in Loop: Header=BB85_7 Depth=2
	s_or_b64 exec, exec, s[18:19]
	buffer_load_dword v6, off, s[64:67], 0  ; 4-byte Folded Reload
	buffer_load_dword v7, off, s[64:67], 0 offset:4 ; 4-byte Folded Reload
	v_add_co_u32_e64 v4, s[18:19], v38, v52
	v_addc_co_u32_e64 v5, s[18:19], v39, v53, s[18:19]
	v_cmp_lt_i64_e64 s[20:21], v[2:3], v[46:47]
	s_or_b64 s[20:21], s[10:11], s[20:21]
	s_waitcnt vmcnt(0)
	v_cmp_eq_u64_e64 s[18:19], s[46:47], v[6:7]
	s_and_b64 s[18:19], s[22:23], s[18:19]
	s_or_b64 s[20:21], s[20:21], s[18:19]
	s_nor_b64 s[12:13], s[12:13], s[20:21]
	s_and_saveexec_b64 s[20:21], s[12:13]
	s_xor_b64 s[12:13], exec, s[20:21]
	s_cbranch_execz .LBB85_25
; %bb.24:                               ;   in Loop: Header=BB85_7 Depth=2
	global_load_dwordx2 v[2:3], v[4:5], off
	s_waitcnt vmcnt(0)
	ds_write_b64 v57, v[2:3] offset:4096
.LBB85_25:                              ;   in Loop: Header=BB85_7 Depth=2
	s_andn2_saveexec_b64 s[12:13], s[12:13]
	s_cbranch_execz .LBB85_31
; %bb.26:                               ;   in Loop: Header=BB85_7 Depth=2
	s_xor_b64 s[18:19], s[18:19], -1
	s_and_saveexec_b64 s[20:21], s[18:19]
	s_xor_b64 s[18:19], exec, s[20:21]
; %bb.27:                               ;   in Loop: Header=BB85_7 Depth=2
	v_mov_b32_e32 v2, v33
	v_mov_b32_e32 v3, v33
	ds_write_b64 v57, v[2:3] offset:4096
; %bb.28:                               ;   in Loop: Header=BB85_7 Depth=2
	s_andn2_saveexec_b64 s[18:19], s[18:19]
; %bb.29:                               ;   in Loop: Header=BB85_7 Depth=2
	ds_write_b64 v57, v[32:33] offset:4096
; %bb.30:                               ;   in Loop: Header=BB85_7 Depth=2
	s_or_b64 exec, exec, s[18:19]
.LBB85_31:                              ;   in Loop: Header=BB85_7 Depth=2
	s_or_b64 exec, exec, s[12:13]
	s_or_b64 s[12:13], s[10:11], vcc
	s_or_b64 s[12:13], s[14:15], s[12:13]
	s_nor_b64 s[12:13], s[12:13], s[50:51]
	s_and_saveexec_b64 s[14:15], s[12:13]
	s_xor_b64 s[12:13], exec, s[14:15]
	s_cbranch_execz .LBB85_33
; %bb.32:                               ;   in Loop: Header=BB85_7 Depth=2
	global_load_dwordx2 v[2:3], v[4:5], off offset:128
	s_waitcnt vmcnt(0)
	ds_write_b64 v57, v[2:3] offset:4224
.LBB85_33:                              ;   in Loop: Header=BB85_7 Depth=2
	s_andn2_saveexec_b64 s[12:13], s[12:13]
	s_cbranch_execz .LBB85_39
; %bb.34:                               ;   in Loop: Header=BB85_7 Depth=2
	s_and_saveexec_b64 s[14:15], s[54:55]
	s_xor_b64 s[14:15], exec, s[14:15]
; %bb.35:                               ;   in Loop: Header=BB85_7 Depth=2
	v_mov_b32_e32 v2, v33
	v_mov_b32_e32 v3, v33
	ds_write_b64 v57, v[2:3] offset:4224
; %bb.36:                               ;   in Loop: Header=BB85_7 Depth=2
	s_andn2_saveexec_b64 s[14:15], s[14:15]
; %bb.37:                               ;   in Loop: Header=BB85_7 Depth=2
	ds_write_b64 v57, v[32:33] offset:4224
; %bb.38:                               ;   in Loop: Header=BB85_7 Depth=2
	s_or_b64 exec, exec, s[14:15]
.LBB85_39:                              ;   in Loop: Header=BB85_7 Depth=2
	s_or_b64 exec, exec, s[12:13]
	v_mov_b32_e32 v3, s47
	v_add_co_u32_e32 v2, vcc, s46, v26
	v_addc_co_u32_e32 v3, vcc, v27, v3, vcc
	v_cmp_le_i64_e32 vcc, s[26:27], v[2:3]
	v_add_co_u32_e64 v4, s[12:13], v40, v54
	v_addc_co_u32_e64 v5, s[12:13], v41, v55, s[12:13]
	s_nor_b64 s[12:13], vcc, s[0:1]
	s_and_saveexec_b64 s[14:15], s[12:13]
	s_xor_b64 s[12:13], exec, s[14:15]
	s_cbranch_execz .LBB85_41
; %bb.40:                               ;   in Loop: Header=BB85_7 Depth=2
	global_load_dwordx2 v[6:7], v[4:5], off offset:-128
	s_waitcnt vmcnt(0)
	ds_write_b64 v59, v[6:7]
.LBB85_41:                              ;   in Loop: Header=BB85_7 Depth=2
	s_andn2_saveexec_b64 s[12:13], s[12:13]
; %bb.42:                               ;   in Loop: Header=BB85_7 Depth=2
	v_mov_b32_e32 v6, v33
	v_mov_b32_e32 v7, v33
	ds_write_b64 v59, v[6:7]
; %bb.43:                               ;   in Loop: Header=BB85_7 Depth=2
	s_or_b64 exec, exec, s[12:13]
	s_nor_b64 s[12:13], vcc, s[2:3]
	s_and_saveexec_b64 s[14:15], s[12:13]
	s_xor_b64 s[12:13], exec, s[14:15]
	s_cbranch_execz .LBB85_45
; %bb.44:                               ;   in Loop: Header=BB85_7 Depth=2
	global_load_dwordx2 v[4:5], v[4:5], off
	s_waitcnt vmcnt(0)
	ds_write_b64 v59, v[4:5] offset:128
.LBB85_45:                              ;   in Loop: Header=BB85_7 Depth=2
	s_andn2_saveexec_b64 s[12:13], s[12:13]
; %bb.46:                               ;   in Loop: Header=BB85_7 Depth=2
	v_mov_b32_e32 v4, v33
	v_mov_b32_e32 v5, v33
	ds_write_b64 v59, v[4:5] offset:128
; %bb.47:                               ;   in Loop: Header=BB85_7 Depth=2
	s_or_b64 exec, exec, s[12:13]
	v_cmp_le_i64_e32 vcc, s[52:53], v[2:3]
	v_add_co_u32_e64 v2, s[12:13], v44, v54
	v_addc_co_u32_e64 v3, s[12:13], v45, v55, s[12:13]
	s_nor_b64 s[12:13], vcc, s[0:1]
	s_and_saveexec_b64 s[14:15], s[12:13]
	s_xor_b64 s[12:13], exec, s[14:15]
	s_cbranch_execz .LBB85_49
; %bb.48:                               ;   in Loop: Header=BB85_7 Depth=2
	global_load_dwordx2 v[4:5], v[2:3], off
	s_waitcnt vmcnt(0)
	ds_write_b64 v59, v[4:5] offset:4096
.LBB85_49:                              ;   in Loop: Header=BB85_7 Depth=2
	s_andn2_saveexec_b64 s[12:13], s[12:13]
; %bb.50:                               ;   in Loop: Header=BB85_7 Depth=2
	v_mov_b32_e32 v4, v33
	v_mov_b32_e32 v5, v33
	ds_write_b64 v59, v[4:5] offset:4096
; %bb.51:                               ;   in Loop: Header=BB85_7 Depth=2
	s_or_b64 exec, exec, s[12:13]
	s_nor_b64 s[12:13], vcc, s[2:3]
	s_and_saveexec_b64 s[14:15], s[12:13]
	s_xor_b64 s[12:13], exec, s[14:15]
	s_cbranch_execz .LBB85_53
; %bb.52:                               ;   in Loop: Header=BB85_7 Depth=2
	global_load_dwordx2 v[2:3], v[2:3], off offset:128
	s_waitcnt vmcnt(0)
	ds_write_b64 v59, v[2:3] offset:4224
.LBB85_53:                              ;   in Loop: Header=BB85_7 Depth=2
	s_andn2_saveexec_b64 s[12:13], s[12:13]
	s_cbranch_execz .LBB85_6
; %bb.54:                               ;   in Loop: Header=BB85_7 Depth=2
	v_mov_b32_e32 v2, v33
	v_mov_b32_e32 v3, v33
	ds_write_b64 v59, v[2:3] offset:4224
	s_branch .LBB85_6
.LBB85_55:                              ;   in Loop: Header=BB85_4 Depth=1
	v_mov_b32_e32 v19, 0
	v_mov_b32_e32 v20, 0
	;; [unrolled: 1-line block ×8, first 2 shown]
.LBB85_56:                              ;   in Loop: Header=BB85_4 Depth=1
	v_mul_lo_u32 v4, s25, v34
	v_mul_lo_u32 v5, s24, v35
	v_mad_u64_u32 v[2:3], s[8:9], s24, v34, 0
	v_cmp_gt_i32_e32 vcc, s30, v34
	v_add3_u32 v3, v3, v5, v4
	v_lshlrev_b64 v[2:3], 3, v[2:3]
	v_mov_b32_e32 v4, s58
	v_add_co_u32_e64 v2, s[8:9], s57, v2
	v_addc_co_u32_e64 v3, s[8:9], v4, v3, s[8:9]
	s_and_b64 s[8:9], s[4:5], vcc
	s_and_saveexec_b64 s[10:11], s[8:9]
	s_cbranch_execz .LBB85_58
; %bb.57:                               ;   in Loop: Header=BB85_4 Depth=1
	buffer_load_dword v4, off, s[64:67], 0 offset:16 ; 4-byte Folded Reload
	buffer_load_dword v5, off, s[64:67], 0 offset:20 ; 4-byte Folded Reload
	v_mul_f32_e32 v8, s33, v20
	v_mul_f32_e32 v9, s31, v20
	v_fma_f32 v8, v19, s31, -v8
	v_fmac_f32_e32 v9, s33, v19
	s_waitcnt vmcnt(1)
	v_add_co_u32_e64 v4, s[8:9], v2, v4
	s_waitcnt vmcnt(0)
	v_addc_co_u32_e64 v5, s[8:9], v3, v5, s[8:9]
	global_load_dwordx2 v[6:7], v[4:5], off
	s_waitcnt vmcnt(0)
	v_add_f32_e32 v6, v6, v8
	v_add_f32_e32 v7, v9, v7
	global_store_dwordx2 v[4:5], v[6:7], off
.LBB85_58:                              ;   in Loop: Header=BB85_4 Depth=1
	s_or_b64 exec, exec, s[10:11]
	s_and_b64 s[10:11], s[16:17], vcc
	s_and_saveexec_b64 s[8:9], s[10:11]
	s_cbranch_execz .LBB85_60
; %bb.59:                               ;   in Loop: Header=BB85_4 Depth=1
	buffer_load_dword v4, off, s[64:67], 0 offset:8 ; 4-byte Folded Reload
	buffer_load_dword v5, off, s[64:67], 0 offset:12 ; 4-byte Folded Reload
	v_mul_f32_e32 v6, s33, v18
	v_mul_f32_e32 v7, s31, v18
	v_fma_f32 v6, v17, s31, -v6
	v_fmac_f32_e32 v7, s33, v17
	s_waitcnt vmcnt(0)
	v_lshlrev_b64 v[4:5], 3, v[4:5]
	v_add_co_u32_e32 v2, vcc, v2, v4
	v_addc_co_u32_e32 v3, vcc, v3, v5, vcc
	global_load_dwordx2 v[4:5], v[2:3], off
	s_waitcnt vmcnt(0)
	v_add_f32_e32 v4, v4, v6
	v_add_f32_e32 v5, v7, v5
	global_store_dwordx2 v[2:3], v[4:5], off
.LBB85_60:                              ;   in Loop: Header=BB85_4 Depth=1
	s_or_b64 exec, exec, s[8:9]
	v_add_u32_e32 v4, 16, v34
	v_ashrrev_i32_e32 v2, 31, v4
	v_mul_lo_u32 v5, s24, v2
	v_mul_lo_u32 v6, s25, v4
	v_mad_u64_u32 v[2:3], s[8:9], s24, v4, 0
	v_cmp_gt_i32_e32 vcc, s30, v4
	v_mov_b32_e32 v4, s58
	v_add3_u32 v3, v3, v5, v6
	v_lshlrev_b64 v[2:3], 3, v[2:3]
	v_add_co_u32_e64 v2, s[8:9], s57, v2
	v_addc_co_u32_e64 v3, s[8:9], v4, v3, s[8:9]
	s_and_b64 s[8:9], s[4:5], vcc
	s_and_saveexec_b64 s[10:11], s[8:9]
	s_cbranch_execz .LBB85_62
; %bb.61:                               ;   in Loop: Header=BB85_4 Depth=1
	buffer_load_dword v4, off, s[64:67], 0 offset:16 ; 4-byte Folded Reload
	buffer_load_dword v5, off, s[64:67], 0 offset:20 ; 4-byte Folded Reload
	v_mul_f32_e32 v8, s33, v16
	v_mul_f32_e32 v9, s31, v16
	v_fma_f32 v8, v15, s31, -v8
	v_fmac_f32_e32 v9, s33, v15
	s_waitcnt vmcnt(1)
	v_add_co_u32_e64 v4, s[8:9], v2, v4
	s_waitcnt vmcnt(0)
	v_addc_co_u32_e64 v5, s[8:9], v3, v5, s[8:9]
	global_load_dwordx2 v[6:7], v[4:5], off
	s_waitcnt vmcnt(0)
	v_add_f32_e32 v6, v6, v8
	v_add_f32_e32 v7, v9, v7
	global_store_dwordx2 v[4:5], v[6:7], off
.LBB85_62:                              ;   in Loop: Header=BB85_4 Depth=1
	s_or_b64 exec, exec, s[10:11]
	s_and_b64 s[10:11], s[16:17], vcc
	s_and_saveexec_b64 s[8:9], s[10:11]
	s_cbranch_execz .LBB85_3
; %bb.63:                               ;   in Loop: Header=BB85_4 Depth=1
	buffer_load_dword v4, off, s[64:67], 0 offset:8 ; 4-byte Folded Reload
	buffer_load_dword v5, off, s[64:67], 0 offset:12 ; 4-byte Folded Reload
	v_mul_f32_e32 v6, s33, v0
	v_mul_f32_e32 v0, s31, v0
	v_fma_f32 v6, v14, s31, -v6
	v_fmac_f32_e32 v0, s33, v14
	s_waitcnt vmcnt(0)
	v_lshlrev_b64 v[4:5], 3, v[4:5]
	v_add_co_u32_e32 v2, vcc, v2, v4
	v_addc_co_u32_e32 v3, vcc, v3, v5, vcc
	global_load_dwordx2 v[4:5], v[2:3], off
	s_waitcnt vmcnt(0)
	v_add_f32_e32 v4, v4, v6
	v_add_f32_e32 v5, v0, v5
	global_store_dwordx2 v[2:3], v[4:5], off
	s_branch .LBB85_3
.LBB85_64:
	s_endpgm
	.section	.rodata,"a",@progbits
	.p2align	6, 0x0
	.amdhsa_kernel _ZL30rocblas_trmm_outofplace_kernelI19rocblas_complex_numIfELi32ELi2ELb0ELb0ELb0ELb0ES1_KS1_S1_Ev17rocblas_diagonal_iiT6_lPT7_lllS6_lllPT8_llli
		.amdhsa_group_segment_fixed_size 16384
		.amdhsa_private_segment_fixed_size 36
		.amdhsa_kernarg_size 392
		.amdhsa_user_sgpr_count 6
		.amdhsa_user_sgpr_private_segment_buffer 1
		.amdhsa_user_sgpr_dispatch_ptr 0
		.amdhsa_user_sgpr_queue_ptr 0
		.amdhsa_user_sgpr_kernarg_segment_ptr 1
		.amdhsa_user_sgpr_dispatch_id 0
		.amdhsa_user_sgpr_flat_scratch_init 0
		.amdhsa_user_sgpr_private_segment_size 0
		.amdhsa_uses_dynamic_stack 0
		.amdhsa_system_sgpr_private_segment_wavefront_offset 1
		.amdhsa_system_sgpr_workgroup_id_x 1
		.amdhsa_system_sgpr_workgroup_id_y 1
		.amdhsa_system_sgpr_workgroup_id_z 1
		.amdhsa_system_sgpr_workgroup_info 0
		.amdhsa_system_vgpr_workitem_id 1
		.amdhsa_next_free_vgpr 64
		.amdhsa_next_free_sgpr 68
		.amdhsa_reserve_vcc 1
		.amdhsa_reserve_flat_scratch 0
		.amdhsa_float_round_mode_32 0
		.amdhsa_float_round_mode_16_64 0
		.amdhsa_float_denorm_mode_32 3
		.amdhsa_float_denorm_mode_16_64 3
		.amdhsa_dx10_clamp 1
		.amdhsa_ieee_mode 1
		.amdhsa_fp16_overflow 0
		.amdhsa_exception_fp_ieee_invalid_op 0
		.amdhsa_exception_fp_denorm_src 0
		.amdhsa_exception_fp_ieee_div_zero 0
		.amdhsa_exception_fp_ieee_overflow 0
		.amdhsa_exception_fp_ieee_underflow 0
		.amdhsa_exception_fp_ieee_inexact 0
		.amdhsa_exception_int_div_zero 0
	.end_amdhsa_kernel
	.section	.text._ZL30rocblas_trmm_outofplace_kernelI19rocblas_complex_numIfELi32ELi2ELb0ELb0ELb0ELb0ES1_KS1_S1_Ev17rocblas_diagonal_iiT6_lPT7_lllS6_lllPT8_llli,"axG",@progbits,_ZL30rocblas_trmm_outofplace_kernelI19rocblas_complex_numIfELi32ELi2ELb0ELb0ELb0ELb0ES1_KS1_S1_Ev17rocblas_diagonal_iiT6_lPT7_lllS6_lllPT8_llli,comdat
.Lfunc_end85:
	.size	_ZL30rocblas_trmm_outofplace_kernelI19rocblas_complex_numIfELi32ELi2ELb0ELb0ELb0ELb0ES1_KS1_S1_Ev17rocblas_diagonal_iiT6_lPT7_lllS6_lllPT8_llli, .Lfunc_end85-_ZL30rocblas_trmm_outofplace_kernelI19rocblas_complex_numIfELi32ELi2ELb0ELb0ELb0ELb0ES1_KS1_S1_Ev17rocblas_diagonal_iiT6_lPT7_lllS6_lllPT8_llli
                                        ; -- End function
	.set _ZL30rocblas_trmm_outofplace_kernelI19rocblas_complex_numIfELi32ELi2ELb0ELb0ELb0ELb0ES1_KS1_S1_Ev17rocblas_diagonal_iiT6_lPT7_lllS6_lllPT8_llli.num_vgpr, 64
	.set _ZL30rocblas_trmm_outofplace_kernelI19rocblas_complex_numIfELi32ELi2ELb0ELb0ELb0ELb0ES1_KS1_S1_Ev17rocblas_diagonal_iiT6_lPT7_lllS6_lllPT8_llli.num_agpr, 0
	.set _ZL30rocblas_trmm_outofplace_kernelI19rocblas_complex_numIfELi32ELi2ELb0ELb0ELb0ELb0ES1_KS1_S1_Ev17rocblas_diagonal_iiT6_lPT7_lllS6_lllPT8_llli.numbered_sgpr, 68
	.set _ZL30rocblas_trmm_outofplace_kernelI19rocblas_complex_numIfELi32ELi2ELb0ELb0ELb0ELb0ES1_KS1_S1_Ev17rocblas_diagonal_iiT6_lPT7_lllS6_lllPT8_llli.num_named_barrier, 0
	.set _ZL30rocblas_trmm_outofplace_kernelI19rocblas_complex_numIfELi32ELi2ELb0ELb0ELb0ELb0ES1_KS1_S1_Ev17rocblas_diagonal_iiT6_lPT7_lllS6_lllPT8_llli.private_seg_size, 36
	.set _ZL30rocblas_trmm_outofplace_kernelI19rocblas_complex_numIfELi32ELi2ELb0ELb0ELb0ELb0ES1_KS1_S1_Ev17rocblas_diagonal_iiT6_lPT7_lllS6_lllPT8_llli.uses_vcc, 1
	.set _ZL30rocblas_trmm_outofplace_kernelI19rocblas_complex_numIfELi32ELi2ELb0ELb0ELb0ELb0ES1_KS1_S1_Ev17rocblas_diagonal_iiT6_lPT7_lllS6_lllPT8_llli.uses_flat_scratch, 0
	.set _ZL30rocblas_trmm_outofplace_kernelI19rocblas_complex_numIfELi32ELi2ELb0ELb0ELb0ELb0ES1_KS1_S1_Ev17rocblas_diagonal_iiT6_lPT7_lllS6_lllPT8_llli.has_dyn_sized_stack, 0
	.set _ZL30rocblas_trmm_outofplace_kernelI19rocblas_complex_numIfELi32ELi2ELb0ELb0ELb0ELb0ES1_KS1_S1_Ev17rocblas_diagonal_iiT6_lPT7_lllS6_lllPT8_llli.has_recursion, 0
	.set _ZL30rocblas_trmm_outofplace_kernelI19rocblas_complex_numIfELi32ELi2ELb0ELb0ELb0ELb0ES1_KS1_S1_Ev17rocblas_diagonal_iiT6_lPT7_lllS6_lllPT8_llli.has_indirect_call, 0
	.section	.AMDGPU.csdata,"",@progbits
; Kernel info:
; codeLenInByte = 6632
; TotalNumSgprs: 72
; NumVgprs: 64
; ScratchSize: 36
; MemoryBound: 1
; FloatMode: 240
; IeeeMode: 1
; LDSByteSize: 16384 bytes/workgroup (compile time only)
; SGPRBlocks: 8
; VGPRBlocks: 15
; NumSGPRsForWavesPerEU: 72
; NumVGPRsForWavesPerEU: 64
; Occupancy: 4
; WaveLimiterHint : 0
; COMPUTE_PGM_RSRC2:SCRATCH_EN: 1
; COMPUTE_PGM_RSRC2:USER_SGPR: 6
; COMPUTE_PGM_RSRC2:TRAP_HANDLER: 0
; COMPUTE_PGM_RSRC2:TGID_X_EN: 1
; COMPUTE_PGM_RSRC2:TGID_Y_EN: 1
; COMPUTE_PGM_RSRC2:TGID_Z_EN: 1
; COMPUTE_PGM_RSRC2:TIDIG_COMP_CNT: 1
	.section	.text._ZL30rocblas_trmm_outofplace_kernelI19rocblas_complex_numIfELi32ELi2ELb0ELb1ELb0ELb0EPKS1_S2_S1_Ev17rocblas_diagonal_iiT6_lPT7_lllS7_lllPT8_llli,"axG",@progbits,_ZL30rocblas_trmm_outofplace_kernelI19rocblas_complex_numIfELi32ELi2ELb0ELb1ELb0ELb0EPKS1_S2_S1_Ev17rocblas_diagonal_iiT6_lPT7_lllS7_lllPT8_llli,comdat
	.globl	_ZL30rocblas_trmm_outofplace_kernelI19rocblas_complex_numIfELi32ELi2ELb0ELb1ELb0ELb0EPKS1_S2_S1_Ev17rocblas_diagonal_iiT6_lPT7_lllS7_lllPT8_llli ; -- Begin function _ZL30rocblas_trmm_outofplace_kernelI19rocblas_complex_numIfELi32ELi2ELb0ELb1ELb0ELb0EPKS1_S2_S1_Ev17rocblas_diagonal_iiT6_lPT7_lllS7_lllPT8_llli
	.p2align	8
	.type	_ZL30rocblas_trmm_outofplace_kernelI19rocblas_complex_numIfELi32ELi2ELb0ELb1ELb0ELb0EPKS1_S2_S1_Ev17rocblas_diagonal_iiT6_lPT7_lllS7_lllPT8_llli,@function
_ZL30rocblas_trmm_outofplace_kernelI19rocblas_complex_numIfELi32ELi2ELb0ELb1ELb0ELb0EPKS1_S2_S1_Ev17rocblas_diagonal_iiT6_lPT7_lllS7_lllPT8_llli: ; @_ZL30rocblas_trmm_outofplace_kernelI19rocblas_complex_numIfELi32ELi2ELb0ELb1ELb0ELb0EPKS1_S2_S1_Ev17rocblas_diagonal_iiT6_lPT7_lllS7_lllPT8_llli
; %bb.0:
	s_load_dwordx16 s[16:31], s[4:5], 0x10
	s_mov_b64 s[58:59], s[2:3]
	s_mov_b64 s[56:57], s[0:1]
	s_add_u32 s56, s56, s9
	s_addc_u32 s57, s57, 0
	s_waitcnt lgkmcnt(0)
	s_mul_i32 s0, s19, s8
	s_mul_hi_u32 s1, s18, s8
	s_add_i32 s1, s1, s0
	s_mul_i32 s0, s18, s8
	s_lshl_b64 s[0:1], s[0:1], 3
	s_add_u32 s0, s16, s0
	s_addc_u32 s1, s17, s1
	s_load_dwordx2 s[34:35], s[0:1], 0x0
	s_waitcnt lgkmcnt(0)
	s_or_b32 s0, s34, s35
	s_bitset0_b32 s0, 31
	s_cmp_eq_u32 s0, 0
	s_cbranch_scc1 .LBB86_63
; %bb.1:
	s_load_dwordx4 s[36:39], s[4:5], 0x0
	s_waitcnt lgkmcnt(0)
	s_add_i32 s0, s38, -1
	s_ashr_i32 s1, s0, 31
	s_lshr_b32 s1, s1, 27
	s_add_i32 s0, s0, s1
	s_ashr_i32 s33, s0, 5
	s_cmp_gt_i32 s7, s33
	s_cbranch_scc1 .LBB86_63
; %bb.2:
	s_load_dwordx8 s[12:19], s[4:5], 0x50
	s_load_dwordx4 s[40:43], s[4:5], 0x70
	v_lshl_add_u32 v2, s6, 5, v0
	v_ashrrev_i32_e32 v3, 31, v2
	v_lshlrev_b64 v[5:6], 3, v[2:3]
	s_waitcnt lgkmcnt(0)
	s_mul_i32 s1, s15, s8
	s_mul_hi_u32 s2, s14, s8
	s_mul_i32 s0, s14, s8
	s_add_i32 s1, s2, s1
	s_lshl_b64 s[0:1], s[0:1], 3
	s_add_u32 s2, s28, s0
	s_addc_u32 s3, s29, s1
	s_lshl_b64 s[0:1], s[30:31], 3
	s_add_u32 s2, s2, s0
	s_load_dword s48, s[4:5], 0x8c
	v_add_co_u32_e32 v7, vcc, s2, v5
	buffer_store_dword v5, off, s[56:59], 0 ; 4-byte Folded Spill
	s_nop 0
	buffer_store_dword v6, off, s[56:59], 0 offset:4 ; 4-byte Folded Spill
	s_addc_u32 s3, s3, s1
	s_mul_i32 s0, s43, s8
	s_mul_hi_u32 s1, s42, s8
	s_add_i32 s1, s1, s0
	s_mul_i32 s0, s42, s8
	s_lshl_b64 s[0:1], s[0:1], 3
	s_add_u32 s4, s16, s0
	s_addc_u32 s5, s17, s1
	s_lshl_b64 s[0:1], s[18:19], 3
	s_add_u32 s49, s4, s0
	s_addc_u32 s50, s5, s1
	v_mov_b32_e32 v4, s3
	s_cmpk_eq_i32 s36, 0x84
	s_cselect_b64 s[28:29], -1, 0
	s_ashr_i32 s0, s37, 31
	v_mov_b32_e32 v5, s0
	s_ashr_i32 s39, s38, 31
	s_lshl_b64 s[30:31], s[12:13], 8
	s_add_u32 s42, s38, -16
	s_mul_i32 s9, s27, s8
	s_addc_u32 s43, s39, -1
	s_waitcnt lgkmcnt(0)
	s_lshl_b32 s6, s48, 5
	v_cmp_gt_i32_e64 s[4:5], s37, v2
	v_lshlrev_b32_e32 v50, 3, v0
	v_lshlrev_b32_e32 v49, 8, v1
	v_or_b32_e32 v52, 0x2000, v50
	v_mov_b32_e32 v23, 0
	v_add_u32_e32 v51, v49, v50
	v_add_u32_e32 v53, v52, v49
	v_lshl_add_u32 v28, s7, 5, v1
	v_mov_b32_e32 v22, 1.0
	s_movk_i32 s51, 0x100
	v_addc_co_u32_e32 v8, vcc, v4, v6, vcc
	v_sub_co_u32_e32 v4, vcc, s37, v2
	v_subb_co_u32_e32 v5, vcc, v5, v3, vcc
	v_cmp_gt_i64_e64 s[0:1], 1, v[4:5]
	v_cmp_gt_i64_e64 s[2:3], 17, v[4:5]
	v_sub_co_u32_e32 v4, vcc, 0, v0
	buffer_store_dword v7, off, s[56:59], 0 offset:8 ; 4-byte Folded Spill
	s_nop 0
	buffer_store_dword v8, off, s[56:59], 0 offset:12 ; 4-byte Folded Spill
	buffer_store_dword v4, off, s[56:59], 0 offset:16 ; 4-byte Folded Spill
	v_subb_co_u32_e64 v4, s[10:11], 0, 0, vcc
	s_mul_hi_u32 s10, s26, s8
	s_add_i32 s9, s10, s9
	s_mul_i32 s8, s26, s8
	buffer_store_dword v4, off, s[56:59], 0 offset:20 ; 4-byte Folded Spill
	s_lshl_b64 s[8:9], s[8:9], 3
	s_lshl_b64 s[10:11], s[22:23], 3
	v_mad_u64_u32 v[4:5], s[14:15], s12, v1, 0
	s_add_u32 s8, s8, s10
	s_addc_u32 s9, s9, s11
	s_add_u32 s22, s20, s8
	s_addc_u32 s23, s21, s9
	v_mad_u64_u32 v[5:6], s[8:9], s13, v1, v[5:6]
	v_mov_b32_e32 v6, 0x80
	v_lshl_add_u32 v7, v1, 3, v6
	v_mad_u64_u32 v[30:31], s[8:9], s12, v7, 0
	v_add_u32_e32 v2, 16, v2
	v_lshlrev_b64 v[4:5], 3, v[4:5]
	v_mov_b32_e32 v6, v31
	v_mad_u64_u32 v[6:7], s[8:9], s13, v7, v[6:7]
	v_ashrrev_i32_e32 v3, 31, v2
	s_movk_i32 s10, 0x80
	v_add_co_u32_e32 v56, vcc, s10, v4
	v_lshlrev_b64 v[31:32], 3, v[2:3]
	v_cmp_gt_i32_e64 s[16:17], s37, v2
	v_addc_co_u32_e32 v57, vcc, 0, v5, vcc
	s_lshl_b64 s[26:27], s[24:25], 3
	v_mov_b32_e32 v58, v6
	s_branch .LBB86_4
.LBB86_3:                               ;   in Loop: Header=BB86_4 Depth=1
	s_or_b64 exec, exec, s[8:9]
	s_add_i32 s7, s48, s7
	s_cmp_le_i32 s7, s33
	v_add_u32_e32 v28, s6, v28
	s_cbranch_scc0 .LBB86_63
.LBB86_4:                               ; =>This Loop Header: Depth=1
                                        ;     Child Loop BB86_7 Depth 2
	s_lshl_b32 s52, s7, 5
	v_add_u32_e32 v33, s52, v1
	v_ashrrev_i32_e32 v34, 31, v33
	s_cmp_lt_i32 s7, 0
	v_mov_b32_e32 v20, v23
	v_mov_b32_e32 v21, v23
	;; [unrolled: 1-line block ×8, first 2 shown]
	s_cbranch_scc1 .LBB86_55
; %bb.5:                                ;   in Loop: Header=BB86_4 Depth=1
	v_ashrrev_i32_e32 v29, 31, v28
	v_lshlrev_b64 v[2:3], 3, v[28:29]
	v_mov_b32_e32 v14, 0
	v_add_co_u32_e32 v4, vcc, 0x80, v2
	v_addc_co_u32_e32 v2, vcc, 0, v3, vcc
	v_mul_lo_u32 v5, s24, v2
	v_mov_b32_e32 v2, s22
	v_mov_b32_e32 v3, s23
	v_mul_lo_u32 v6, s25, v4
	v_mad_u64_u32 v[35:36], s[8:9], s24, v4, v[2:3]
	buffer_load_dword v4, off, s[56:59], 0 offset:16 ; 4-byte Folded Reload
	v_mad_u64_u32 v[37:38], s[8:9], s26, v28, v[2:3]
	v_mul_lo_u32 v2, s27, v28
	v_mul_lo_u32 v3, s26, v29
	v_add3_u32 v36, v6, v36, v5
	v_cmp_le_i32_e64 s[8:9], s38, v33
	s_mov_b64 s[36:37], 0
	v_add3_u32 v38, v2, v38, v3
	v_mov_b32_e32 v15, 0
	v_mov_b32_e32 v17, 0
	v_mov_b32_e32 v16, 0
	v_mov_b32_e32 v19, 0
	v_mov_b32_e32 v18, 0
	v_mov_b32_e32 v21, 0
	v_mov_b32_e32 v20, 0
	s_waitcnt vmcnt(0)
	v_add_co_u32_e32 v39, vcc, v4, v28
	buffer_load_dword v4, off, s[56:59], 0 offset:20 ; 4-byte Folded Reload
	buffer_load_dword v47, off, s[56:59], 0 offset:8 ; 4-byte Folded Reload
	;; [unrolled: 1-line block ×3, first 2 shown]
	s_waitcnt vmcnt(2)
	v_addc_co_u32_e32 v40, vcc, v4, v29, vcc
	v_add_co_u32_e32 v41, vcc, 16, v33
	v_addc_co_u32_e32 v42, vcc, 0, v34, vcc
	v_add_co_u32_e32 v43, vcc, 16, v39
	v_addc_co_u32_e32 v44, vcc, 0, v40, vcc
	v_cmp_le_i64_e64 s[10:11], s[38:39], v[41:42]
	v_add_co_u32_e32 v45, vcc, -16, v39
	v_addc_co_u32_e32 v46, vcc, -1, v40, vcc
	s_branch .LBB86_7
.LBB86_6:                               ;   in Loop: Header=BB86_7 Depth=2
	s_or_b64 exec, exec, s[12:13]
	s_waitcnt lgkmcnt(0)
	s_barrier
	ds_read_b128 v[59:62], v49
	ds_read_b128 v[10:13], v49 offset:16
	ds_read_b128 v[6:9], v49 offset:32
	;; [unrolled: 1-line block ×3, first 2 shown]
	ds_read2_b64 v[24:27], v52 offset1:16
	v_add_co_u32_e32 v35, vcc, s51, v35
	v_addc_co_u32_e32 v36, vcc, 0, v36, vcc
	s_waitcnt lgkmcnt(0)
	v_mul_f32_e32 v29, v60, v25
	v_mul_f32_e32 v63, v59, v25
	v_fma_f32 v29, v59, v24, -v29
	v_fmac_f32_e32 v63, v60, v24
	v_add_f32_e32 v29, v20, v29
	v_add_f32_e32 v63, v21, v63
	v_mul_f32_e32 v20, v60, v27
	v_mul_f32_e32 v21, v59, v27
	v_fma_f32 v20, v59, v26, -v20
	v_fmac_f32_e32 v21, v60, v26
	v_add_f32_e32 v59, v18, v20
	v_add_f32_e32 v60, v19, v21
	ds_read_b128 v[18:21], v49 offset:4096
	v_add_co_u32_e32 v47, vcc, s30, v47
	s_add_u32 s36, s36, 32
	s_addc_u32 s37, s37, 0
	s_waitcnt lgkmcnt(0)
	v_mul_f32_e32 v54, v19, v25
	v_mul_f32_e32 v25, v18, v25
	v_fma_f32 v54, v18, v24, -v54
	v_fmac_f32_e32 v25, v19, v24
	v_add_f32_e32 v24, v16, v54
	v_add_f32_e32 v25, v17, v25
	v_mul_f32_e32 v16, v19, v27
	v_mul_f32_e32 v17, v18, v27
	v_fma_f32 v16, v18, v26, -v16
	v_fmac_f32_e32 v17, v19, v26
	v_add_f32_e32 v18, v15, v16
	v_add_f32_e32 v19, v14, v17
	ds_read2_b64 v[14:17], v52 offset0:32 offset1:48
	s_sub_i32 s12, s36, 32
	s_cmp_ge_i32 s12, s52
	s_waitcnt lgkmcnt(0)
	v_mul_f32_e32 v26, v62, v15
	v_fma_f32 v26, v61, v14, -v26
	v_add_f32_e32 v26, v29, v26
	v_mul_f32_e32 v29, v62, v17
	v_fma_f32 v29, v61, v16, -v29
	v_mul_f32_e32 v27, v61, v15
	v_add_f32_e32 v55, v59, v29
	v_mul_f32_e32 v29, v21, v15
	v_mul_f32_e32 v15, v20, v15
	v_fmac_f32_e32 v15, v21, v14
	v_fmac_f32_e32 v27, v62, v14
	v_mul_f32_e32 v54, v61, v17
	v_fma_f32 v29, v20, v14, -v29
	v_add_f32_e32 v61, v25, v15
	v_mul_f32_e32 v14, v21, v17
	v_mul_f32_e32 v15, v20, v17
	v_fma_f32 v14, v20, v16, -v14
	v_fmac_f32_e32 v15, v21, v16
	v_add_f32_e32 v27, v63, v27
	v_fmac_f32_e32 v54, v62, v16
	v_add_f32_e32 v62, v18, v14
	v_add_f32_e32 v63, v19, v15
	ds_read2_b64 v[14:17], v52 offset0:64 offset1:80
	v_add_f32_e32 v54, v60, v54
	v_add_f32_e32 v60, v24, v29
	s_waitcnt lgkmcnt(0)
	v_mul_f32_e32 v18, v11, v15
	v_mul_f32_e32 v19, v10, v15
	v_fma_f32 v18, v10, v14, -v18
	v_fmac_f32_e32 v19, v11, v14
	v_add_f32_e32 v29, v26, v18
	v_add_f32_e32 v59, v27, v19
	v_mul_f32_e32 v18, v11, v17
	v_mul_f32_e32 v19, v10, v17
	v_fma_f32 v18, v10, v16, -v18
	v_fmac_f32_e32 v19, v11, v16
	v_add_f32_e32 v10, v55, v18
	v_add_f32_e32 v11, v54, v19
	ds_read_b128 v[18:21], v49 offset:4112
	s_waitcnt lgkmcnt(0)
	v_mul_f32_e32 v24, v19, v15
	v_mul_f32_e32 v15, v18, v15
	v_fmac_f32_e32 v15, v19, v14
	v_fma_f32 v24, v18, v14, -v24
	v_add_f32_e32 v25, v61, v15
	v_mul_f32_e32 v14, v19, v17
	v_mul_f32_e32 v15, v18, v17
	v_fma_f32 v14, v18, v16, -v14
	v_fmac_f32_e32 v15, v19, v16
	v_add_f32_e32 v18, v62, v14
	v_add_f32_e32 v19, v63, v15
	ds_read2_b64 v[14:17], v52 offset0:96 offset1:112
	v_add_f32_e32 v24, v60, v24
	s_waitcnt lgkmcnt(0)
	v_mul_f32_e32 v26, v13, v15
	v_fma_f32 v26, v12, v14, -v26
	v_add_f32_e32 v26, v29, v26
	v_mul_f32_e32 v29, v13, v17
	v_mul_f32_e32 v27, v12, v15
	v_fma_f32 v29, v12, v16, -v29
	v_mul_f32_e32 v12, v12, v17
	v_fmac_f32_e32 v12, v13, v16
	v_add_f32_e32 v29, v10, v29
	v_add_f32_e32 v54, v11, v12
	v_mul_f32_e32 v10, v21, v15
	v_mul_f32_e32 v11, v20, v15
	v_fma_f32 v10, v20, v14, -v10
	v_fmac_f32_e32 v11, v21, v14
	v_fmac_f32_e32 v27, v13, v14
	v_add_f32_e32 v14, v24, v10
	v_add_f32_e32 v15, v25, v11
	v_mul_f32_e32 v10, v21, v17
	v_mul_f32_e32 v11, v20, v17
	v_fma_f32 v10, v20, v16, -v10
	v_fmac_f32_e32 v11, v21, v16
	v_add_f32_e32 v20, v18, v10
	v_add_f32_e32 v21, v19, v11
	ds_read2_b64 v[10:13], v52 offset0:128 offset1:144
	v_add_f32_e32 v27, v59, v27
	s_waitcnt lgkmcnt(0)
	v_mul_f32_e32 v16, v7, v11
	v_fma_f32 v16, v6, v10, -v16
	v_mul_f32_e32 v17, v6, v11
	v_add_f32_e32 v24, v26, v16
	v_mul_f32_e32 v16, v7, v13
	v_fmac_f32_e32 v17, v7, v10
	v_fma_f32 v16, v6, v12, -v16
	v_mul_f32_e32 v6, v6, v13
	v_add_f32_e32 v25, v27, v17
	v_fmac_f32_e32 v6, v7, v12
	v_add_f32_e32 v7, v29, v16
	ds_read_b128 v[16:19], v49 offset:4128
	v_add_f32_e32 v6, v54, v6
	s_waitcnt lgkmcnt(0)
	v_mul_f32_e32 v26, v17, v11
	v_mul_f32_e32 v11, v16, v11
	v_fmac_f32_e32 v11, v17, v10
	v_fma_f32 v26, v16, v10, -v26
	v_add_f32_e32 v15, v15, v11
	v_mul_f32_e32 v10, v17, v13
	v_mul_f32_e32 v11, v16, v13
	v_fma_f32 v10, v16, v12, -v10
	v_fmac_f32_e32 v11, v17, v12
	v_add_f32_e32 v20, v20, v10
	v_add_f32_e32 v21, v21, v11
	ds_read2_b64 v[10:13], v52 offset0:160 offset1:176
	v_add_f32_e32 v14, v14, v26
	s_waitcnt lgkmcnt(0)
	v_mul_f32_e32 v16, v9, v11
	v_fma_f32 v16, v8, v10, -v16
	v_add_f32_e32 v24, v24, v16
	v_mul_f32_e32 v16, v9, v13
	v_mul_f32_e32 v17, v8, v11
	v_fma_f32 v16, v8, v12, -v16
	v_mul_f32_e32 v8, v8, v13
	v_fmac_f32_e32 v8, v9, v12
	v_add_f32_e32 v26, v7, v16
	v_add_f32_e32 v27, v6, v8
	v_mul_f32_e32 v6, v19, v11
	v_mul_f32_e32 v7, v18, v11
	v_fmac_f32_e32 v17, v9, v10
	v_fma_f32 v6, v18, v10, -v6
	v_fmac_f32_e32 v7, v19, v10
	v_add_f32_e32 v25, v25, v17
	v_add_f32_e32 v16, v14, v6
	;; [unrolled: 1-line block ×3, first 2 shown]
	v_mul_f32_e32 v6, v19, v13
	v_mul_f32_e32 v7, v18, v13
	v_fma_f32 v6, v18, v12, -v6
	v_fmac_f32_e32 v7, v19, v12
	v_add_f32_e32 v18, v20, v6
	v_add_f32_e32 v19, v21, v7
	ds_read2_b64 v[6:9], v52 offset0:192 offset1:208
	s_waitcnt lgkmcnt(0)
	v_mul_f32_e32 v10, v3, v7
	v_mul_f32_e32 v11, v2, v7
	v_fma_f32 v10, v2, v6, -v10
	v_fmac_f32_e32 v11, v3, v6
	v_add_f32_e32 v14, v24, v10
	v_add_f32_e32 v15, v25, v11
	v_mul_f32_e32 v10, v3, v9
	v_mul_f32_e32 v11, v2, v9
	v_fma_f32 v10, v2, v8, -v10
	v_fmac_f32_e32 v11, v3, v8
	v_add_f32_e32 v2, v26, v10
	v_add_f32_e32 v3, v27, v11
	ds_read_b128 v[10:13], v49 offset:4144
	s_waitcnt lgkmcnt(0)
	v_mul_f32_e32 v20, v11, v7
	v_mul_f32_e32 v7, v10, v7
	v_fmac_f32_e32 v7, v11, v6
	v_fma_f32 v20, v10, v6, -v20
	v_add_f32_e32 v17, v17, v7
	v_mul_f32_e32 v6, v11, v9
	v_mul_f32_e32 v7, v10, v9
	v_fma_f32 v6, v10, v8, -v6
	v_fmac_f32_e32 v7, v11, v8
	v_add_f32_e32 v10, v18, v6
	v_add_f32_e32 v11, v19, v7
	ds_read2_b64 v[6:9], v52 offset0:224 offset1:240
	v_add_f32_e32 v16, v16, v20
	s_waitcnt lgkmcnt(0)
	v_mul_f32_e32 v18, v5, v7
	v_fma_f32 v18, v4, v6, -v18
	v_add_f32_e32 v18, v14, v18
	v_mul_f32_e32 v14, v5, v9
	v_mul_f32_e32 v19, v4, v7
	v_fma_f32 v14, v4, v8, -v14
	v_mul_f32_e32 v4, v4, v9
	v_fmac_f32_e32 v19, v5, v6
	v_fmac_f32_e32 v4, v5, v8
	v_add_f32_e32 v15, v15, v19
	v_add_f32_e32 v19, v2, v14
	;; [unrolled: 1-line block ×3, first 2 shown]
	v_mul_f32_e32 v2, v13, v7
	v_mul_f32_e32 v3, v12, v7
	v_fma_f32 v2, v12, v6, -v2
	v_fmac_f32_e32 v3, v13, v6
	v_add_f32_e32 v21, v16, v2
	v_add_f32_e32 v24, v17, v3
	v_mul_f32_e32 v2, v13, v9
	v_mul_f32_e32 v3, v12, v9
	v_fma_f32 v2, v12, v8, -v2
	v_fmac_f32_e32 v3, v13, v8
	v_add_u32_e32 v14, 0x800, v52
	v_add_f32_e32 v10, v10, v2
	v_add_f32_e32 v11, v11, v3
	ds_read_b128 v[2:5], v49 offset:64
	ds_read2_b64 v[6:9], v14 offset1:16
	s_waitcnt lgkmcnt(0)
	v_mul_f32_e32 v13, v2, v7
	v_fmac_f32_e32 v13, v3, v6
	v_mul_f32_e32 v12, v3, v7
	v_add_f32_e32 v13, v15, v13
	v_mul_f32_e32 v15, v3, v9
	v_fma_f32 v12, v2, v6, -v12
	v_fma_f32 v15, v2, v8, -v15
	v_mul_f32_e32 v2, v2, v9
	v_add_f32_e32 v12, v18, v12
	v_fmac_f32_e32 v2, v3, v8
	v_add_f32_e32 v3, v19, v15
	ds_read_b128 v[15:18], v49 offset:4160
	v_add_f32_e32 v2, v20, v2
	s_waitcnt lgkmcnt(0)
	v_mul_f32_e32 v19, v16, v7
	v_mul_f32_e32 v7, v15, v7
	v_fmac_f32_e32 v7, v16, v6
	v_fma_f32 v19, v15, v6, -v19
	v_add_f32_e32 v20, v24, v7
	v_mul_f32_e32 v6, v16, v9
	v_mul_f32_e32 v7, v15, v9
	v_fma_f32 v6, v15, v8, -v6
	v_fmac_f32_e32 v7, v16, v8
	v_add_f32_e32 v19, v21, v19
	v_add_f32_e32 v21, v10, v6
	v_add_f32_e32 v24, v11, v7
	ds_read2_b64 v[6:9], v14 offset0:32 offset1:48
	s_waitcnt lgkmcnt(0)
	v_mul_f32_e32 v10, v5, v7
	v_fma_f32 v10, v4, v6, -v10
	v_add_f32_e32 v10, v12, v10
	v_mul_f32_e32 v12, v5, v9
	v_mul_f32_e32 v11, v4, v7
	v_fma_f32 v12, v4, v8, -v12
	v_mul_f32_e32 v4, v4, v9
	v_fmac_f32_e32 v11, v5, v6
	v_fmac_f32_e32 v4, v5, v8
	v_add_f32_e32 v11, v13, v11
	v_add_f32_e32 v12, v3, v12
	;; [unrolled: 1-line block ×3, first 2 shown]
	v_mul_f32_e32 v2, v18, v7
	v_mul_f32_e32 v3, v17, v7
	v_fma_f32 v2, v17, v6, -v2
	v_fmac_f32_e32 v3, v18, v6
	v_add_f32_e32 v15, v19, v2
	v_add_f32_e32 v16, v20, v3
	v_mul_f32_e32 v2, v18, v9
	v_mul_f32_e32 v3, v17, v9
	v_fma_f32 v2, v17, v8, -v2
	v_fmac_f32_e32 v3, v18, v8
	v_add_f32_e32 v17, v21, v2
	v_add_f32_e32 v18, v24, v3
	ds_read_b128 v[2:5], v49 offset:80
	ds_read2_b64 v[6:9], v14 offset0:64 offset1:80
	s_waitcnt lgkmcnt(0)
	v_mul_f32_e32 v19, v3, v7
	v_mul_f32_e32 v20, v2, v7
	v_fma_f32 v19, v2, v6, -v19
	v_fmac_f32_e32 v20, v3, v6
	v_add_f32_e32 v19, v10, v19
	v_add_f32_e32 v20, v11, v20
	v_mul_f32_e32 v10, v3, v9
	v_mul_f32_e32 v11, v2, v9
	v_fma_f32 v10, v2, v8, -v10
	v_fmac_f32_e32 v11, v3, v8
	v_add_f32_e32 v2, v12, v10
	v_add_f32_e32 v3, v13, v11
	ds_read_b128 v[10:13], v49 offset:4176
	s_waitcnt lgkmcnt(0)
	v_mul_f32_e32 v21, v11, v7
	v_mul_f32_e32 v7, v10, v7
	v_fmac_f32_e32 v7, v11, v6
	v_fma_f32 v21, v10, v6, -v21
	v_add_f32_e32 v16, v16, v7
	v_mul_f32_e32 v6, v11, v9
	v_mul_f32_e32 v7, v10, v9
	v_fma_f32 v6, v10, v8, -v6
	v_fmac_f32_e32 v7, v11, v8
	v_add_f32_e32 v10, v17, v6
	v_add_f32_e32 v11, v18, v7
	ds_read2_b64 v[6:9], v14 offset0:96 offset1:112
	v_add_f32_e32 v15, v15, v21
	s_waitcnt lgkmcnt(0)
	v_mul_f32_e32 v17, v5, v7
	v_fma_f32 v17, v4, v6, -v17
	v_add_f32_e32 v17, v19, v17
	v_mul_f32_e32 v19, v5, v9
	v_mul_f32_e32 v18, v4, v7
	v_fma_f32 v19, v4, v8, -v19
	v_mul_f32_e32 v4, v4, v9
	v_fmac_f32_e32 v18, v5, v6
	v_fmac_f32_e32 v4, v5, v8
	v_add_f32_e32 v18, v20, v18
	v_add_f32_e32 v19, v2, v19
	;; [unrolled: 1-line block ×3, first 2 shown]
	v_mul_f32_e32 v2, v13, v7
	v_mul_f32_e32 v3, v12, v7
	v_fma_f32 v2, v12, v6, -v2
	v_fmac_f32_e32 v3, v13, v6
	v_add_f32_e32 v21, v15, v2
	v_add_f32_e32 v24, v16, v3
	v_mul_f32_e32 v2, v13, v9
	v_mul_f32_e32 v3, v12, v9
	v_fma_f32 v2, v12, v8, -v2
	v_fmac_f32_e32 v3, v13, v8
	v_add_f32_e32 v10, v10, v2
	v_add_f32_e32 v11, v11, v3
	ds_read_b128 v[2:5], v49 offset:96
	ds_read2_b64 v[6:9], v14 offset0:128 offset1:144
	s_waitcnt lgkmcnt(0)
	v_mul_f32_e32 v12, v3, v7
	v_mul_f32_e32 v13, v2, v7
	;; [unrolled: 1-line block ×3, first 2 shown]
	v_fma_f32 v12, v2, v6, -v12
	v_fmac_f32_e32 v13, v3, v6
	v_fma_f32 v15, v2, v8, -v15
	v_mul_f32_e32 v2, v2, v9
	v_add_f32_e32 v12, v17, v12
	v_add_f32_e32 v13, v18, v13
	v_fmac_f32_e32 v2, v3, v8
	v_add_f32_e32 v3, v19, v15
	ds_read_b128 v[15:18], v49 offset:4192
	v_add_f32_e32 v2, v20, v2
	s_waitcnt lgkmcnt(0)
	v_mul_f32_e32 v19, v16, v7
	v_mul_f32_e32 v7, v15, v7
	v_fmac_f32_e32 v7, v16, v6
	v_fma_f32 v19, v15, v6, -v19
	v_add_f32_e32 v20, v24, v7
	v_mul_f32_e32 v6, v16, v9
	v_mul_f32_e32 v7, v15, v9
	v_fma_f32 v6, v15, v8, -v6
	v_fmac_f32_e32 v7, v16, v8
	v_add_f32_e32 v19, v21, v19
	v_add_f32_e32 v21, v10, v6
	;; [unrolled: 1-line block ×3, first 2 shown]
	ds_read2_b64 v[6:9], v14 offset0:160 offset1:176
	s_waitcnt lgkmcnt(0)
	v_mul_f32_e32 v10, v5, v7
	v_fma_f32 v10, v4, v6, -v10
	v_add_f32_e32 v10, v12, v10
	v_mul_f32_e32 v12, v5, v9
	v_mul_f32_e32 v11, v4, v7
	v_fma_f32 v12, v4, v8, -v12
	v_mul_f32_e32 v4, v4, v9
	v_fmac_f32_e32 v11, v5, v6
	v_fmac_f32_e32 v4, v5, v8
	v_add_f32_e32 v11, v13, v11
	v_add_f32_e32 v12, v3, v12
	;; [unrolled: 1-line block ×3, first 2 shown]
	v_mul_f32_e32 v2, v18, v7
	v_mul_f32_e32 v3, v17, v7
	v_fma_f32 v2, v17, v6, -v2
	v_fmac_f32_e32 v3, v18, v6
	v_add_f32_e32 v15, v19, v2
	v_add_f32_e32 v16, v20, v3
	v_mul_f32_e32 v2, v18, v9
	v_mul_f32_e32 v3, v17, v9
	v_fma_f32 v2, v17, v8, -v2
	v_fmac_f32_e32 v3, v18, v8
	v_add_f32_e32 v17, v21, v2
	v_add_f32_e32 v18, v24, v3
	ds_read_b128 v[2:5], v49 offset:112
	ds_read2_b64 v[6:9], v14 offset0:192 offset1:208
	s_waitcnt lgkmcnt(0)
	v_mul_f32_e32 v19, v3, v7
	v_mul_f32_e32 v20, v2, v7
	v_fma_f32 v19, v2, v6, -v19
	v_fmac_f32_e32 v20, v3, v6
	v_add_f32_e32 v19, v10, v19
	v_add_f32_e32 v20, v11, v20
	v_mul_f32_e32 v10, v3, v9
	v_mul_f32_e32 v11, v2, v9
	v_fma_f32 v10, v2, v8, -v10
	v_fmac_f32_e32 v11, v3, v8
	v_add_f32_e32 v2, v12, v10
	v_add_f32_e32 v3, v13, v11
	ds_read_b128 v[10:13], v49 offset:4208
	s_waitcnt lgkmcnt(0)
	v_mul_f32_e32 v21, v11, v7
	v_mul_f32_e32 v7, v10, v7
	v_fmac_f32_e32 v7, v11, v6
	v_fma_f32 v21, v10, v6, -v21
	v_add_f32_e32 v16, v16, v7
	v_mul_f32_e32 v6, v11, v9
	v_mul_f32_e32 v7, v10, v9
	v_fma_f32 v6, v10, v8, -v6
	v_fmac_f32_e32 v7, v11, v8
	v_add_f32_e32 v10, v17, v6
	v_add_f32_e32 v11, v18, v7
	ds_read2_b64 v[6:9], v14 offset0:224 offset1:240
	v_add_f32_e32 v15, v15, v21
	s_waitcnt lgkmcnt(0)
	v_mul_f32_e32 v14, v5, v7
	v_fma_f32 v14, v4, v6, -v14
	v_add_f32_e32 v18, v19, v14
	v_mul_f32_e32 v14, v5, v9
	v_mul_f32_e32 v17, v4, v7
	v_fma_f32 v14, v4, v8, -v14
	v_mul_f32_e32 v4, v4, v9
	v_fmac_f32_e32 v17, v5, v6
	v_fmac_f32_e32 v4, v5, v8
	v_add_f32_e32 v17, v20, v17
	v_add_f32_e32 v19, v2, v14
	;; [unrolled: 1-line block ×3, first 2 shown]
	v_mul_f32_e32 v2, v13, v7
	v_mul_f32_e32 v3, v12, v7
	v_fma_f32 v2, v12, v6, -v2
	v_fmac_f32_e32 v3, v13, v6
	v_add_f32_e32 v21, v15, v2
	v_add_f32_e32 v24, v16, v3
	v_mul_f32_e32 v2, v13, v9
	v_mul_f32_e32 v3, v12, v9
	v_fma_f32 v2, v12, v8, -v2
	v_fmac_f32_e32 v3, v13, v8
	v_add_u32_e32 v14, 0x1000, v52
	v_add_f32_e32 v10, v10, v2
	v_add_f32_e32 v11, v11, v3
	ds_read_b128 v[2:5], v49 offset:128
	ds_read2_b64 v[6:9], v14 offset1:16
	s_waitcnt lgkmcnt(0)
	v_mul_f32_e32 v12, v3, v7
	v_mul_f32_e32 v13, v2, v7
	;; [unrolled: 1-line block ×3, first 2 shown]
	v_fma_f32 v12, v2, v6, -v12
	v_fmac_f32_e32 v13, v3, v6
	v_fma_f32 v15, v2, v8, -v15
	v_mul_f32_e32 v2, v2, v9
	v_add_f32_e32 v12, v18, v12
	v_add_f32_e32 v13, v17, v13
	v_fmac_f32_e32 v2, v3, v8
	v_add_f32_e32 v3, v19, v15
	ds_read_b128 v[15:18], v49 offset:4224
	v_add_f32_e32 v2, v20, v2
	s_waitcnt lgkmcnt(0)
	v_mul_f32_e32 v19, v16, v7
	v_mul_f32_e32 v7, v15, v7
	v_fmac_f32_e32 v7, v16, v6
	v_fma_f32 v19, v15, v6, -v19
	v_add_f32_e32 v20, v24, v7
	v_mul_f32_e32 v6, v16, v9
	v_mul_f32_e32 v7, v15, v9
	v_fma_f32 v6, v15, v8, -v6
	v_fmac_f32_e32 v7, v16, v8
	v_add_f32_e32 v19, v21, v19
	v_add_f32_e32 v21, v10, v6
	;; [unrolled: 1-line block ×3, first 2 shown]
	ds_read2_b64 v[6:9], v14 offset0:32 offset1:48
	s_waitcnt lgkmcnt(0)
	v_mul_f32_e32 v10, v5, v7
	v_fma_f32 v10, v4, v6, -v10
	v_add_f32_e32 v10, v12, v10
	v_mul_f32_e32 v12, v5, v9
	v_mul_f32_e32 v11, v4, v7
	v_fma_f32 v12, v4, v8, -v12
	v_mul_f32_e32 v4, v4, v9
	v_fmac_f32_e32 v11, v5, v6
	v_fmac_f32_e32 v4, v5, v8
	v_add_f32_e32 v11, v13, v11
	v_add_f32_e32 v12, v3, v12
	;; [unrolled: 1-line block ×3, first 2 shown]
	v_mul_f32_e32 v2, v18, v7
	v_mul_f32_e32 v3, v17, v7
	v_fma_f32 v2, v17, v6, -v2
	v_fmac_f32_e32 v3, v18, v6
	v_add_f32_e32 v15, v19, v2
	v_add_f32_e32 v16, v20, v3
	v_mul_f32_e32 v2, v18, v9
	v_mul_f32_e32 v3, v17, v9
	v_fma_f32 v2, v17, v8, -v2
	v_fmac_f32_e32 v3, v18, v8
	v_add_f32_e32 v17, v21, v2
	v_add_f32_e32 v18, v24, v3
	ds_read_b128 v[2:5], v49 offset:144
	ds_read2_b64 v[6:9], v14 offset0:64 offset1:80
	s_waitcnt lgkmcnt(0)
	v_mul_f32_e32 v19, v3, v7
	v_mul_f32_e32 v20, v2, v7
	v_fma_f32 v19, v2, v6, -v19
	v_fmac_f32_e32 v20, v3, v6
	v_add_f32_e32 v19, v10, v19
	v_add_f32_e32 v20, v11, v20
	v_mul_f32_e32 v10, v3, v9
	v_mul_f32_e32 v11, v2, v9
	v_fma_f32 v10, v2, v8, -v10
	v_fmac_f32_e32 v11, v3, v8
	v_add_f32_e32 v2, v12, v10
	v_add_f32_e32 v3, v13, v11
	ds_read_b128 v[10:13], v49 offset:4240
	s_waitcnt lgkmcnt(0)
	v_mul_f32_e32 v21, v11, v7
	v_mul_f32_e32 v7, v10, v7
	v_fmac_f32_e32 v7, v11, v6
	v_fma_f32 v21, v10, v6, -v21
	v_add_f32_e32 v16, v16, v7
	v_mul_f32_e32 v6, v11, v9
	v_mul_f32_e32 v7, v10, v9
	v_fma_f32 v6, v10, v8, -v6
	v_fmac_f32_e32 v7, v11, v8
	v_add_f32_e32 v10, v17, v6
	v_add_f32_e32 v11, v18, v7
	ds_read2_b64 v[6:9], v14 offset0:96 offset1:112
	v_add_f32_e32 v15, v15, v21
	s_waitcnt lgkmcnt(0)
	v_mul_f32_e32 v17, v5, v7
	v_fma_f32 v17, v4, v6, -v17
	v_add_f32_e32 v17, v19, v17
	v_mul_f32_e32 v19, v5, v9
	v_mul_f32_e32 v18, v4, v7
	v_fma_f32 v19, v4, v8, -v19
	v_mul_f32_e32 v4, v4, v9
	v_fmac_f32_e32 v18, v5, v6
	v_fmac_f32_e32 v4, v5, v8
	v_add_f32_e32 v18, v20, v18
	v_add_f32_e32 v19, v2, v19
	;; [unrolled: 1-line block ×3, first 2 shown]
	v_mul_f32_e32 v2, v13, v7
	v_mul_f32_e32 v3, v12, v7
	v_fma_f32 v2, v12, v6, -v2
	v_fmac_f32_e32 v3, v13, v6
	v_add_f32_e32 v21, v15, v2
	v_add_f32_e32 v24, v16, v3
	v_mul_f32_e32 v2, v13, v9
	v_mul_f32_e32 v3, v12, v9
	v_fma_f32 v2, v12, v8, -v2
	v_fmac_f32_e32 v3, v13, v8
	v_add_f32_e32 v10, v10, v2
	v_add_f32_e32 v11, v11, v3
	ds_read_b128 v[2:5], v49 offset:160
	ds_read2_b64 v[6:9], v14 offset0:128 offset1:144
	s_waitcnt lgkmcnt(0)
	v_mul_f32_e32 v12, v3, v7
	v_mul_f32_e32 v13, v2, v7
	;; [unrolled: 1-line block ×3, first 2 shown]
	v_fma_f32 v12, v2, v6, -v12
	v_fmac_f32_e32 v13, v3, v6
	v_fma_f32 v15, v2, v8, -v15
	v_mul_f32_e32 v2, v2, v9
	v_add_f32_e32 v12, v17, v12
	v_add_f32_e32 v13, v18, v13
	v_fmac_f32_e32 v2, v3, v8
	v_add_f32_e32 v3, v19, v15
	ds_read_b128 v[15:18], v49 offset:4256
	v_add_f32_e32 v2, v20, v2
	s_waitcnt lgkmcnt(0)
	v_mul_f32_e32 v19, v16, v7
	v_mul_f32_e32 v7, v15, v7
	v_fmac_f32_e32 v7, v16, v6
	v_fma_f32 v19, v15, v6, -v19
	v_add_f32_e32 v20, v24, v7
	v_mul_f32_e32 v6, v16, v9
	v_mul_f32_e32 v7, v15, v9
	v_fma_f32 v6, v15, v8, -v6
	v_fmac_f32_e32 v7, v16, v8
	v_add_f32_e32 v19, v21, v19
	v_add_f32_e32 v21, v10, v6
	v_add_f32_e32 v24, v11, v7
	ds_read2_b64 v[6:9], v14 offset0:160 offset1:176
	s_waitcnt lgkmcnt(0)
	v_mul_f32_e32 v10, v5, v7
	v_fma_f32 v10, v4, v6, -v10
	v_add_f32_e32 v10, v12, v10
	v_mul_f32_e32 v12, v5, v9
	v_mul_f32_e32 v11, v4, v7
	v_fma_f32 v12, v4, v8, -v12
	v_mul_f32_e32 v4, v4, v9
	v_fmac_f32_e32 v11, v5, v6
	v_fmac_f32_e32 v4, v5, v8
	v_add_f32_e32 v11, v13, v11
	v_add_f32_e32 v12, v3, v12
	;; [unrolled: 1-line block ×3, first 2 shown]
	v_mul_f32_e32 v2, v18, v7
	v_mul_f32_e32 v3, v17, v7
	v_fma_f32 v2, v17, v6, -v2
	v_fmac_f32_e32 v3, v18, v6
	v_add_f32_e32 v15, v19, v2
	v_add_f32_e32 v16, v20, v3
	v_mul_f32_e32 v2, v18, v9
	v_mul_f32_e32 v3, v17, v9
	v_fma_f32 v2, v17, v8, -v2
	v_fmac_f32_e32 v3, v18, v8
	v_add_f32_e32 v17, v21, v2
	v_add_f32_e32 v18, v24, v3
	ds_read_b128 v[2:5], v49 offset:176
	ds_read2_b64 v[6:9], v14 offset0:192 offset1:208
	s_waitcnt lgkmcnt(0)
	v_mul_f32_e32 v19, v3, v7
	v_mul_f32_e32 v20, v2, v7
	v_fma_f32 v19, v2, v6, -v19
	v_fmac_f32_e32 v20, v3, v6
	v_add_f32_e32 v19, v10, v19
	v_add_f32_e32 v20, v11, v20
	v_mul_f32_e32 v10, v3, v9
	v_mul_f32_e32 v11, v2, v9
	v_fma_f32 v10, v2, v8, -v10
	v_fmac_f32_e32 v11, v3, v8
	v_add_f32_e32 v2, v12, v10
	v_add_f32_e32 v3, v13, v11
	ds_read_b128 v[10:13], v49 offset:4272
	s_waitcnt lgkmcnt(0)
	v_mul_f32_e32 v21, v11, v7
	v_mul_f32_e32 v7, v10, v7
	v_fmac_f32_e32 v7, v11, v6
	v_fma_f32 v21, v10, v6, -v21
	v_add_f32_e32 v16, v16, v7
	v_mul_f32_e32 v6, v11, v9
	v_mul_f32_e32 v7, v10, v9
	v_fma_f32 v6, v10, v8, -v6
	v_fmac_f32_e32 v7, v11, v8
	v_add_f32_e32 v10, v17, v6
	v_add_f32_e32 v11, v18, v7
	ds_read2_b64 v[6:9], v14 offset0:224 offset1:240
	v_add_f32_e32 v15, v15, v21
	s_waitcnt lgkmcnt(0)
	v_mul_f32_e32 v14, v5, v7
	v_fma_f32 v14, v4, v6, -v14
	v_add_f32_e32 v18, v19, v14
	v_mul_f32_e32 v14, v5, v9
	v_mul_f32_e32 v17, v4, v7
	v_fma_f32 v14, v4, v8, -v14
	v_mul_f32_e32 v4, v4, v9
	v_fmac_f32_e32 v17, v5, v6
	v_fmac_f32_e32 v4, v5, v8
	v_add_f32_e32 v17, v20, v17
	v_add_f32_e32 v19, v2, v14
	;; [unrolled: 1-line block ×3, first 2 shown]
	v_mul_f32_e32 v2, v13, v7
	v_mul_f32_e32 v3, v12, v7
	v_fma_f32 v2, v12, v6, -v2
	v_fmac_f32_e32 v3, v13, v6
	v_add_f32_e32 v21, v15, v2
	v_add_f32_e32 v24, v16, v3
	v_mul_f32_e32 v2, v13, v9
	v_mul_f32_e32 v3, v12, v9
	v_fma_f32 v2, v12, v8, -v2
	v_fmac_f32_e32 v3, v13, v8
	v_add_u32_e32 v14, 0x1800, v52
	v_add_f32_e32 v10, v10, v2
	v_add_f32_e32 v11, v11, v3
	ds_read_b128 v[2:5], v49 offset:192
	ds_read2_b64 v[6:9], v14 offset1:16
	s_waitcnt lgkmcnt(0)
	v_mul_f32_e32 v12, v3, v7
	v_mul_f32_e32 v13, v2, v7
	;; [unrolled: 1-line block ×3, first 2 shown]
	v_fma_f32 v12, v2, v6, -v12
	v_fmac_f32_e32 v13, v3, v6
	v_fma_f32 v15, v2, v8, -v15
	v_mul_f32_e32 v2, v2, v9
	v_add_f32_e32 v12, v18, v12
	v_add_f32_e32 v13, v17, v13
	v_fmac_f32_e32 v2, v3, v8
	v_add_f32_e32 v3, v19, v15
	ds_read_b128 v[15:18], v49 offset:4288
	v_add_f32_e32 v2, v20, v2
	s_waitcnt lgkmcnt(0)
	v_mul_f32_e32 v19, v16, v7
	v_mul_f32_e32 v7, v15, v7
	v_fmac_f32_e32 v7, v16, v6
	v_fma_f32 v19, v15, v6, -v19
	v_add_f32_e32 v20, v24, v7
	v_mul_f32_e32 v6, v16, v9
	v_mul_f32_e32 v7, v15, v9
	v_fma_f32 v6, v15, v8, -v6
	v_fmac_f32_e32 v7, v16, v8
	v_add_f32_e32 v19, v21, v19
	v_add_f32_e32 v21, v10, v6
	;; [unrolled: 1-line block ×3, first 2 shown]
	ds_read2_b64 v[6:9], v14 offset0:32 offset1:48
	s_waitcnt lgkmcnt(0)
	v_mul_f32_e32 v10, v5, v7
	v_fma_f32 v10, v4, v6, -v10
	v_add_f32_e32 v10, v12, v10
	v_mul_f32_e32 v12, v5, v9
	v_mul_f32_e32 v11, v4, v7
	v_fma_f32 v12, v4, v8, -v12
	v_mul_f32_e32 v4, v4, v9
	v_fmac_f32_e32 v11, v5, v6
	v_fmac_f32_e32 v4, v5, v8
	v_add_f32_e32 v11, v13, v11
	v_add_f32_e32 v12, v3, v12
	;; [unrolled: 1-line block ×3, first 2 shown]
	v_mul_f32_e32 v2, v18, v7
	v_mul_f32_e32 v3, v17, v7
	v_fma_f32 v2, v17, v6, -v2
	v_fmac_f32_e32 v3, v18, v6
	v_add_f32_e32 v15, v19, v2
	v_add_f32_e32 v16, v20, v3
	v_mul_f32_e32 v2, v18, v9
	v_mul_f32_e32 v3, v17, v9
	v_fma_f32 v2, v17, v8, -v2
	v_fmac_f32_e32 v3, v18, v8
	v_add_f32_e32 v17, v21, v2
	v_add_f32_e32 v18, v24, v3
	ds_read_b128 v[2:5], v49 offset:208
	ds_read2_b64 v[6:9], v14 offset0:64 offset1:80
	s_waitcnt lgkmcnt(0)
	v_mul_f32_e32 v19, v3, v7
	v_mul_f32_e32 v20, v2, v7
	v_fma_f32 v19, v2, v6, -v19
	v_fmac_f32_e32 v20, v3, v6
	v_add_f32_e32 v19, v10, v19
	v_add_f32_e32 v20, v11, v20
	v_mul_f32_e32 v10, v3, v9
	v_mul_f32_e32 v11, v2, v9
	v_fma_f32 v10, v2, v8, -v10
	v_fmac_f32_e32 v11, v3, v8
	v_add_f32_e32 v2, v12, v10
	v_add_f32_e32 v3, v13, v11
	ds_read_b128 v[10:13], v49 offset:4304
	s_waitcnt lgkmcnt(0)
	v_mul_f32_e32 v21, v11, v7
	v_mul_f32_e32 v7, v10, v7
	v_fmac_f32_e32 v7, v11, v6
	v_fma_f32 v21, v10, v6, -v21
	v_add_f32_e32 v16, v16, v7
	v_mul_f32_e32 v6, v11, v9
	v_mul_f32_e32 v7, v10, v9
	v_fma_f32 v6, v10, v8, -v6
	v_fmac_f32_e32 v7, v11, v8
	v_add_f32_e32 v10, v17, v6
	v_add_f32_e32 v11, v18, v7
	ds_read2_b64 v[6:9], v14 offset0:96 offset1:112
	v_add_f32_e32 v15, v15, v21
	s_waitcnt lgkmcnt(0)
	v_mul_f32_e32 v17, v5, v7
	v_fma_f32 v17, v4, v6, -v17
	v_add_f32_e32 v17, v19, v17
	v_mul_f32_e32 v19, v5, v9
	v_mul_f32_e32 v18, v4, v7
	v_fma_f32 v19, v4, v8, -v19
	v_mul_f32_e32 v4, v4, v9
	v_fmac_f32_e32 v18, v5, v6
	v_fmac_f32_e32 v4, v5, v8
	v_add_f32_e32 v18, v20, v18
	v_add_f32_e32 v19, v2, v19
	;; [unrolled: 1-line block ×3, first 2 shown]
	v_mul_f32_e32 v2, v13, v7
	v_mul_f32_e32 v3, v12, v7
	v_fma_f32 v2, v12, v6, -v2
	v_fmac_f32_e32 v3, v13, v6
	v_add_f32_e32 v21, v15, v2
	v_add_f32_e32 v24, v16, v3
	v_mul_f32_e32 v2, v13, v9
	v_mul_f32_e32 v3, v12, v9
	v_fma_f32 v2, v12, v8, -v2
	v_fmac_f32_e32 v3, v13, v8
	v_add_f32_e32 v10, v10, v2
	v_add_f32_e32 v11, v11, v3
	ds_read_b128 v[2:5], v49 offset:224
	ds_read2_b64 v[6:9], v14 offset0:128 offset1:144
	s_waitcnt lgkmcnt(0)
	v_mul_f32_e32 v12, v3, v7
	v_mul_f32_e32 v13, v2, v7
	;; [unrolled: 1-line block ×3, first 2 shown]
	v_fma_f32 v12, v2, v6, -v12
	v_fmac_f32_e32 v13, v3, v6
	v_fma_f32 v15, v2, v8, -v15
	v_mul_f32_e32 v2, v2, v9
	v_add_f32_e32 v12, v17, v12
	v_add_f32_e32 v13, v18, v13
	v_fmac_f32_e32 v2, v3, v8
	v_add_f32_e32 v3, v19, v15
	ds_read_b128 v[15:18], v49 offset:4320
	v_add_f32_e32 v2, v20, v2
	s_waitcnt lgkmcnt(0)
	v_mul_f32_e32 v19, v16, v7
	v_mul_f32_e32 v7, v15, v7
	v_fmac_f32_e32 v7, v16, v6
	v_fma_f32 v19, v15, v6, -v19
	v_add_f32_e32 v20, v24, v7
	v_mul_f32_e32 v6, v16, v9
	v_mul_f32_e32 v7, v15, v9
	v_fma_f32 v6, v15, v8, -v6
	v_fmac_f32_e32 v7, v16, v8
	v_add_f32_e32 v19, v21, v19
	v_add_f32_e32 v21, v10, v6
	;; [unrolled: 1-line block ×3, first 2 shown]
	ds_read2_b64 v[6:9], v14 offset0:160 offset1:176
	s_waitcnt lgkmcnt(0)
	v_mul_f32_e32 v10, v5, v7
	v_fma_f32 v10, v4, v6, -v10
	v_add_f32_e32 v10, v12, v10
	v_mul_f32_e32 v12, v5, v9
	v_mul_f32_e32 v11, v4, v7
	v_fma_f32 v12, v4, v8, -v12
	v_mul_f32_e32 v4, v4, v9
	v_fmac_f32_e32 v11, v5, v6
	v_fmac_f32_e32 v4, v5, v8
	v_add_f32_e32 v11, v13, v11
	v_add_f32_e32 v12, v3, v12
	;; [unrolled: 1-line block ×3, first 2 shown]
	v_mul_f32_e32 v2, v18, v7
	v_mul_f32_e32 v3, v17, v7
	v_fma_f32 v2, v17, v6, -v2
	v_fmac_f32_e32 v3, v18, v6
	v_add_f32_e32 v15, v19, v2
	v_add_f32_e32 v16, v20, v3
	v_mul_f32_e32 v2, v18, v9
	v_mul_f32_e32 v3, v17, v9
	v_fma_f32 v2, v17, v8, -v2
	v_fmac_f32_e32 v3, v18, v8
	v_add_f32_e32 v17, v21, v2
	v_add_f32_e32 v18, v24, v3
	ds_read_b128 v[2:5], v49 offset:240
	ds_read2_b64 v[6:9], v14 offset0:192 offset1:208
	s_waitcnt lgkmcnt(0)
	v_mul_f32_e32 v19, v3, v7
	v_mul_f32_e32 v20, v2, v7
	v_fma_f32 v19, v2, v6, -v19
	v_fmac_f32_e32 v20, v3, v6
	v_add_f32_e32 v19, v10, v19
	v_add_f32_e32 v21, v11, v20
	v_mul_f32_e32 v10, v3, v9
	v_mul_f32_e32 v11, v2, v9
	v_fma_f32 v10, v2, v8, -v10
	v_fmac_f32_e32 v11, v3, v8
	v_add_f32_e32 v2, v12, v10
	v_add_f32_e32 v3, v13, v11
	ds_read_b128 v[10:13], v49 offset:4336
	s_waitcnt lgkmcnt(0)
	v_mul_f32_e32 v20, v11, v7
	v_mul_f32_e32 v7, v10, v7
	v_fmac_f32_e32 v7, v11, v6
	v_fma_f32 v20, v10, v6, -v20
	v_add_f32_e32 v24, v16, v7
	v_mul_f32_e32 v6, v11, v9
	v_mul_f32_e32 v7, v10, v9
	v_fma_f32 v6, v10, v8, -v6
	v_fmac_f32_e32 v7, v11, v8
	v_add_f32_e32 v10, v17, v6
	v_add_f32_e32 v11, v18, v7
	ds_read2_b64 v[6:9], v14 offset0:224 offset1:240
	v_add_f32_e32 v15, v15, v20
	s_waitcnt lgkmcnt(0)
	s_barrier
	v_mul_f32_e32 v14, v5, v7
	v_fma_f32 v14, v4, v6, -v14
	v_add_f32_e32 v20, v19, v14
	v_mul_f32_e32 v14, v5, v9
	v_fma_f32 v14, v4, v8, -v14
	v_mul_f32_e32 v16, v4, v7
	v_add_f32_e32 v18, v2, v14
	v_mul_f32_e32 v2, v13, v7
	v_fmac_f32_e32 v16, v5, v6
	v_mul_f32_e32 v4, v4, v9
	v_fma_f32 v2, v12, v6, -v2
	v_add_f32_e32 v21, v21, v16
	v_fmac_f32_e32 v4, v5, v8
	v_add_f32_e32 v16, v15, v2
	v_mul_f32_e32 v2, v13, v9
	v_add_f32_e32 v19, v3, v4
	v_mul_f32_e32 v3, v12, v7
	v_fma_f32 v2, v12, v8, -v2
	v_fmac_f32_e32 v3, v13, v6
	v_add_f32_e32 v15, v10, v2
	v_mov_b32_e32 v2, s31
	v_add_f32_e32 v17, v24, v3
	v_mul_f32_e32 v3, v12, v9
	v_addc_co_u32_e32 v48, vcc, v48, v2, vcc
	v_fmac_f32_e32 v3, v13, v8
	v_add_co_u32_e32 v37, vcc, 0x100, v37
	v_add_f32_e32 v14, v11, v3
	v_addc_co_u32_e32 v38, vcc, 0, v38, vcc
	s_cbranch_scc1 .LBB86_55
.LBB86_7:                               ;   Parent Loop BB86_4 Depth=1
                                        ; =>  This Inner Loop Header: Depth=2
	v_mov_b32_e32 v3, s37
	v_add_co_u32_e32 v2, vcc, s36, v0
	v_addc_co_u32_e32 v3, vcc, 0, v3, vcc
	v_cmp_eq_u64_e32 vcc, s[36:37], v[39:40]
	v_add_co_u32_e64 v4, s[12:13], v37, v50
	s_and_b64 s[46:47], s[28:29], vcc
	v_cmp_gt_i64_e32 vcc, v[2:3], v[33:34]
	v_addc_co_u32_e64 v5, s[12:13], 0, v38, s[12:13]
	v_cmp_le_i64_e64 s[12:13], s[38:39], v[2:3]
	s_or_b64 s[14:15], s[8:9], vcc
	s_or_b64 s[14:15], s[14:15], s[46:47]
	s_nor_b64 s[14:15], s[12:13], s[14:15]
	s_and_saveexec_b64 s[18:19], s[14:15]
	s_xor_b64 s[14:15], exec, s[18:19]
	s_cbranch_execz .LBB86_9
; %bb.8:                                ;   in Loop: Header=BB86_7 Depth=2
	global_load_dwordx2 v[6:7], v[4:5], off
	s_waitcnt vmcnt(0)
	ds_write_b64 v51, v[6:7]
.LBB86_9:                               ;   in Loop: Header=BB86_7 Depth=2
	s_or_saveexec_b64 s[14:15], s[14:15]
	s_xor_b64 s[44:45], s[46:47], -1
	s_xor_b64 exec, exec, s[14:15]
	s_cbranch_execz .LBB86_15
; %bb.10:                               ;   in Loop: Header=BB86_7 Depth=2
	s_and_saveexec_b64 s[18:19], s[44:45]
	s_xor_b64 s[18:19], exec, s[18:19]
; %bb.11:                               ;   in Loop: Header=BB86_7 Depth=2
	v_mov_b32_e32 v6, v23
	v_mov_b32_e32 v7, v23
	ds_write_b64 v51, v[6:7]
; %bb.12:                               ;   in Loop: Header=BB86_7 Depth=2
	s_andn2_saveexec_b64 s[18:19], s[18:19]
; %bb.13:                               ;   in Loop: Header=BB86_7 Depth=2
	ds_write_b64 v51, v[22:23]
; %bb.14:                               ;   in Loop: Header=BB86_7 Depth=2
	s_or_b64 exec, exec, s[18:19]
.LBB86_15:                              ;   in Loop: Header=BB86_7 Depth=2
	s_or_b64 exec, exec, s[14:15]
	v_add_co_u32_e64 v6, s[18:19], 16, v2
	v_addc_co_u32_e64 v7, s[18:19], 0, v3, s[18:19]
	v_cmp_eq_u64_e64 s[14:15], s[36:37], v[45:46]
	v_cmp_gt_i64_e64 s[18:19], v[6:7], v[33:34]
	s_and_b64 s[20:21], s[28:29], s[14:15]
	v_cmp_le_i64_e64 s[14:15], s[38:39], v[6:7]
	s_or_b64 s[18:19], s[8:9], s[18:19]
	s_or_b64 s[18:19], s[18:19], s[20:21]
	s_nor_b64 s[18:19], s[14:15], s[18:19]
	s_and_saveexec_b64 s[54:55], s[18:19]
	s_xor_b64 s[18:19], exec, s[54:55]
	s_cbranch_execz .LBB86_17
; %bb.16:                               ;   in Loop: Header=BB86_7 Depth=2
	global_load_dwordx2 v[4:5], v[4:5], off offset:128
	s_waitcnt vmcnt(0)
	ds_write_b64 v51, v[4:5] offset:128
.LBB86_17:                              ;   in Loop: Header=BB86_7 Depth=2
	s_andn2_saveexec_b64 s[18:19], s[18:19]
	s_cbranch_execz .LBB86_23
; %bb.18:                               ;   in Loop: Header=BB86_7 Depth=2
	s_xor_b64 s[20:21], s[20:21], -1
	s_and_saveexec_b64 s[54:55], s[20:21]
	s_xor_b64 s[20:21], exec, s[54:55]
; %bb.19:                               ;   in Loop: Header=BB86_7 Depth=2
	v_mov_b32_e32 v4, v23
	v_mov_b32_e32 v5, v23
	ds_write_b64 v51, v[4:5] offset:128
; %bb.20:                               ;   in Loop: Header=BB86_7 Depth=2
	s_andn2_saveexec_b64 s[20:21], s[20:21]
; %bb.21:                               ;   in Loop: Header=BB86_7 Depth=2
	ds_write_b64 v51, v[22:23] offset:128
; %bb.22:                               ;   in Loop: Header=BB86_7 Depth=2
	s_or_b64 exec, exec, s[20:21]
.LBB86_23:                              ;   in Loop: Header=BB86_7 Depth=2
	s_or_b64 exec, exec, s[18:19]
	v_add_co_u32_e64 v4, s[18:19], v35, v50
	v_addc_co_u32_e64 v5, s[18:19], 0, v36, s[18:19]
	v_cmp_eq_u64_e64 s[18:19], s[36:37], v[43:44]
	v_cmp_gt_i64_e64 s[20:21], v[2:3], v[41:42]
	s_and_b64 s[18:19], s[28:29], s[18:19]
	s_or_b64 s[20:21], s[10:11], s[20:21]
	s_or_b64 s[20:21], s[20:21], s[18:19]
	s_nor_b64 s[12:13], s[12:13], s[20:21]
	s_and_saveexec_b64 s[20:21], s[12:13]
	s_xor_b64 s[12:13], exec, s[20:21]
	s_cbranch_execz .LBB86_25
; %bb.24:                               ;   in Loop: Header=BB86_7 Depth=2
	global_load_dwordx2 v[2:3], v[4:5], off
	s_waitcnt vmcnt(0)
	ds_write_b64 v51, v[2:3] offset:4096
.LBB86_25:                              ;   in Loop: Header=BB86_7 Depth=2
	s_andn2_saveexec_b64 s[12:13], s[12:13]
	s_cbranch_execz .LBB86_31
; %bb.26:                               ;   in Loop: Header=BB86_7 Depth=2
	s_xor_b64 s[18:19], s[18:19], -1
	s_and_saveexec_b64 s[20:21], s[18:19]
	s_xor_b64 s[18:19], exec, s[20:21]
; %bb.27:                               ;   in Loop: Header=BB86_7 Depth=2
	v_mov_b32_e32 v2, v23
	v_mov_b32_e32 v3, v23
	ds_write_b64 v51, v[2:3] offset:4096
; %bb.28:                               ;   in Loop: Header=BB86_7 Depth=2
	s_andn2_saveexec_b64 s[18:19], s[18:19]
; %bb.29:                               ;   in Loop: Header=BB86_7 Depth=2
	ds_write_b64 v51, v[22:23] offset:4096
; %bb.30:                               ;   in Loop: Header=BB86_7 Depth=2
	s_or_b64 exec, exec, s[18:19]
.LBB86_31:                              ;   in Loop: Header=BB86_7 Depth=2
	s_or_b64 exec, exec, s[12:13]
	s_or_b64 s[12:13], s[10:11], vcc
	s_or_b64 s[12:13], s[12:13], s[46:47]
	s_nor_b64 s[12:13], s[14:15], s[12:13]
	s_and_saveexec_b64 s[14:15], s[12:13]
	s_xor_b64 s[12:13], exec, s[14:15]
	s_cbranch_execz .LBB86_33
; %bb.32:                               ;   in Loop: Header=BB86_7 Depth=2
	global_load_dwordx2 v[2:3], v[4:5], off offset:128
	s_waitcnt vmcnt(0)
	ds_write_b64 v51, v[2:3] offset:4224
.LBB86_33:                              ;   in Loop: Header=BB86_7 Depth=2
	s_andn2_saveexec_b64 s[12:13], s[12:13]
	s_cbranch_execz .LBB86_39
; %bb.34:                               ;   in Loop: Header=BB86_7 Depth=2
	s_and_saveexec_b64 s[14:15], s[44:45]
	s_xor_b64 s[14:15], exec, s[14:15]
; %bb.35:                               ;   in Loop: Header=BB86_7 Depth=2
	v_mov_b32_e32 v2, v23
	v_mov_b32_e32 v3, v23
	ds_write_b64 v51, v[2:3] offset:4224
; %bb.36:                               ;   in Loop: Header=BB86_7 Depth=2
	s_andn2_saveexec_b64 s[14:15], s[14:15]
; %bb.37:                               ;   in Loop: Header=BB86_7 Depth=2
	ds_write_b64 v51, v[22:23] offset:4224
; %bb.38:                               ;   in Loop: Header=BB86_7 Depth=2
	s_or_b64 exec, exec, s[14:15]
.LBB86_39:                              ;   in Loop: Header=BB86_7 Depth=2
	s_or_b64 exec, exec, s[12:13]
	v_mov_b32_e32 v3, s37
	v_add_co_u32_e32 v2, vcc, s36, v1
	v_addc_co_u32_e32 v3, vcc, 0, v3, vcc
	v_cmp_le_i64_e32 vcc, s[38:39], v[2:3]
	s_waitcnt vmcnt(1)
	v_add_co_u32_e64 v4, s[12:13], v47, v56
	s_waitcnt vmcnt(0)
	v_addc_co_u32_e64 v5, s[12:13], v48, v57, s[12:13]
	s_nor_b64 s[12:13], vcc, s[0:1]
	s_and_saveexec_b64 s[14:15], s[12:13]
	s_xor_b64 s[12:13], exec, s[14:15]
	s_cbranch_execz .LBB86_41
; %bb.40:                               ;   in Loop: Header=BB86_7 Depth=2
	global_load_dwordx2 v[6:7], v[4:5], off offset:-128
	s_waitcnt vmcnt(0)
	ds_write_b64 v53, v[6:7]
.LBB86_41:                              ;   in Loop: Header=BB86_7 Depth=2
	s_andn2_saveexec_b64 s[12:13], s[12:13]
; %bb.42:                               ;   in Loop: Header=BB86_7 Depth=2
	v_mov_b32_e32 v6, v23
	v_mov_b32_e32 v7, v23
	ds_write_b64 v53, v[6:7]
; %bb.43:                               ;   in Loop: Header=BB86_7 Depth=2
	s_or_b64 exec, exec, s[12:13]
	s_nor_b64 s[12:13], vcc, s[2:3]
	s_and_saveexec_b64 s[14:15], s[12:13]
	s_xor_b64 s[12:13], exec, s[14:15]
	s_cbranch_execz .LBB86_45
; %bb.44:                               ;   in Loop: Header=BB86_7 Depth=2
	global_load_dwordx2 v[4:5], v[4:5], off
	s_waitcnt vmcnt(0)
	ds_write_b64 v53, v[4:5] offset:128
.LBB86_45:                              ;   in Loop: Header=BB86_7 Depth=2
	s_andn2_saveexec_b64 s[12:13], s[12:13]
; %bb.46:                               ;   in Loop: Header=BB86_7 Depth=2
	v_mov_b32_e32 v4, v23
	v_mov_b32_e32 v5, v23
	ds_write_b64 v53, v[4:5] offset:128
; %bb.47:                               ;   in Loop: Header=BB86_7 Depth=2
	s_or_b64 exec, exec, s[12:13]
	v_cmp_le_i64_e32 vcc, s[42:43], v[2:3]
	v_add_co_u32_e64 v2, s[12:13], v47, v30
	v_addc_co_u32_e64 v3, s[12:13], v48, v58, s[12:13]
	s_nor_b64 s[12:13], vcc, s[0:1]
	s_and_saveexec_b64 s[14:15], s[12:13]
	s_xor_b64 s[12:13], exec, s[14:15]
	s_cbranch_execz .LBB86_49
; %bb.48:                               ;   in Loop: Header=BB86_7 Depth=2
	global_load_dwordx2 v[4:5], v[2:3], off
	s_waitcnt vmcnt(0)
	ds_write_b64 v53, v[4:5] offset:4096
.LBB86_49:                              ;   in Loop: Header=BB86_7 Depth=2
	s_andn2_saveexec_b64 s[12:13], s[12:13]
; %bb.50:                               ;   in Loop: Header=BB86_7 Depth=2
	v_mov_b32_e32 v4, v23
	v_mov_b32_e32 v5, v23
	ds_write_b64 v53, v[4:5] offset:4096
; %bb.51:                               ;   in Loop: Header=BB86_7 Depth=2
	s_or_b64 exec, exec, s[12:13]
	s_nor_b64 s[12:13], vcc, s[2:3]
	s_and_saveexec_b64 s[14:15], s[12:13]
	s_xor_b64 s[12:13], exec, s[14:15]
	s_cbranch_execz .LBB86_53
; %bb.52:                               ;   in Loop: Header=BB86_7 Depth=2
	global_load_dwordx2 v[2:3], v[2:3], off offset:128
	s_waitcnt vmcnt(0)
	ds_write_b64 v53, v[2:3] offset:4224
.LBB86_53:                              ;   in Loop: Header=BB86_7 Depth=2
	s_andn2_saveexec_b64 s[12:13], s[12:13]
	s_cbranch_execz .LBB86_6
; %bb.54:                               ;   in Loop: Header=BB86_7 Depth=2
	v_mov_b32_e32 v2, v23
	v_mov_b32_e32 v3, v23
	ds_write_b64 v53, v[2:3] offset:4224
	s_branch .LBB86_6
.LBB86_55:                              ;   in Loop: Header=BB86_4 Depth=1
	v_mul_lo_u32 v4, s41, v33
	v_mul_lo_u32 v5, s40, v34
	v_mad_u64_u32 v[2:3], s[8:9], s40, v33, 0
	v_cmp_gt_i32_e32 vcc, s38, v33
	v_add3_u32 v3, v3, v5, v4
	v_lshlrev_b64 v[2:3], 3, v[2:3]
	v_mov_b32_e32 v4, s50
	v_add_co_u32_e64 v2, s[8:9], s49, v2
	v_addc_co_u32_e64 v3, s[8:9], v4, v3, s[8:9]
	s_and_b64 s[8:9], s[4:5], vcc
	s_and_saveexec_b64 s[10:11], s[8:9]
	s_cbranch_execz .LBB86_57
; %bb.56:                               ;   in Loop: Header=BB86_4 Depth=1
	buffer_load_dword v4, off, s[56:59], 0  ; 4-byte Folded Reload
	buffer_load_dword v5, off, s[56:59], 0 offset:4 ; 4-byte Folded Reload
	v_mul_f32_e32 v8, s35, v21
	v_mul_f32_e32 v9, s34, v21
	v_fma_f32 v8, v20, s34, -v8
	v_fmac_f32_e32 v9, s35, v20
	s_waitcnt vmcnt(1)
	v_add_co_u32_e64 v4, s[8:9], v2, v4
	s_waitcnt vmcnt(0)
	v_addc_co_u32_e64 v5, s[8:9], v3, v5, s[8:9]
	global_load_dwordx2 v[6:7], v[4:5], off
	s_waitcnt vmcnt(0)
	v_add_f32_e32 v6, v6, v8
	v_add_f32_e32 v7, v9, v7
	global_store_dwordx2 v[4:5], v[6:7], off
.LBB86_57:                              ;   in Loop: Header=BB86_4 Depth=1
	s_or_b64 exec, exec, s[10:11]
	s_and_b64 s[10:11], s[16:17], vcc
	s_and_saveexec_b64 s[8:9], s[10:11]
	s_cbranch_execz .LBB86_59
; %bb.58:                               ;   in Loop: Header=BB86_4 Depth=1
	v_add_co_u32_e32 v2, vcc, v2, v31
	v_addc_co_u32_e32 v3, vcc, v3, v32, vcc
	global_load_dwordx2 v[4:5], v[2:3], off
	v_mul_f32_e32 v6, s35, v19
	v_mul_f32_e32 v7, s34, v19
	v_fma_f32 v6, v18, s34, -v6
	v_fmac_f32_e32 v7, s35, v18
	s_waitcnt vmcnt(0)
	v_add_f32_e32 v4, v4, v6
	v_add_f32_e32 v5, v7, v5
	global_store_dwordx2 v[2:3], v[4:5], off
.LBB86_59:                              ;   in Loop: Header=BB86_4 Depth=1
	s_or_b64 exec, exec, s[8:9]
	v_add_u32_e32 v4, 16, v33
	v_ashrrev_i32_e32 v2, 31, v4
	v_mul_lo_u32 v5, s40, v2
	v_mul_lo_u32 v6, s41, v4
	v_mad_u64_u32 v[2:3], s[8:9], s40, v4, 0
	v_cmp_gt_i32_e32 vcc, s38, v4
	v_mov_b32_e32 v4, s50
	v_add3_u32 v3, v3, v5, v6
	v_lshlrev_b64 v[2:3], 3, v[2:3]
	v_add_co_u32_e64 v2, s[8:9], s49, v2
	v_addc_co_u32_e64 v3, s[8:9], v4, v3, s[8:9]
	s_and_b64 s[8:9], s[4:5], vcc
	s_and_saveexec_b64 s[10:11], s[8:9]
	s_cbranch_execz .LBB86_61
; %bb.60:                               ;   in Loop: Header=BB86_4 Depth=1
	buffer_load_dword v4, off, s[56:59], 0  ; 4-byte Folded Reload
	buffer_load_dword v5, off, s[56:59], 0 offset:4 ; 4-byte Folded Reload
	v_mul_f32_e32 v8, s35, v17
	v_mul_f32_e32 v9, s34, v17
	v_fma_f32 v8, v16, s34, -v8
	v_fmac_f32_e32 v9, s35, v16
	s_waitcnt vmcnt(1)
	v_add_co_u32_e64 v4, s[8:9], v2, v4
	s_waitcnt vmcnt(0)
	v_addc_co_u32_e64 v5, s[8:9], v3, v5, s[8:9]
	global_load_dwordx2 v[6:7], v[4:5], off
	s_waitcnt vmcnt(0)
	v_add_f32_e32 v6, v6, v8
	v_add_f32_e32 v7, v9, v7
	global_store_dwordx2 v[4:5], v[6:7], off
.LBB86_61:                              ;   in Loop: Header=BB86_4 Depth=1
	s_or_b64 exec, exec, s[10:11]
	s_and_b64 s[10:11], s[16:17], vcc
	s_and_saveexec_b64 s[8:9], s[10:11]
	s_cbranch_execz .LBB86_3
; %bb.62:                               ;   in Loop: Header=BB86_4 Depth=1
	v_add_co_u32_e32 v2, vcc, v2, v31
	v_addc_co_u32_e32 v3, vcc, v3, v32, vcc
	global_load_dwordx2 v[4:5], v[2:3], off
	v_mul_f32_e32 v6, s35, v14
	v_mul_f32_e32 v7, s34, v14
	v_fma_f32 v6, v15, s34, -v6
	v_fmac_f32_e32 v7, s35, v15
	s_waitcnt vmcnt(0)
	v_add_f32_e32 v4, v4, v6
	v_add_f32_e32 v5, v7, v5
	global_store_dwordx2 v[2:3], v[4:5], off
	s_branch .LBB86_3
.LBB86_63:
	s_endpgm
	.section	.rodata,"a",@progbits
	.p2align	6, 0x0
	.amdhsa_kernel _ZL30rocblas_trmm_outofplace_kernelI19rocblas_complex_numIfELi32ELi2ELb0ELb1ELb0ELb0EPKS1_S2_S1_Ev17rocblas_diagonal_iiT6_lPT7_lllS7_lllPT8_llli
		.amdhsa_group_segment_fixed_size 16384
		.amdhsa_private_segment_fixed_size 28
		.amdhsa_kernarg_size 392
		.amdhsa_user_sgpr_count 6
		.amdhsa_user_sgpr_private_segment_buffer 1
		.amdhsa_user_sgpr_dispatch_ptr 0
		.amdhsa_user_sgpr_queue_ptr 0
		.amdhsa_user_sgpr_kernarg_segment_ptr 1
		.amdhsa_user_sgpr_dispatch_id 0
		.amdhsa_user_sgpr_flat_scratch_init 0
		.amdhsa_user_sgpr_private_segment_size 0
		.amdhsa_uses_dynamic_stack 0
		.amdhsa_system_sgpr_private_segment_wavefront_offset 1
		.amdhsa_system_sgpr_workgroup_id_x 1
		.amdhsa_system_sgpr_workgroup_id_y 1
		.amdhsa_system_sgpr_workgroup_id_z 1
		.amdhsa_system_sgpr_workgroup_info 0
		.amdhsa_system_vgpr_workitem_id 1
		.amdhsa_next_free_vgpr 64
		.amdhsa_next_free_sgpr 61
		.amdhsa_reserve_vcc 1
		.amdhsa_reserve_flat_scratch 0
		.amdhsa_float_round_mode_32 0
		.amdhsa_float_round_mode_16_64 0
		.amdhsa_float_denorm_mode_32 3
		.amdhsa_float_denorm_mode_16_64 3
		.amdhsa_dx10_clamp 1
		.amdhsa_ieee_mode 1
		.amdhsa_fp16_overflow 0
		.amdhsa_exception_fp_ieee_invalid_op 0
		.amdhsa_exception_fp_denorm_src 0
		.amdhsa_exception_fp_ieee_div_zero 0
		.amdhsa_exception_fp_ieee_overflow 0
		.amdhsa_exception_fp_ieee_underflow 0
		.amdhsa_exception_fp_ieee_inexact 0
		.amdhsa_exception_int_div_zero 0
	.end_amdhsa_kernel
	.section	.text._ZL30rocblas_trmm_outofplace_kernelI19rocblas_complex_numIfELi32ELi2ELb0ELb1ELb0ELb0EPKS1_S2_S1_Ev17rocblas_diagonal_iiT6_lPT7_lllS7_lllPT8_llli,"axG",@progbits,_ZL30rocblas_trmm_outofplace_kernelI19rocblas_complex_numIfELi32ELi2ELb0ELb1ELb0ELb0EPKS1_S2_S1_Ev17rocblas_diagonal_iiT6_lPT7_lllS7_lllPT8_llli,comdat
.Lfunc_end86:
	.size	_ZL30rocblas_trmm_outofplace_kernelI19rocblas_complex_numIfELi32ELi2ELb0ELb1ELb0ELb0EPKS1_S2_S1_Ev17rocblas_diagonal_iiT6_lPT7_lllS7_lllPT8_llli, .Lfunc_end86-_ZL30rocblas_trmm_outofplace_kernelI19rocblas_complex_numIfELi32ELi2ELb0ELb1ELb0ELb0EPKS1_S2_S1_Ev17rocblas_diagonal_iiT6_lPT7_lllS7_lllPT8_llli
                                        ; -- End function
	.set _ZL30rocblas_trmm_outofplace_kernelI19rocblas_complex_numIfELi32ELi2ELb0ELb1ELb0ELb0EPKS1_S2_S1_Ev17rocblas_diagonal_iiT6_lPT7_lllS7_lllPT8_llli.num_vgpr, 64
	.set _ZL30rocblas_trmm_outofplace_kernelI19rocblas_complex_numIfELi32ELi2ELb0ELb1ELb0ELb0EPKS1_S2_S1_Ev17rocblas_diagonal_iiT6_lPT7_lllS7_lllPT8_llli.num_agpr, 0
	.set _ZL30rocblas_trmm_outofplace_kernelI19rocblas_complex_numIfELi32ELi2ELb0ELb1ELb0ELb0EPKS1_S2_S1_Ev17rocblas_diagonal_iiT6_lPT7_lllS7_lllPT8_llli.numbered_sgpr, 60
	.set _ZL30rocblas_trmm_outofplace_kernelI19rocblas_complex_numIfELi32ELi2ELb0ELb1ELb0ELb0EPKS1_S2_S1_Ev17rocblas_diagonal_iiT6_lPT7_lllS7_lllPT8_llli.num_named_barrier, 0
	.set _ZL30rocblas_trmm_outofplace_kernelI19rocblas_complex_numIfELi32ELi2ELb0ELb1ELb0ELb0EPKS1_S2_S1_Ev17rocblas_diagonal_iiT6_lPT7_lllS7_lllPT8_llli.private_seg_size, 28
	.set _ZL30rocblas_trmm_outofplace_kernelI19rocblas_complex_numIfELi32ELi2ELb0ELb1ELb0ELb0EPKS1_S2_S1_Ev17rocblas_diagonal_iiT6_lPT7_lllS7_lllPT8_llli.uses_vcc, 1
	.set _ZL30rocblas_trmm_outofplace_kernelI19rocblas_complex_numIfELi32ELi2ELb0ELb1ELb0ELb0EPKS1_S2_S1_Ev17rocblas_diagonal_iiT6_lPT7_lllS7_lllPT8_llli.uses_flat_scratch, 0
	.set _ZL30rocblas_trmm_outofplace_kernelI19rocblas_complex_numIfELi32ELi2ELb0ELb1ELb0ELb0EPKS1_S2_S1_Ev17rocblas_diagonal_iiT6_lPT7_lllS7_lllPT8_llli.has_dyn_sized_stack, 0
	.set _ZL30rocblas_trmm_outofplace_kernelI19rocblas_complex_numIfELi32ELi2ELb0ELb1ELb0ELb0EPKS1_S2_S1_Ev17rocblas_diagonal_iiT6_lPT7_lllS7_lllPT8_llli.has_recursion, 0
	.set _ZL30rocblas_trmm_outofplace_kernelI19rocblas_complex_numIfELi32ELi2ELb0ELb1ELb0ELb0EPKS1_S2_S1_Ev17rocblas_diagonal_iiT6_lPT7_lllS7_lllPT8_llli.has_indirect_call, 0
	.section	.AMDGPU.csdata,"",@progbits
; Kernel info:
; codeLenInByte = 6596
; TotalNumSgprs: 64
; NumVgprs: 64
; ScratchSize: 28
; MemoryBound: 1
; FloatMode: 240
; IeeeMode: 1
; LDSByteSize: 16384 bytes/workgroup (compile time only)
; SGPRBlocks: 8
; VGPRBlocks: 15
; NumSGPRsForWavesPerEU: 65
; NumVGPRsForWavesPerEU: 64
; Occupancy: 4
; WaveLimiterHint : 0
; COMPUTE_PGM_RSRC2:SCRATCH_EN: 1
; COMPUTE_PGM_RSRC2:USER_SGPR: 6
; COMPUTE_PGM_RSRC2:TRAP_HANDLER: 0
; COMPUTE_PGM_RSRC2:TGID_X_EN: 1
; COMPUTE_PGM_RSRC2:TGID_Y_EN: 1
; COMPUTE_PGM_RSRC2:TGID_Z_EN: 1
; COMPUTE_PGM_RSRC2:TIDIG_COMP_CNT: 1
	.section	.text._ZL30rocblas_trmm_outofplace_kernelI19rocblas_complex_numIfELi32ELi2ELb0ELb1ELb0ELb0ES1_KS1_S1_Ev17rocblas_diagonal_iiT6_lPT7_lllS6_lllPT8_llli,"axG",@progbits,_ZL30rocblas_trmm_outofplace_kernelI19rocblas_complex_numIfELi32ELi2ELb0ELb1ELb0ELb0ES1_KS1_S1_Ev17rocblas_diagonal_iiT6_lPT7_lllS6_lllPT8_llli,comdat
	.globl	_ZL30rocblas_trmm_outofplace_kernelI19rocblas_complex_numIfELi32ELi2ELb0ELb1ELb0ELb0ES1_KS1_S1_Ev17rocblas_diagonal_iiT6_lPT7_lllS6_lllPT8_llli ; -- Begin function _ZL30rocblas_trmm_outofplace_kernelI19rocblas_complex_numIfELi32ELi2ELb0ELb1ELb0ELb0ES1_KS1_S1_Ev17rocblas_diagonal_iiT6_lPT7_lllS6_lllPT8_llli
	.p2align	8
	.type	_ZL30rocblas_trmm_outofplace_kernelI19rocblas_complex_numIfELi32ELi2ELb0ELb1ELb0ELb0ES1_KS1_S1_Ev17rocblas_diagonal_iiT6_lPT7_lllS6_lllPT8_llli,@function
_ZL30rocblas_trmm_outofplace_kernelI19rocblas_complex_numIfELi32ELi2ELb0ELb1ELb0ELb0ES1_KS1_S1_Ev17rocblas_diagonal_iiT6_lPT7_lllS6_lllPT8_llli: ; @_ZL30rocblas_trmm_outofplace_kernelI19rocblas_complex_numIfELi32ELi2ELb0ELb1ELb0ELb0ES1_KS1_S1_Ev17rocblas_diagonal_iiT6_lPT7_lllS6_lllPT8_llli
; %bb.0:
	s_load_dwordx4 s[28:31], s[4:5], 0x0
	s_load_dword s33, s[4:5], 0x10
	s_mov_b64 s[58:59], s[2:3]
	s_mov_b64 s[56:57], s[0:1]
	s_add_u32 s56, s56, s9
	s_addc_u32 s57, s57, 0
	s_waitcnt lgkmcnt(0)
	s_or_b32 s0, s31, s33
	s_bitset0_b32 s0, 31
	s_cmp_eq_u32 s0, 0
	s_cbranch_scc1 .LBB87_63
; %bb.1:
	s_add_i32 s0, s30, -1
	s_ashr_i32 s1, s0, 31
	s_lshr_b32 s1, s1, 27
	s_add_i32 s0, s0, s1
	s_ashr_i32 s52, s0, 5
	s_cmp_gt_i32 s7, s52
	s_cbranch_scc1 .LBB87_63
; %bb.2:
	s_load_dwordx16 s[36:51], s[4:5], 0x20
	s_load_dwordx8 s[20:27], s[4:5], 0x60
	v_lshl_add_u32 v2, s6, 5, v0
	v_ashrrev_i32_e32 v3, 31, v2
	v_lshlrev_b64 v[5:6], 3, v[2:3]
	s_waitcnt lgkmcnt(0)
	s_mul_i32 s1, s51, s8
	s_mul_hi_u32 s2, s50, s8
	s_mul_i32 s0, s50, s8
	s_add_i32 s1, s2, s1
	s_lshl_b64 s[0:1], s[0:1], 3
	s_add_u32 s2, s44, s0
	s_addc_u32 s3, s45, s1
	s_lshl_b64 s[0:1], s[46:47], 3
	s_add_u32 s2, s2, s0
	v_add_co_u32_e32 v7, vcc, s2, v5
	buffer_store_dword v5, off, s[56:59], 0 ; 4-byte Folded Spill
	s_nop 0
	buffer_store_dword v6, off, s[56:59], 0 offset:4 ; 4-byte Folded Spill
	s_addc_u32 s3, s3, s1
	s_mul_i32 s0, s27, s8
	s_mul_hi_u32 s1, s26, s8
	s_add_i32 s1, s1, s0
	s_mul_i32 s0, s26, s8
	s_lshl_b64 s[0:1], s[0:1], 3
	s_add_u32 s9, s20, s0
	s_addc_u32 s10, s21, s1
	s_lshl_b64 s[0:1], s[22:23], 3
	s_add_u32 s50, s9, s0
	s_addc_u32 s51, s10, s1
	v_mov_b32_e32 v4, s3
	s_cmpk_eq_i32 s28, 0x84
	s_cselect_b64 s[22:23], -1, 0
	s_ashr_i32 s0, s29, 31
	v_mov_b32_e32 v5, s0
	s_ashr_i32 s27, s30, 31
	s_lshl_b64 s[34:35], s[48:49], 8
	s_add_u32 s44, s30, -16
	s_mul_i32 s9, s43, s8
	s_addc_u32 s45, s27, -1
	v_lshlrev_b32_e32 v50, 3, v0
	v_lshlrev_b32_e32 v49, 8, v1
	v_or_b32_e32 v52, 0x2000, v50
	v_mov_b32_e32 v23, 0
	s_mov_b32 s26, s30
	v_add_u32_e32 v51, v49, v50
	v_add_u32_e32 v53, v52, v49
	v_lshl_add_u32 v28, s7, 5, v1
	v_mov_b32_e32 v22, 1.0
	v_addc_co_u32_e32 v8, vcc, v4, v6, vcc
	buffer_store_dword v7, off, s[56:59], 0 offset:8 ; 4-byte Folded Spill
	s_nop 0
	buffer_store_dword v8, off, s[56:59], 0 offset:12 ; 4-byte Folded Spill
	v_sub_co_u32_e32 v4, vcc, s29, v2
	v_subb_co_u32_e32 v5, vcc, v5, v3, vcc
	s_load_dword s6, s[4:5], 0x8c
	v_cmp_gt_i64_e64 s[0:1], 1, v[4:5]
	v_cmp_gt_i64_e64 s[2:3], 17, v[4:5]
	v_sub_co_u32_e32 v4, vcc, 0, v0
	buffer_store_dword v4, off, s[56:59], 0 offset:16 ; 4-byte Folded Spill
	v_subb_co_u32_e64 v4, s[10:11], 0, 0, vcc
	s_mul_hi_u32 s10, s42, s8
	s_add_i32 s9, s10, s9
	s_mul_i32 s8, s42, s8
	buffer_store_dword v4, off, s[56:59], 0 offset:20 ; 4-byte Folded Spill
	s_waitcnt lgkmcnt(0)
	s_lshl_b32 s53, s6, 5
	s_lshl_b64 s[8:9], s[8:9], 3
	s_lshl_b64 s[10:11], s[38:39], 3
	v_mad_u64_u32 v[4:5], s[12:13], s48, v1, 0
	s_add_u32 s8, s8, s10
	s_addc_u32 s9, s9, s11
	v_cmp_gt_i32_e64 s[4:5], s29, v2
	v_add_u32_e32 v2, 16, v2
	s_add_u32 s28, s36, s8
	v_cmp_gt_i32_e64 s[16:17], s29, v2
	s_addc_u32 s29, s37, s9
	v_mad_u64_u32 v[5:6], s[8:9], s49, v1, v[5:6]
	v_mov_b32_e32 v6, 0x80
	v_lshl_add_u32 v7, v1, 3, v6
	v_mad_u64_u32 v[30:31], s[8:9], s48, v7, 0
	v_lshlrev_b64 v[4:5], 3, v[4:5]
	v_ashrrev_i32_e32 v3, 31, v2
	v_mov_b32_e32 v6, v31
	v_mad_u64_u32 v[6:7], s[8:9], s49, v7, v[6:7]
	s_movk_i32 s10, 0x80
	v_add_co_u32_e32 v56, vcc, s10, v4
	v_lshlrev_b64 v[31:32], 3, v[2:3]
	v_addc_co_u32_e32 v57, vcc, 0, v5, vcc
	s_lshl_b64 s[36:37], s[40:41], 3
	v_mov_b32_e32 v58, v6
	s_movk_i32 s48, 0x100
	s_branch .LBB87_4
.LBB87_3:                               ;   in Loop: Header=BB87_4 Depth=1
	s_or_b64 exec, exec, s[8:9]
	s_add_i32 s7, s6, s7
	s_cmp_le_i32 s7, s52
	v_add_u32_e32 v28, s53, v28
	s_cbranch_scc0 .LBB87_63
.LBB87_4:                               ; =>This Loop Header: Depth=1
                                        ;     Child Loop BB87_7 Depth 2
	s_lshl_b32 s49, s7, 5
	v_add_u32_e32 v33, s49, v1
	v_ashrrev_i32_e32 v34, 31, v33
	s_cmp_lt_i32 s7, 0
	v_mov_b32_e32 v20, v23
	v_mov_b32_e32 v21, v23
	;; [unrolled: 1-line block ×8, first 2 shown]
	s_cbranch_scc1 .LBB87_55
; %bb.5:                                ;   in Loop: Header=BB87_4 Depth=1
	v_ashrrev_i32_e32 v29, 31, v28
	v_lshlrev_b64 v[2:3], 3, v[28:29]
	v_mov_b32_e32 v14, 0
	v_add_co_u32_e32 v4, vcc, 0x80, v2
	v_addc_co_u32_e32 v2, vcc, 0, v3, vcc
	v_mul_lo_u32 v5, s40, v2
	v_mov_b32_e32 v2, s28
	v_mov_b32_e32 v3, s29
	v_mul_lo_u32 v6, s41, v4
	v_mad_u64_u32 v[35:36], s[8:9], s40, v4, v[2:3]
	buffer_load_dword v4, off, s[56:59], 0 offset:16 ; 4-byte Folded Reload
	v_mad_u64_u32 v[37:38], s[8:9], s36, v28, v[2:3]
	v_mul_lo_u32 v2, s37, v28
	v_mul_lo_u32 v3, s36, v29
	v_add3_u32 v36, v6, v36, v5
	v_cmp_le_i32_e64 s[8:9], s30, v33
	s_mov_b64 s[38:39], 0
	v_add3_u32 v38, v2, v38, v3
	v_mov_b32_e32 v15, 0
	v_mov_b32_e32 v17, 0
	;; [unrolled: 1-line block ×7, first 2 shown]
	s_waitcnt vmcnt(0)
	v_add_co_u32_e32 v39, vcc, v4, v28
	buffer_load_dword v4, off, s[56:59], 0 offset:20 ; 4-byte Folded Reload
	buffer_load_dword v47, off, s[56:59], 0 offset:8 ; 4-byte Folded Reload
	;; [unrolled: 1-line block ×3, first 2 shown]
	s_waitcnt vmcnt(2)
	v_addc_co_u32_e32 v40, vcc, v4, v29, vcc
	v_add_co_u32_e32 v41, vcc, 16, v33
	v_addc_co_u32_e32 v42, vcc, 0, v34, vcc
	v_add_co_u32_e32 v43, vcc, 16, v39
	v_addc_co_u32_e32 v44, vcc, 0, v40, vcc
	v_cmp_le_i64_e64 s[10:11], s[26:27], v[41:42]
	v_add_co_u32_e32 v45, vcc, -16, v39
	v_addc_co_u32_e32 v46, vcc, -1, v40, vcc
	s_branch .LBB87_7
.LBB87_6:                               ;   in Loop: Header=BB87_7 Depth=2
	s_or_b64 exec, exec, s[12:13]
	s_waitcnt lgkmcnt(0)
	s_barrier
	ds_read_b128 v[59:62], v49
	ds_read_b128 v[10:13], v49 offset:16
	ds_read_b128 v[6:9], v49 offset:32
	;; [unrolled: 1-line block ×3, first 2 shown]
	ds_read2_b64 v[24:27], v52 offset1:16
	v_add_co_u32_e32 v35, vcc, s48, v35
	v_addc_co_u32_e32 v36, vcc, 0, v36, vcc
	s_waitcnt lgkmcnt(0)
	v_mul_f32_e32 v29, v60, v25
	v_mul_f32_e32 v63, v59, v25
	v_fma_f32 v29, v59, v24, -v29
	v_fmac_f32_e32 v63, v60, v24
	v_add_f32_e32 v29, v20, v29
	v_add_f32_e32 v63, v21, v63
	v_mul_f32_e32 v20, v60, v27
	v_mul_f32_e32 v21, v59, v27
	v_fma_f32 v20, v59, v26, -v20
	v_fmac_f32_e32 v21, v60, v26
	v_add_f32_e32 v59, v18, v20
	v_add_f32_e32 v60, v19, v21
	ds_read_b128 v[18:21], v49 offset:4096
	v_add_co_u32_e32 v47, vcc, s34, v47
	s_add_u32 s38, s38, 32
	s_addc_u32 s39, s39, 0
	s_waitcnt lgkmcnt(0)
	v_mul_f32_e32 v54, v19, v25
	v_mul_f32_e32 v25, v18, v25
	v_fma_f32 v54, v18, v24, -v54
	v_fmac_f32_e32 v25, v19, v24
	v_add_f32_e32 v24, v16, v54
	v_add_f32_e32 v25, v17, v25
	v_mul_f32_e32 v16, v19, v27
	v_mul_f32_e32 v17, v18, v27
	v_fma_f32 v16, v18, v26, -v16
	v_fmac_f32_e32 v17, v19, v26
	v_add_f32_e32 v18, v15, v16
	v_add_f32_e32 v19, v14, v17
	ds_read2_b64 v[14:17], v52 offset0:32 offset1:48
	s_sub_i32 s12, s38, 32
	s_cmp_ge_i32 s12, s49
	s_waitcnt lgkmcnt(0)
	v_mul_f32_e32 v26, v62, v15
	v_fma_f32 v26, v61, v14, -v26
	v_add_f32_e32 v26, v29, v26
	v_mul_f32_e32 v29, v62, v17
	v_fma_f32 v29, v61, v16, -v29
	v_mul_f32_e32 v27, v61, v15
	v_add_f32_e32 v55, v59, v29
	v_mul_f32_e32 v29, v21, v15
	v_mul_f32_e32 v15, v20, v15
	v_fmac_f32_e32 v15, v21, v14
	v_fmac_f32_e32 v27, v62, v14
	v_mul_f32_e32 v54, v61, v17
	v_fma_f32 v29, v20, v14, -v29
	v_add_f32_e32 v61, v25, v15
	v_mul_f32_e32 v14, v21, v17
	v_mul_f32_e32 v15, v20, v17
	v_fma_f32 v14, v20, v16, -v14
	v_fmac_f32_e32 v15, v21, v16
	v_add_f32_e32 v27, v63, v27
	v_fmac_f32_e32 v54, v62, v16
	v_add_f32_e32 v62, v18, v14
	v_add_f32_e32 v63, v19, v15
	ds_read2_b64 v[14:17], v52 offset0:64 offset1:80
	v_add_f32_e32 v54, v60, v54
	v_add_f32_e32 v60, v24, v29
	s_waitcnt lgkmcnt(0)
	v_mul_f32_e32 v18, v11, v15
	v_mul_f32_e32 v19, v10, v15
	v_fma_f32 v18, v10, v14, -v18
	v_fmac_f32_e32 v19, v11, v14
	v_add_f32_e32 v29, v26, v18
	v_add_f32_e32 v59, v27, v19
	v_mul_f32_e32 v18, v11, v17
	v_mul_f32_e32 v19, v10, v17
	v_fma_f32 v18, v10, v16, -v18
	v_fmac_f32_e32 v19, v11, v16
	v_add_f32_e32 v10, v55, v18
	v_add_f32_e32 v11, v54, v19
	ds_read_b128 v[18:21], v49 offset:4112
	s_waitcnt lgkmcnt(0)
	v_mul_f32_e32 v24, v19, v15
	v_mul_f32_e32 v15, v18, v15
	v_fmac_f32_e32 v15, v19, v14
	v_fma_f32 v24, v18, v14, -v24
	v_add_f32_e32 v25, v61, v15
	v_mul_f32_e32 v14, v19, v17
	v_mul_f32_e32 v15, v18, v17
	v_fma_f32 v14, v18, v16, -v14
	v_fmac_f32_e32 v15, v19, v16
	v_add_f32_e32 v18, v62, v14
	v_add_f32_e32 v19, v63, v15
	ds_read2_b64 v[14:17], v52 offset0:96 offset1:112
	v_add_f32_e32 v24, v60, v24
	s_waitcnt lgkmcnt(0)
	v_mul_f32_e32 v26, v13, v15
	v_fma_f32 v26, v12, v14, -v26
	v_add_f32_e32 v26, v29, v26
	v_mul_f32_e32 v29, v13, v17
	v_mul_f32_e32 v27, v12, v15
	v_fma_f32 v29, v12, v16, -v29
	v_mul_f32_e32 v12, v12, v17
	v_fmac_f32_e32 v12, v13, v16
	v_add_f32_e32 v29, v10, v29
	v_add_f32_e32 v54, v11, v12
	v_mul_f32_e32 v10, v21, v15
	v_mul_f32_e32 v11, v20, v15
	v_fma_f32 v10, v20, v14, -v10
	v_fmac_f32_e32 v11, v21, v14
	v_fmac_f32_e32 v27, v13, v14
	v_add_f32_e32 v14, v24, v10
	v_add_f32_e32 v15, v25, v11
	v_mul_f32_e32 v10, v21, v17
	v_mul_f32_e32 v11, v20, v17
	v_fma_f32 v10, v20, v16, -v10
	v_fmac_f32_e32 v11, v21, v16
	v_add_f32_e32 v20, v18, v10
	v_add_f32_e32 v21, v19, v11
	ds_read2_b64 v[10:13], v52 offset0:128 offset1:144
	v_add_f32_e32 v27, v59, v27
	s_waitcnt lgkmcnt(0)
	v_mul_f32_e32 v16, v7, v11
	v_fma_f32 v16, v6, v10, -v16
	v_mul_f32_e32 v17, v6, v11
	v_add_f32_e32 v24, v26, v16
	v_mul_f32_e32 v16, v7, v13
	v_fmac_f32_e32 v17, v7, v10
	v_fma_f32 v16, v6, v12, -v16
	v_mul_f32_e32 v6, v6, v13
	v_add_f32_e32 v25, v27, v17
	v_fmac_f32_e32 v6, v7, v12
	v_add_f32_e32 v7, v29, v16
	ds_read_b128 v[16:19], v49 offset:4128
	v_add_f32_e32 v6, v54, v6
	s_waitcnt lgkmcnt(0)
	v_mul_f32_e32 v26, v17, v11
	v_mul_f32_e32 v11, v16, v11
	v_fmac_f32_e32 v11, v17, v10
	v_fma_f32 v26, v16, v10, -v26
	v_add_f32_e32 v15, v15, v11
	v_mul_f32_e32 v10, v17, v13
	v_mul_f32_e32 v11, v16, v13
	v_fma_f32 v10, v16, v12, -v10
	v_fmac_f32_e32 v11, v17, v12
	v_add_f32_e32 v20, v20, v10
	v_add_f32_e32 v21, v21, v11
	ds_read2_b64 v[10:13], v52 offset0:160 offset1:176
	v_add_f32_e32 v14, v14, v26
	s_waitcnt lgkmcnt(0)
	v_mul_f32_e32 v16, v9, v11
	v_fma_f32 v16, v8, v10, -v16
	v_add_f32_e32 v24, v24, v16
	v_mul_f32_e32 v16, v9, v13
	v_mul_f32_e32 v17, v8, v11
	v_fma_f32 v16, v8, v12, -v16
	v_mul_f32_e32 v8, v8, v13
	v_fmac_f32_e32 v8, v9, v12
	v_add_f32_e32 v26, v7, v16
	v_add_f32_e32 v27, v6, v8
	v_mul_f32_e32 v6, v19, v11
	v_mul_f32_e32 v7, v18, v11
	v_fmac_f32_e32 v17, v9, v10
	v_fma_f32 v6, v18, v10, -v6
	v_fmac_f32_e32 v7, v19, v10
	v_add_f32_e32 v25, v25, v17
	v_add_f32_e32 v16, v14, v6
	;; [unrolled: 1-line block ×3, first 2 shown]
	v_mul_f32_e32 v6, v19, v13
	v_mul_f32_e32 v7, v18, v13
	v_fma_f32 v6, v18, v12, -v6
	v_fmac_f32_e32 v7, v19, v12
	v_add_f32_e32 v18, v20, v6
	v_add_f32_e32 v19, v21, v7
	ds_read2_b64 v[6:9], v52 offset0:192 offset1:208
	s_waitcnt lgkmcnt(0)
	v_mul_f32_e32 v10, v3, v7
	v_mul_f32_e32 v11, v2, v7
	v_fma_f32 v10, v2, v6, -v10
	v_fmac_f32_e32 v11, v3, v6
	v_add_f32_e32 v14, v24, v10
	v_add_f32_e32 v15, v25, v11
	v_mul_f32_e32 v10, v3, v9
	v_mul_f32_e32 v11, v2, v9
	v_fma_f32 v10, v2, v8, -v10
	v_fmac_f32_e32 v11, v3, v8
	v_add_f32_e32 v2, v26, v10
	v_add_f32_e32 v3, v27, v11
	ds_read_b128 v[10:13], v49 offset:4144
	s_waitcnt lgkmcnt(0)
	v_mul_f32_e32 v20, v11, v7
	v_mul_f32_e32 v7, v10, v7
	v_fmac_f32_e32 v7, v11, v6
	v_fma_f32 v20, v10, v6, -v20
	v_add_f32_e32 v17, v17, v7
	v_mul_f32_e32 v6, v11, v9
	v_mul_f32_e32 v7, v10, v9
	v_fma_f32 v6, v10, v8, -v6
	v_fmac_f32_e32 v7, v11, v8
	v_add_f32_e32 v10, v18, v6
	v_add_f32_e32 v11, v19, v7
	ds_read2_b64 v[6:9], v52 offset0:224 offset1:240
	v_add_f32_e32 v16, v16, v20
	s_waitcnt lgkmcnt(0)
	v_mul_f32_e32 v18, v5, v7
	v_fma_f32 v18, v4, v6, -v18
	v_add_f32_e32 v18, v14, v18
	v_mul_f32_e32 v14, v5, v9
	v_mul_f32_e32 v19, v4, v7
	v_fma_f32 v14, v4, v8, -v14
	v_mul_f32_e32 v4, v4, v9
	v_fmac_f32_e32 v19, v5, v6
	v_fmac_f32_e32 v4, v5, v8
	v_add_f32_e32 v15, v15, v19
	v_add_f32_e32 v19, v2, v14
	;; [unrolled: 1-line block ×3, first 2 shown]
	v_mul_f32_e32 v2, v13, v7
	v_mul_f32_e32 v3, v12, v7
	v_fma_f32 v2, v12, v6, -v2
	v_fmac_f32_e32 v3, v13, v6
	v_add_f32_e32 v21, v16, v2
	v_add_f32_e32 v24, v17, v3
	v_mul_f32_e32 v2, v13, v9
	v_mul_f32_e32 v3, v12, v9
	v_fma_f32 v2, v12, v8, -v2
	v_fmac_f32_e32 v3, v13, v8
	v_add_u32_e32 v14, 0x800, v52
	v_add_f32_e32 v10, v10, v2
	v_add_f32_e32 v11, v11, v3
	ds_read_b128 v[2:5], v49 offset:64
	ds_read2_b64 v[6:9], v14 offset1:16
	s_waitcnt lgkmcnt(0)
	v_mul_f32_e32 v13, v2, v7
	v_fmac_f32_e32 v13, v3, v6
	v_mul_f32_e32 v12, v3, v7
	v_add_f32_e32 v13, v15, v13
	v_mul_f32_e32 v15, v3, v9
	v_fma_f32 v12, v2, v6, -v12
	v_fma_f32 v15, v2, v8, -v15
	v_mul_f32_e32 v2, v2, v9
	v_add_f32_e32 v12, v18, v12
	v_fmac_f32_e32 v2, v3, v8
	v_add_f32_e32 v3, v19, v15
	ds_read_b128 v[15:18], v49 offset:4160
	v_add_f32_e32 v2, v20, v2
	s_waitcnt lgkmcnt(0)
	v_mul_f32_e32 v19, v16, v7
	v_mul_f32_e32 v7, v15, v7
	v_fmac_f32_e32 v7, v16, v6
	v_fma_f32 v19, v15, v6, -v19
	v_add_f32_e32 v20, v24, v7
	v_mul_f32_e32 v6, v16, v9
	v_mul_f32_e32 v7, v15, v9
	v_fma_f32 v6, v15, v8, -v6
	v_fmac_f32_e32 v7, v16, v8
	v_add_f32_e32 v19, v21, v19
	v_add_f32_e32 v21, v10, v6
	;; [unrolled: 1-line block ×3, first 2 shown]
	ds_read2_b64 v[6:9], v14 offset0:32 offset1:48
	s_waitcnt lgkmcnt(0)
	v_mul_f32_e32 v10, v5, v7
	v_fma_f32 v10, v4, v6, -v10
	v_add_f32_e32 v10, v12, v10
	v_mul_f32_e32 v12, v5, v9
	v_mul_f32_e32 v11, v4, v7
	v_fma_f32 v12, v4, v8, -v12
	v_mul_f32_e32 v4, v4, v9
	v_fmac_f32_e32 v11, v5, v6
	v_fmac_f32_e32 v4, v5, v8
	v_add_f32_e32 v11, v13, v11
	v_add_f32_e32 v12, v3, v12
	;; [unrolled: 1-line block ×3, first 2 shown]
	v_mul_f32_e32 v2, v18, v7
	v_mul_f32_e32 v3, v17, v7
	v_fma_f32 v2, v17, v6, -v2
	v_fmac_f32_e32 v3, v18, v6
	v_add_f32_e32 v15, v19, v2
	v_add_f32_e32 v16, v20, v3
	v_mul_f32_e32 v2, v18, v9
	v_mul_f32_e32 v3, v17, v9
	v_fma_f32 v2, v17, v8, -v2
	v_fmac_f32_e32 v3, v18, v8
	v_add_f32_e32 v17, v21, v2
	v_add_f32_e32 v18, v24, v3
	ds_read_b128 v[2:5], v49 offset:80
	ds_read2_b64 v[6:9], v14 offset0:64 offset1:80
	s_waitcnt lgkmcnt(0)
	v_mul_f32_e32 v19, v3, v7
	v_mul_f32_e32 v20, v2, v7
	v_fma_f32 v19, v2, v6, -v19
	v_fmac_f32_e32 v20, v3, v6
	v_add_f32_e32 v19, v10, v19
	v_add_f32_e32 v20, v11, v20
	v_mul_f32_e32 v10, v3, v9
	v_mul_f32_e32 v11, v2, v9
	v_fma_f32 v10, v2, v8, -v10
	v_fmac_f32_e32 v11, v3, v8
	v_add_f32_e32 v2, v12, v10
	v_add_f32_e32 v3, v13, v11
	ds_read_b128 v[10:13], v49 offset:4176
	s_waitcnt lgkmcnt(0)
	v_mul_f32_e32 v21, v11, v7
	v_mul_f32_e32 v7, v10, v7
	v_fmac_f32_e32 v7, v11, v6
	v_fma_f32 v21, v10, v6, -v21
	v_add_f32_e32 v16, v16, v7
	v_mul_f32_e32 v6, v11, v9
	v_mul_f32_e32 v7, v10, v9
	v_fma_f32 v6, v10, v8, -v6
	v_fmac_f32_e32 v7, v11, v8
	v_add_f32_e32 v10, v17, v6
	v_add_f32_e32 v11, v18, v7
	ds_read2_b64 v[6:9], v14 offset0:96 offset1:112
	v_add_f32_e32 v15, v15, v21
	s_waitcnt lgkmcnt(0)
	v_mul_f32_e32 v17, v5, v7
	v_fma_f32 v17, v4, v6, -v17
	v_add_f32_e32 v17, v19, v17
	v_mul_f32_e32 v19, v5, v9
	v_mul_f32_e32 v18, v4, v7
	v_fma_f32 v19, v4, v8, -v19
	v_mul_f32_e32 v4, v4, v9
	v_fmac_f32_e32 v18, v5, v6
	v_fmac_f32_e32 v4, v5, v8
	v_add_f32_e32 v18, v20, v18
	v_add_f32_e32 v19, v2, v19
	;; [unrolled: 1-line block ×3, first 2 shown]
	v_mul_f32_e32 v2, v13, v7
	v_mul_f32_e32 v3, v12, v7
	v_fma_f32 v2, v12, v6, -v2
	v_fmac_f32_e32 v3, v13, v6
	v_add_f32_e32 v21, v15, v2
	v_add_f32_e32 v24, v16, v3
	v_mul_f32_e32 v2, v13, v9
	v_mul_f32_e32 v3, v12, v9
	v_fma_f32 v2, v12, v8, -v2
	v_fmac_f32_e32 v3, v13, v8
	v_add_f32_e32 v10, v10, v2
	v_add_f32_e32 v11, v11, v3
	ds_read_b128 v[2:5], v49 offset:96
	ds_read2_b64 v[6:9], v14 offset0:128 offset1:144
	s_waitcnt lgkmcnt(0)
	v_mul_f32_e32 v12, v3, v7
	v_mul_f32_e32 v13, v2, v7
	;; [unrolled: 1-line block ×3, first 2 shown]
	v_fma_f32 v12, v2, v6, -v12
	v_fmac_f32_e32 v13, v3, v6
	v_fma_f32 v15, v2, v8, -v15
	v_mul_f32_e32 v2, v2, v9
	v_add_f32_e32 v12, v17, v12
	v_add_f32_e32 v13, v18, v13
	v_fmac_f32_e32 v2, v3, v8
	v_add_f32_e32 v3, v19, v15
	ds_read_b128 v[15:18], v49 offset:4192
	v_add_f32_e32 v2, v20, v2
	s_waitcnt lgkmcnt(0)
	v_mul_f32_e32 v19, v16, v7
	v_mul_f32_e32 v7, v15, v7
	v_fmac_f32_e32 v7, v16, v6
	v_fma_f32 v19, v15, v6, -v19
	v_add_f32_e32 v20, v24, v7
	v_mul_f32_e32 v6, v16, v9
	v_mul_f32_e32 v7, v15, v9
	v_fma_f32 v6, v15, v8, -v6
	v_fmac_f32_e32 v7, v16, v8
	v_add_f32_e32 v19, v21, v19
	v_add_f32_e32 v21, v10, v6
	;; [unrolled: 1-line block ×3, first 2 shown]
	ds_read2_b64 v[6:9], v14 offset0:160 offset1:176
	s_waitcnt lgkmcnt(0)
	v_mul_f32_e32 v10, v5, v7
	v_fma_f32 v10, v4, v6, -v10
	v_add_f32_e32 v10, v12, v10
	v_mul_f32_e32 v12, v5, v9
	v_mul_f32_e32 v11, v4, v7
	v_fma_f32 v12, v4, v8, -v12
	v_mul_f32_e32 v4, v4, v9
	v_fmac_f32_e32 v11, v5, v6
	v_fmac_f32_e32 v4, v5, v8
	v_add_f32_e32 v11, v13, v11
	v_add_f32_e32 v12, v3, v12
	;; [unrolled: 1-line block ×3, first 2 shown]
	v_mul_f32_e32 v2, v18, v7
	v_mul_f32_e32 v3, v17, v7
	v_fma_f32 v2, v17, v6, -v2
	v_fmac_f32_e32 v3, v18, v6
	v_add_f32_e32 v15, v19, v2
	v_add_f32_e32 v16, v20, v3
	v_mul_f32_e32 v2, v18, v9
	v_mul_f32_e32 v3, v17, v9
	v_fma_f32 v2, v17, v8, -v2
	v_fmac_f32_e32 v3, v18, v8
	v_add_f32_e32 v17, v21, v2
	v_add_f32_e32 v18, v24, v3
	ds_read_b128 v[2:5], v49 offset:112
	ds_read2_b64 v[6:9], v14 offset0:192 offset1:208
	s_waitcnt lgkmcnt(0)
	v_mul_f32_e32 v19, v3, v7
	v_mul_f32_e32 v20, v2, v7
	v_fma_f32 v19, v2, v6, -v19
	v_fmac_f32_e32 v20, v3, v6
	v_add_f32_e32 v19, v10, v19
	v_add_f32_e32 v20, v11, v20
	v_mul_f32_e32 v10, v3, v9
	v_mul_f32_e32 v11, v2, v9
	v_fma_f32 v10, v2, v8, -v10
	v_fmac_f32_e32 v11, v3, v8
	v_add_f32_e32 v2, v12, v10
	v_add_f32_e32 v3, v13, v11
	ds_read_b128 v[10:13], v49 offset:4208
	s_waitcnt lgkmcnt(0)
	v_mul_f32_e32 v21, v11, v7
	v_mul_f32_e32 v7, v10, v7
	v_fmac_f32_e32 v7, v11, v6
	v_fma_f32 v21, v10, v6, -v21
	v_add_f32_e32 v16, v16, v7
	v_mul_f32_e32 v6, v11, v9
	v_mul_f32_e32 v7, v10, v9
	v_fma_f32 v6, v10, v8, -v6
	v_fmac_f32_e32 v7, v11, v8
	v_add_f32_e32 v10, v17, v6
	v_add_f32_e32 v11, v18, v7
	ds_read2_b64 v[6:9], v14 offset0:224 offset1:240
	v_add_f32_e32 v15, v15, v21
	s_waitcnt lgkmcnt(0)
	v_mul_f32_e32 v14, v5, v7
	v_fma_f32 v14, v4, v6, -v14
	v_add_f32_e32 v18, v19, v14
	v_mul_f32_e32 v14, v5, v9
	v_mul_f32_e32 v17, v4, v7
	v_fma_f32 v14, v4, v8, -v14
	v_mul_f32_e32 v4, v4, v9
	v_fmac_f32_e32 v17, v5, v6
	v_fmac_f32_e32 v4, v5, v8
	v_add_f32_e32 v17, v20, v17
	v_add_f32_e32 v19, v2, v14
	;; [unrolled: 1-line block ×3, first 2 shown]
	v_mul_f32_e32 v2, v13, v7
	v_mul_f32_e32 v3, v12, v7
	v_fma_f32 v2, v12, v6, -v2
	v_fmac_f32_e32 v3, v13, v6
	v_add_f32_e32 v21, v15, v2
	v_add_f32_e32 v24, v16, v3
	v_mul_f32_e32 v2, v13, v9
	v_mul_f32_e32 v3, v12, v9
	v_fma_f32 v2, v12, v8, -v2
	v_fmac_f32_e32 v3, v13, v8
	v_add_u32_e32 v14, 0x1000, v52
	v_add_f32_e32 v10, v10, v2
	v_add_f32_e32 v11, v11, v3
	ds_read_b128 v[2:5], v49 offset:128
	ds_read2_b64 v[6:9], v14 offset1:16
	s_waitcnt lgkmcnt(0)
	v_mul_f32_e32 v12, v3, v7
	v_mul_f32_e32 v13, v2, v7
	;; [unrolled: 1-line block ×3, first 2 shown]
	v_fma_f32 v12, v2, v6, -v12
	v_fmac_f32_e32 v13, v3, v6
	v_fma_f32 v15, v2, v8, -v15
	v_mul_f32_e32 v2, v2, v9
	v_add_f32_e32 v12, v18, v12
	v_add_f32_e32 v13, v17, v13
	v_fmac_f32_e32 v2, v3, v8
	v_add_f32_e32 v3, v19, v15
	ds_read_b128 v[15:18], v49 offset:4224
	v_add_f32_e32 v2, v20, v2
	s_waitcnt lgkmcnt(0)
	v_mul_f32_e32 v19, v16, v7
	v_mul_f32_e32 v7, v15, v7
	v_fmac_f32_e32 v7, v16, v6
	v_fma_f32 v19, v15, v6, -v19
	v_add_f32_e32 v20, v24, v7
	v_mul_f32_e32 v6, v16, v9
	v_mul_f32_e32 v7, v15, v9
	v_fma_f32 v6, v15, v8, -v6
	v_fmac_f32_e32 v7, v16, v8
	v_add_f32_e32 v19, v21, v19
	v_add_f32_e32 v21, v10, v6
	;; [unrolled: 1-line block ×3, first 2 shown]
	ds_read2_b64 v[6:9], v14 offset0:32 offset1:48
	s_waitcnt lgkmcnt(0)
	v_mul_f32_e32 v10, v5, v7
	v_fma_f32 v10, v4, v6, -v10
	v_add_f32_e32 v10, v12, v10
	v_mul_f32_e32 v12, v5, v9
	v_mul_f32_e32 v11, v4, v7
	v_fma_f32 v12, v4, v8, -v12
	v_mul_f32_e32 v4, v4, v9
	v_fmac_f32_e32 v11, v5, v6
	v_fmac_f32_e32 v4, v5, v8
	v_add_f32_e32 v11, v13, v11
	v_add_f32_e32 v12, v3, v12
	;; [unrolled: 1-line block ×3, first 2 shown]
	v_mul_f32_e32 v2, v18, v7
	v_mul_f32_e32 v3, v17, v7
	v_fma_f32 v2, v17, v6, -v2
	v_fmac_f32_e32 v3, v18, v6
	v_add_f32_e32 v15, v19, v2
	v_add_f32_e32 v16, v20, v3
	v_mul_f32_e32 v2, v18, v9
	v_mul_f32_e32 v3, v17, v9
	v_fma_f32 v2, v17, v8, -v2
	v_fmac_f32_e32 v3, v18, v8
	v_add_f32_e32 v17, v21, v2
	v_add_f32_e32 v18, v24, v3
	ds_read_b128 v[2:5], v49 offset:144
	ds_read2_b64 v[6:9], v14 offset0:64 offset1:80
	s_waitcnt lgkmcnt(0)
	v_mul_f32_e32 v19, v3, v7
	v_mul_f32_e32 v20, v2, v7
	v_fma_f32 v19, v2, v6, -v19
	v_fmac_f32_e32 v20, v3, v6
	v_add_f32_e32 v19, v10, v19
	v_add_f32_e32 v20, v11, v20
	v_mul_f32_e32 v10, v3, v9
	v_mul_f32_e32 v11, v2, v9
	v_fma_f32 v10, v2, v8, -v10
	v_fmac_f32_e32 v11, v3, v8
	v_add_f32_e32 v2, v12, v10
	v_add_f32_e32 v3, v13, v11
	ds_read_b128 v[10:13], v49 offset:4240
	s_waitcnt lgkmcnt(0)
	v_mul_f32_e32 v21, v11, v7
	v_mul_f32_e32 v7, v10, v7
	v_fmac_f32_e32 v7, v11, v6
	v_fma_f32 v21, v10, v6, -v21
	v_add_f32_e32 v16, v16, v7
	v_mul_f32_e32 v6, v11, v9
	v_mul_f32_e32 v7, v10, v9
	v_fma_f32 v6, v10, v8, -v6
	v_fmac_f32_e32 v7, v11, v8
	v_add_f32_e32 v10, v17, v6
	v_add_f32_e32 v11, v18, v7
	ds_read2_b64 v[6:9], v14 offset0:96 offset1:112
	v_add_f32_e32 v15, v15, v21
	s_waitcnt lgkmcnt(0)
	v_mul_f32_e32 v17, v5, v7
	v_fma_f32 v17, v4, v6, -v17
	v_add_f32_e32 v17, v19, v17
	v_mul_f32_e32 v19, v5, v9
	v_mul_f32_e32 v18, v4, v7
	v_fma_f32 v19, v4, v8, -v19
	v_mul_f32_e32 v4, v4, v9
	v_fmac_f32_e32 v18, v5, v6
	v_fmac_f32_e32 v4, v5, v8
	v_add_f32_e32 v18, v20, v18
	v_add_f32_e32 v19, v2, v19
	;; [unrolled: 1-line block ×3, first 2 shown]
	v_mul_f32_e32 v2, v13, v7
	v_mul_f32_e32 v3, v12, v7
	v_fma_f32 v2, v12, v6, -v2
	v_fmac_f32_e32 v3, v13, v6
	v_add_f32_e32 v21, v15, v2
	v_add_f32_e32 v24, v16, v3
	v_mul_f32_e32 v2, v13, v9
	v_mul_f32_e32 v3, v12, v9
	v_fma_f32 v2, v12, v8, -v2
	v_fmac_f32_e32 v3, v13, v8
	v_add_f32_e32 v10, v10, v2
	v_add_f32_e32 v11, v11, v3
	ds_read_b128 v[2:5], v49 offset:160
	ds_read2_b64 v[6:9], v14 offset0:128 offset1:144
	s_waitcnt lgkmcnt(0)
	v_mul_f32_e32 v12, v3, v7
	v_mul_f32_e32 v13, v2, v7
	v_mul_f32_e32 v15, v3, v9
	v_fma_f32 v12, v2, v6, -v12
	v_fmac_f32_e32 v13, v3, v6
	v_fma_f32 v15, v2, v8, -v15
	v_mul_f32_e32 v2, v2, v9
	v_add_f32_e32 v12, v17, v12
	v_add_f32_e32 v13, v18, v13
	v_fmac_f32_e32 v2, v3, v8
	v_add_f32_e32 v3, v19, v15
	ds_read_b128 v[15:18], v49 offset:4256
	v_add_f32_e32 v2, v20, v2
	s_waitcnt lgkmcnt(0)
	v_mul_f32_e32 v19, v16, v7
	v_mul_f32_e32 v7, v15, v7
	v_fmac_f32_e32 v7, v16, v6
	v_fma_f32 v19, v15, v6, -v19
	v_add_f32_e32 v20, v24, v7
	v_mul_f32_e32 v6, v16, v9
	v_mul_f32_e32 v7, v15, v9
	v_fma_f32 v6, v15, v8, -v6
	v_fmac_f32_e32 v7, v16, v8
	v_add_f32_e32 v19, v21, v19
	v_add_f32_e32 v21, v10, v6
	;; [unrolled: 1-line block ×3, first 2 shown]
	ds_read2_b64 v[6:9], v14 offset0:160 offset1:176
	s_waitcnt lgkmcnt(0)
	v_mul_f32_e32 v10, v5, v7
	v_fma_f32 v10, v4, v6, -v10
	v_add_f32_e32 v10, v12, v10
	v_mul_f32_e32 v12, v5, v9
	v_mul_f32_e32 v11, v4, v7
	v_fma_f32 v12, v4, v8, -v12
	v_mul_f32_e32 v4, v4, v9
	v_fmac_f32_e32 v11, v5, v6
	v_fmac_f32_e32 v4, v5, v8
	v_add_f32_e32 v11, v13, v11
	v_add_f32_e32 v12, v3, v12
	;; [unrolled: 1-line block ×3, first 2 shown]
	v_mul_f32_e32 v2, v18, v7
	v_mul_f32_e32 v3, v17, v7
	v_fma_f32 v2, v17, v6, -v2
	v_fmac_f32_e32 v3, v18, v6
	v_add_f32_e32 v15, v19, v2
	v_add_f32_e32 v16, v20, v3
	v_mul_f32_e32 v2, v18, v9
	v_mul_f32_e32 v3, v17, v9
	v_fma_f32 v2, v17, v8, -v2
	v_fmac_f32_e32 v3, v18, v8
	v_add_f32_e32 v17, v21, v2
	v_add_f32_e32 v18, v24, v3
	ds_read_b128 v[2:5], v49 offset:176
	ds_read2_b64 v[6:9], v14 offset0:192 offset1:208
	s_waitcnt lgkmcnt(0)
	v_mul_f32_e32 v19, v3, v7
	v_mul_f32_e32 v20, v2, v7
	v_fma_f32 v19, v2, v6, -v19
	v_fmac_f32_e32 v20, v3, v6
	v_add_f32_e32 v19, v10, v19
	v_add_f32_e32 v20, v11, v20
	v_mul_f32_e32 v10, v3, v9
	v_mul_f32_e32 v11, v2, v9
	v_fma_f32 v10, v2, v8, -v10
	v_fmac_f32_e32 v11, v3, v8
	v_add_f32_e32 v2, v12, v10
	v_add_f32_e32 v3, v13, v11
	ds_read_b128 v[10:13], v49 offset:4272
	s_waitcnt lgkmcnt(0)
	v_mul_f32_e32 v21, v11, v7
	v_mul_f32_e32 v7, v10, v7
	v_fmac_f32_e32 v7, v11, v6
	v_fma_f32 v21, v10, v6, -v21
	v_add_f32_e32 v16, v16, v7
	v_mul_f32_e32 v6, v11, v9
	v_mul_f32_e32 v7, v10, v9
	v_fma_f32 v6, v10, v8, -v6
	v_fmac_f32_e32 v7, v11, v8
	v_add_f32_e32 v10, v17, v6
	v_add_f32_e32 v11, v18, v7
	ds_read2_b64 v[6:9], v14 offset0:224 offset1:240
	v_add_f32_e32 v15, v15, v21
	s_waitcnt lgkmcnt(0)
	v_mul_f32_e32 v14, v5, v7
	v_fma_f32 v14, v4, v6, -v14
	v_add_f32_e32 v18, v19, v14
	v_mul_f32_e32 v14, v5, v9
	v_mul_f32_e32 v17, v4, v7
	v_fma_f32 v14, v4, v8, -v14
	v_mul_f32_e32 v4, v4, v9
	v_fmac_f32_e32 v17, v5, v6
	v_fmac_f32_e32 v4, v5, v8
	v_add_f32_e32 v17, v20, v17
	v_add_f32_e32 v19, v2, v14
	;; [unrolled: 1-line block ×3, first 2 shown]
	v_mul_f32_e32 v2, v13, v7
	v_mul_f32_e32 v3, v12, v7
	v_fma_f32 v2, v12, v6, -v2
	v_fmac_f32_e32 v3, v13, v6
	v_add_f32_e32 v21, v15, v2
	v_add_f32_e32 v24, v16, v3
	v_mul_f32_e32 v2, v13, v9
	v_mul_f32_e32 v3, v12, v9
	v_fma_f32 v2, v12, v8, -v2
	v_fmac_f32_e32 v3, v13, v8
	v_add_u32_e32 v14, 0x1800, v52
	v_add_f32_e32 v10, v10, v2
	v_add_f32_e32 v11, v11, v3
	ds_read_b128 v[2:5], v49 offset:192
	ds_read2_b64 v[6:9], v14 offset1:16
	s_waitcnt lgkmcnt(0)
	v_mul_f32_e32 v12, v3, v7
	v_mul_f32_e32 v13, v2, v7
	;; [unrolled: 1-line block ×3, first 2 shown]
	v_fma_f32 v12, v2, v6, -v12
	v_fmac_f32_e32 v13, v3, v6
	v_fma_f32 v15, v2, v8, -v15
	v_mul_f32_e32 v2, v2, v9
	v_add_f32_e32 v12, v18, v12
	v_add_f32_e32 v13, v17, v13
	v_fmac_f32_e32 v2, v3, v8
	v_add_f32_e32 v3, v19, v15
	ds_read_b128 v[15:18], v49 offset:4288
	v_add_f32_e32 v2, v20, v2
	s_waitcnt lgkmcnt(0)
	v_mul_f32_e32 v19, v16, v7
	v_mul_f32_e32 v7, v15, v7
	v_fmac_f32_e32 v7, v16, v6
	v_fma_f32 v19, v15, v6, -v19
	v_add_f32_e32 v20, v24, v7
	v_mul_f32_e32 v6, v16, v9
	v_mul_f32_e32 v7, v15, v9
	v_fma_f32 v6, v15, v8, -v6
	v_fmac_f32_e32 v7, v16, v8
	v_add_f32_e32 v19, v21, v19
	v_add_f32_e32 v21, v10, v6
	;; [unrolled: 1-line block ×3, first 2 shown]
	ds_read2_b64 v[6:9], v14 offset0:32 offset1:48
	s_waitcnt lgkmcnt(0)
	v_mul_f32_e32 v10, v5, v7
	v_fma_f32 v10, v4, v6, -v10
	v_add_f32_e32 v10, v12, v10
	v_mul_f32_e32 v12, v5, v9
	v_mul_f32_e32 v11, v4, v7
	v_fma_f32 v12, v4, v8, -v12
	v_mul_f32_e32 v4, v4, v9
	v_fmac_f32_e32 v11, v5, v6
	v_fmac_f32_e32 v4, v5, v8
	v_add_f32_e32 v11, v13, v11
	v_add_f32_e32 v12, v3, v12
	;; [unrolled: 1-line block ×3, first 2 shown]
	v_mul_f32_e32 v2, v18, v7
	v_mul_f32_e32 v3, v17, v7
	v_fma_f32 v2, v17, v6, -v2
	v_fmac_f32_e32 v3, v18, v6
	v_add_f32_e32 v15, v19, v2
	v_add_f32_e32 v16, v20, v3
	v_mul_f32_e32 v2, v18, v9
	v_mul_f32_e32 v3, v17, v9
	v_fma_f32 v2, v17, v8, -v2
	v_fmac_f32_e32 v3, v18, v8
	v_add_f32_e32 v17, v21, v2
	v_add_f32_e32 v18, v24, v3
	ds_read_b128 v[2:5], v49 offset:208
	ds_read2_b64 v[6:9], v14 offset0:64 offset1:80
	s_waitcnt lgkmcnt(0)
	v_mul_f32_e32 v19, v3, v7
	v_mul_f32_e32 v20, v2, v7
	v_fma_f32 v19, v2, v6, -v19
	v_fmac_f32_e32 v20, v3, v6
	v_add_f32_e32 v19, v10, v19
	v_add_f32_e32 v20, v11, v20
	v_mul_f32_e32 v10, v3, v9
	v_mul_f32_e32 v11, v2, v9
	v_fma_f32 v10, v2, v8, -v10
	v_fmac_f32_e32 v11, v3, v8
	v_add_f32_e32 v2, v12, v10
	v_add_f32_e32 v3, v13, v11
	ds_read_b128 v[10:13], v49 offset:4304
	s_waitcnt lgkmcnt(0)
	v_mul_f32_e32 v21, v11, v7
	v_mul_f32_e32 v7, v10, v7
	v_fmac_f32_e32 v7, v11, v6
	v_fma_f32 v21, v10, v6, -v21
	v_add_f32_e32 v16, v16, v7
	v_mul_f32_e32 v6, v11, v9
	v_mul_f32_e32 v7, v10, v9
	v_fma_f32 v6, v10, v8, -v6
	v_fmac_f32_e32 v7, v11, v8
	v_add_f32_e32 v10, v17, v6
	v_add_f32_e32 v11, v18, v7
	ds_read2_b64 v[6:9], v14 offset0:96 offset1:112
	v_add_f32_e32 v15, v15, v21
	s_waitcnt lgkmcnt(0)
	v_mul_f32_e32 v17, v5, v7
	v_fma_f32 v17, v4, v6, -v17
	v_add_f32_e32 v17, v19, v17
	v_mul_f32_e32 v19, v5, v9
	v_mul_f32_e32 v18, v4, v7
	v_fma_f32 v19, v4, v8, -v19
	v_mul_f32_e32 v4, v4, v9
	v_fmac_f32_e32 v18, v5, v6
	v_fmac_f32_e32 v4, v5, v8
	v_add_f32_e32 v18, v20, v18
	v_add_f32_e32 v19, v2, v19
	v_add_f32_e32 v20, v3, v4
	v_mul_f32_e32 v2, v13, v7
	v_mul_f32_e32 v3, v12, v7
	v_fma_f32 v2, v12, v6, -v2
	v_fmac_f32_e32 v3, v13, v6
	v_add_f32_e32 v21, v15, v2
	v_add_f32_e32 v24, v16, v3
	v_mul_f32_e32 v2, v13, v9
	v_mul_f32_e32 v3, v12, v9
	v_fma_f32 v2, v12, v8, -v2
	v_fmac_f32_e32 v3, v13, v8
	v_add_f32_e32 v10, v10, v2
	v_add_f32_e32 v11, v11, v3
	ds_read_b128 v[2:5], v49 offset:224
	ds_read2_b64 v[6:9], v14 offset0:128 offset1:144
	s_waitcnt lgkmcnt(0)
	v_mul_f32_e32 v12, v3, v7
	v_mul_f32_e32 v13, v2, v7
	;; [unrolled: 1-line block ×3, first 2 shown]
	v_fma_f32 v12, v2, v6, -v12
	v_fmac_f32_e32 v13, v3, v6
	v_fma_f32 v15, v2, v8, -v15
	v_mul_f32_e32 v2, v2, v9
	v_add_f32_e32 v12, v17, v12
	v_add_f32_e32 v13, v18, v13
	v_fmac_f32_e32 v2, v3, v8
	v_add_f32_e32 v3, v19, v15
	ds_read_b128 v[15:18], v49 offset:4320
	v_add_f32_e32 v2, v20, v2
	s_waitcnt lgkmcnt(0)
	v_mul_f32_e32 v19, v16, v7
	v_mul_f32_e32 v7, v15, v7
	v_fmac_f32_e32 v7, v16, v6
	v_fma_f32 v19, v15, v6, -v19
	v_add_f32_e32 v20, v24, v7
	v_mul_f32_e32 v6, v16, v9
	v_mul_f32_e32 v7, v15, v9
	v_fma_f32 v6, v15, v8, -v6
	v_fmac_f32_e32 v7, v16, v8
	v_add_f32_e32 v19, v21, v19
	v_add_f32_e32 v21, v10, v6
	;; [unrolled: 1-line block ×3, first 2 shown]
	ds_read2_b64 v[6:9], v14 offset0:160 offset1:176
	s_waitcnt lgkmcnt(0)
	v_mul_f32_e32 v10, v5, v7
	v_fma_f32 v10, v4, v6, -v10
	v_add_f32_e32 v10, v12, v10
	v_mul_f32_e32 v12, v5, v9
	v_mul_f32_e32 v11, v4, v7
	v_fma_f32 v12, v4, v8, -v12
	v_mul_f32_e32 v4, v4, v9
	v_fmac_f32_e32 v11, v5, v6
	v_fmac_f32_e32 v4, v5, v8
	v_add_f32_e32 v11, v13, v11
	v_add_f32_e32 v12, v3, v12
	;; [unrolled: 1-line block ×3, first 2 shown]
	v_mul_f32_e32 v2, v18, v7
	v_mul_f32_e32 v3, v17, v7
	v_fma_f32 v2, v17, v6, -v2
	v_fmac_f32_e32 v3, v18, v6
	v_add_f32_e32 v15, v19, v2
	v_add_f32_e32 v16, v20, v3
	v_mul_f32_e32 v2, v18, v9
	v_mul_f32_e32 v3, v17, v9
	v_fma_f32 v2, v17, v8, -v2
	v_fmac_f32_e32 v3, v18, v8
	v_add_f32_e32 v17, v21, v2
	v_add_f32_e32 v18, v24, v3
	ds_read_b128 v[2:5], v49 offset:240
	ds_read2_b64 v[6:9], v14 offset0:192 offset1:208
	s_waitcnt lgkmcnt(0)
	v_mul_f32_e32 v19, v3, v7
	v_mul_f32_e32 v20, v2, v7
	v_fma_f32 v19, v2, v6, -v19
	v_fmac_f32_e32 v20, v3, v6
	v_add_f32_e32 v19, v10, v19
	v_add_f32_e32 v21, v11, v20
	v_mul_f32_e32 v10, v3, v9
	v_mul_f32_e32 v11, v2, v9
	v_fma_f32 v10, v2, v8, -v10
	v_fmac_f32_e32 v11, v3, v8
	v_add_f32_e32 v2, v12, v10
	v_add_f32_e32 v3, v13, v11
	ds_read_b128 v[10:13], v49 offset:4336
	s_waitcnt lgkmcnt(0)
	v_mul_f32_e32 v20, v11, v7
	v_mul_f32_e32 v7, v10, v7
	v_fmac_f32_e32 v7, v11, v6
	v_fma_f32 v20, v10, v6, -v20
	v_add_f32_e32 v24, v16, v7
	v_mul_f32_e32 v6, v11, v9
	v_mul_f32_e32 v7, v10, v9
	v_fma_f32 v6, v10, v8, -v6
	v_fmac_f32_e32 v7, v11, v8
	v_add_f32_e32 v10, v17, v6
	v_add_f32_e32 v11, v18, v7
	ds_read2_b64 v[6:9], v14 offset0:224 offset1:240
	v_add_f32_e32 v15, v15, v20
	s_waitcnt lgkmcnt(0)
	s_barrier
	v_mul_f32_e32 v14, v5, v7
	v_fma_f32 v14, v4, v6, -v14
	v_add_f32_e32 v20, v19, v14
	v_mul_f32_e32 v14, v5, v9
	v_fma_f32 v14, v4, v8, -v14
	v_mul_f32_e32 v16, v4, v7
	v_add_f32_e32 v18, v2, v14
	v_mul_f32_e32 v2, v13, v7
	v_fmac_f32_e32 v16, v5, v6
	v_mul_f32_e32 v4, v4, v9
	v_fma_f32 v2, v12, v6, -v2
	v_add_f32_e32 v21, v21, v16
	v_fmac_f32_e32 v4, v5, v8
	v_add_f32_e32 v16, v15, v2
	v_mul_f32_e32 v2, v13, v9
	v_add_f32_e32 v19, v3, v4
	v_mul_f32_e32 v3, v12, v7
	v_fma_f32 v2, v12, v8, -v2
	v_fmac_f32_e32 v3, v13, v6
	v_add_f32_e32 v15, v10, v2
	v_mov_b32_e32 v2, s35
	v_add_f32_e32 v17, v24, v3
	v_mul_f32_e32 v3, v12, v9
	v_addc_co_u32_e32 v48, vcc, v48, v2, vcc
	v_fmac_f32_e32 v3, v13, v8
	v_add_co_u32_e32 v37, vcc, 0x100, v37
	v_add_f32_e32 v14, v11, v3
	v_addc_co_u32_e32 v38, vcc, 0, v38, vcc
	s_cbranch_scc1 .LBB87_55
.LBB87_7:                               ;   Parent Loop BB87_4 Depth=1
                                        ; =>  This Inner Loop Header: Depth=2
	v_mov_b32_e32 v3, s39
	v_add_co_u32_e32 v2, vcc, s38, v0
	v_addc_co_u32_e32 v3, vcc, 0, v3, vcc
	v_cmp_eq_u64_e32 vcc, s[38:39], v[39:40]
	v_add_co_u32_e64 v4, s[12:13], v37, v50
	s_and_b64 s[46:47], s[22:23], vcc
	v_cmp_gt_i64_e32 vcc, v[2:3], v[33:34]
	v_addc_co_u32_e64 v5, s[12:13], 0, v38, s[12:13]
	v_cmp_le_i64_e64 s[12:13], s[26:27], v[2:3]
	s_or_b64 s[14:15], s[8:9], vcc
	s_or_b64 s[14:15], s[14:15], s[46:47]
	s_nor_b64 s[14:15], s[12:13], s[14:15]
	s_and_saveexec_b64 s[18:19], s[14:15]
	s_xor_b64 s[14:15], exec, s[18:19]
	s_cbranch_execz .LBB87_9
; %bb.8:                                ;   in Loop: Header=BB87_7 Depth=2
	global_load_dwordx2 v[6:7], v[4:5], off
	s_waitcnt vmcnt(0)
	ds_write_b64 v51, v[6:7]
.LBB87_9:                               ;   in Loop: Header=BB87_7 Depth=2
	s_or_saveexec_b64 s[14:15], s[14:15]
	s_xor_b64 s[42:43], s[46:47], -1
	s_xor_b64 exec, exec, s[14:15]
	s_cbranch_execz .LBB87_15
; %bb.10:                               ;   in Loop: Header=BB87_7 Depth=2
	s_and_saveexec_b64 s[18:19], s[42:43]
	s_xor_b64 s[18:19], exec, s[18:19]
; %bb.11:                               ;   in Loop: Header=BB87_7 Depth=2
	v_mov_b32_e32 v6, v23
	v_mov_b32_e32 v7, v23
	ds_write_b64 v51, v[6:7]
; %bb.12:                               ;   in Loop: Header=BB87_7 Depth=2
	s_andn2_saveexec_b64 s[18:19], s[18:19]
; %bb.13:                               ;   in Loop: Header=BB87_7 Depth=2
	ds_write_b64 v51, v[22:23]
; %bb.14:                               ;   in Loop: Header=BB87_7 Depth=2
	s_or_b64 exec, exec, s[18:19]
.LBB87_15:                              ;   in Loop: Header=BB87_7 Depth=2
	s_or_b64 exec, exec, s[14:15]
	v_add_co_u32_e64 v6, s[18:19], 16, v2
	v_addc_co_u32_e64 v7, s[18:19], 0, v3, s[18:19]
	v_cmp_eq_u64_e64 s[14:15], s[38:39], v[45:46]
	v_cmp_gt_i64_e64 s[18:19], v[6:7], v[33:34]
	s_and_b64 s[20:21], s[22:23], s[14:15]
	v_cmp_le_i64_e64 s[14:15], s[26:27], v[6:7]
	s_or_b64 s[18:19], s[8:9], s[18:19]
	s_or_b64 s[18:19], s[18:19], s[20:21]
	s_nor_b64 s[18:19], s[14:15], s[18:19]
	s_and_saveexec_b64 s[54:55], s[18:19]
	s_xor_b64 s[18:19], exec, s[54:55]
	s_cbranch_execz .LBB87_17
; %bb.16:                               ;   in Loop: Header=BB87_7 Depth=2
	global_load_dwordx2 v[4:5], v[4:5], off offset:128
	s_waitcnt vmcnt(0)
	ds_write_b64 v51, v[4:5] offset:128
.LBB87_17:                              ;   in Loop: Header=BB87_7 Depth=2
	s_andn2_saveexec_b64 s[18:19], s[18:19]
	s_cbranch_execz .LBB87_23
; %bb.18:                               ;   in Loop: Header=BB87_7 Depth=2
	s_xor_b64 s[20:21], s[20:21], -1
	s_and_saveexec_b64 s[54:55], s[20:21]
	s_xor_b64 s[20:21], exec, s[54:55]
; %bb.19:                               ;   in Loop: Header=BB87_7 Depth=2
	v_mov_b32_e32 v4, v23
	v_mov_b32_e32 v5, v23
	ds_write_b64 v51, v[4:5] offset:128
; %bb.20:                               ;   in Loop: Header=BB87_7 Depth=2
	s_andn2_saveexec_b64 s[20:21], s[20:21]
; %bb.21:                               ;   in Loop: Header=BB87_7 Depth=2
	ds_write_b64 v51, v[22:23] offset:128
; %bb.22:                               ;   in Loop: Header=BB87_7 Depth=2
	s_or_b64 exec, exec, s[20:21]
.LBB87_23:                              ;   in Loop: Header=BB87_7 Depth=2
	s_or_b64 exec, exec, s[18:19]
	v_add_co_u32_e64 v4, s[18:19], v35, v50
	v_addc_co_u32_e64 v5, s[18:19], 0, v36, s[18:19]
	v_cmp_eq_u64_e64 s[18:19], s[38:39], v[43:44]
	v_cmp_gt_i64_e64 s[20:21], v[2:3], v[41:42]
	s_and_b64 s[18:19], s[22:23], s[18:19]
	s_or_b64 s[20:21], s[10:11], s[20:21]
	s_or_b64 s[20:21], s[20:21], s[18:19]
	s_nor_b64 s[12:13], s[12:13], s[20:21]
	s_and_saveexec_b64 s[20:21], s[12:13]
	s_xor_b64 s[12:13], exec, s[20:21]
	s_cbranch_execz .LBB87_25
; %bb.24:                               ;   in Loop: Header=BB87_7 Depth=2
	global_load_dwordx2 v[2:3], v[4:5], off
	s_waitcnt vmcnt(0)
	ds_write_b64 v51, v[2:3] offset:4096
.LBB87_25:                              ;   in Loop: Header=BB87_7 Depth=2
	s_andn2_saveexec_b64 s[12:13], s[12:13]
	s_cbranch_execz .LBB87_31
; %bb.26:                               ;   in Loop: Header=BB87_7 Depth=2
	s_xor_b64 s[18:19], s[18:19], -1
	s_and_saveexec_b64 s[20:21], s[18:19]
	s_xor_b64 s[18:19], exec, s[20:21]
; %bb.27:                               ;   in Loop: Header=BB87_7 Depth=2
	v_mov_b32_e32 v2, v23
	v_mov_b32_e32 v3, v23
	ds_write_b64 v51, v[2:3] offset:4096
; %bb.28:                               ;   in Loop: Header=BB87_7 Depth=2
	s_andn2_saveexec_b64 s[18:19], s[18:19]
; %bb.29:                               ;   in Loop: Header=BB87_7 Depth=2
	ds_write_b64 v51, v[22:23] offset:4096
; %bb.30:                               ;   in Loop: Header=BB87_7 Depth=2
	s_or_b64 exec, exec, s[18:19]
.LBB87_31:                              ;   in Loop: Header=BB87_7 Depth=2
	s_or_b64 exec, exec, s[12:13]
	s_or_b64 s[12:13], s[10:11], vcc
	s_or_b64 s[12:13], s[12:13], s[46:47]
	s_nor_b64 s[12:13], s[14:15], s[12:13]
	s_and_saveexec_b64 s[14:15], s[12:13]
	s_xor_b64 s[12:13], exec, s[14:15]
	s_cbranch_execz .LBB87_33
; %bb.32:                               ;   in Loop: Header=BB87_7 Depth=2
	global_load_dwordx2 v[2:3], v[4:5], off offset:128
	s_waitcnt vmcnt(0)
	ds_write_b64 v51, v[2:3] offset:4224
.LBB87_33:                              ;   in Loop: Header=BB87_7 Depth=2
	s_andn2_saveexec_b64 s[12:13], s[12:13]
	s_cbranch_execz .LBB87_39
; %bb.34:                               ;   in Loop: Header=BB87_7 Depth=2
	s_and_saveexec_b64 s[14:15], s[42:43]
	s_xor_b64 s[14:15], exec, s[14:15]
; %bb.35:                               ;   in Loop: Header=BB87_7 Depth=2
	v_mov_b32_e32 v2, v23
	v_mov_b32_e32 v3, v23
	ds_write_b64 v51, v[2:3] offset:4224
; %bb.36:                               ;   in Loop: Header=BB87_7 Depth=2
	s_andn2_saveexec_b64 s[14:15], s[14:15]
; %bb.37:                               ;   in Loop: Header=BB87_7 Depth=2
	ds_write_b64 v51, v[22:23] offset:4224
; %bb.38:                               ;   in Loop: Header=BB87_7 Depth=2
	s_or_b64 exec, exec, s[14:15]
.LBB87_39:                              ;   in Loop: Header=BB87_7 Depth=2
	s_or_b64 exec, exec, s[12:13]
	v_mov_b32_e32 v3, s39
	v_add_co_u32_e32 v2, vcc, s38, v1
	v_addc_co_u32_e32 v3, vcc, 0, v3, vcc
	v_cmp_le_i64_e32 vcc, s[26:27], v[2:3]
	s_waitcnt vmcnt(1)
	v_add_co_u32_e64 v4, s[12:13], v47, v56
	s_waitcnt vmcnt(0)
	v_addc_co_u32_e64 v5, s[12:13], v48, v57, s[12:13]
	s_nor_b64 s[12:13], vcc, s[0:1]
	s_and_saveexec_b64 s[14:15], s[12:13]
	s_xor_b64 s[12:13], exec, s[14:15]
	s_cbranch_execz .LBB87_41
; %bb.40:                               ;   in Loop: Header=BB87_7 Depth=2
	global_load_dwordx2 v[6:7], v[4:5], off offset:-128
	s_waitcnt vmcnt(0)
	ds_write_b64 v53, v[6:7]
.LBB87_41:                              ;   in Loop: Header=BB87_7 Depth=2
	s_andn2_saveexec_b64 s[12:13], s[12:13]
; %bb.42:                               ;   in Loop: Header=BB87_7 Depth=2
	v_mov_b32_e32 v6, v23
	v_mov_b32_e32 v7, v23
	ds_write_b64 v53, v[6:7]
; %bb.43:                               ;   in Loop: Header=BB87_7 Depth=2
	s_or_b64 exec, exec, s[12:13]
	s_nor_b64 s[12:13], vcc, s[2:3]
	s_and_saveexec_b64 s[14:15], s[12:13]
	s_xor_b64 s[12:13], exec, s[14:15]
	s_cbranch_execz .LBB87_45
; %bb.44:                               ;   in Loop: Header=BB87_7 Depth=2
	global_load_dwordx2 v[4:5], v[4:5], off
	s_waitcnt vmcnt(0)
	ds_write_b64 v53, v[4:5] offset:128
.LBB87_45:                              ;   in Loop: Header=BB87_7 Depth=2
	s_andn2_saveexec_b64 s[12:13], s[12:13]
; %bb.46:                               ;   in Loop: Header=BB87_7 Depth=2
	v_mov_b32_e32 v4, v23
	v_mov_b32_e32 v5, v23
	ds_write_b64 v53, v[4:5] offset:128
; %bb.47:                               ;   in Loop: Header=BB87_7 Depth=2
	s_or_b64 exec, exec, s[12:13]
	v_cmp_le_i64_e32 vcc, s[44:45], v[2:3]
	v_add_co_u32_e64 v2, s[12:13], v47, v30
	v_addc_co_u32_e64 v3, s[12:13], v48, v58, s[12:13]
	s_nor_b64 s[12:13], vcc, s[0:1]
	s_and_saveexec_b64 s[14:15], s[12:13]
	s_xor_b64 s[12:13], exec, s[14:15]
	s_cbranch_execz .LBB87_49
; %bb.48:                               ;   in Loop: Header=BB87_7 Depth=2
	global_load_dwordx2 v[4:5], v[2:3], off
	s_waitcnt vmcnt(0)
	ds_write_b64 v53, v[4:5] offset:4096
.LBB87_49:                              ;   in Loop: Header=BB87_7 Depth=2
	s_andn2_saveexec_b64 s[12:13], s[12:13]
; %bb.50:                               ;   in Loop: Header=BB87_7 Depth=2
	v_mov_b32_e32 v4, v23
	v_mov_b32_e32 v5, v23
	ds_write_b64 v53, v[4:5] offset:4096
; %bb.51:                               ;   in Loop: Header=BB87_7 Depth=2
	s_or_b64 exec, exec, s[12:13]
	s_nor_b64 s[12:13], vcc, s[2:3]
	s_and_saveexec_b64 s[14:15], s[12:13]
	s_xor_b64 s[12:13], exec, s[14:15]
	s_cbranch_execz .LBB87_53
; %bb.52:                               ;   in Loop: Header=BB87_7 Depth=2
	global_load_dwordx2 v[2:3], v[2:3], off offset:128
	s_waitcnt vmcnt(0)
	ds_write_b64 v53, v[2:3] offset:4224
.LBB87_53:                              ;   in Loop: Header=BB87_7 Depth=2
	s_andn2_saveexec_b64 s[12:13], s[12:13]
	s_cbranch_execz .LBB87_6
; %bb.54:                               ;   in Loop: Header=BB87_7 Depth=2
	v_mov_b32_e32 v2, v23
	v_mov_b32_e32 v3, v23
	ds_write_b64 v53, v[2:3] offset:4224
	s_branch .LBB87_6
.LBB87_55:                              ;   in Loop: Header=BB87_4 Depth=1
	v_mul_lo_u32 v4, s25, v33
	v_mul_lo_u32 v5, s24, v34
	v_mad_u64_u32 v[2:3], s[8:9], s24, v33, 0
	v_cmp_gt_i32_e32 vcc, s30, v33
	v_add3_u32 v3, v3, v5, v4
	v_lshlrev_b64 v[2:3], 3, v[2:3]
	v_mov_b32_e32 v4, s51
	v_add_co_u32_e64 v2, s[8:9], s50, v2
	v_addc_co_u32_e64 v3, s[8:9], v4, v3, s[8:9]
	s_and_b64 s[8:9], s[4:5], vcc
	s_and_saveexec_b64 s[10:11], s[8:9]
	s_cbranch_execz .LBB87_57
; %bb.56:                               ;   in Loop: Header=BB87_4 Depth=1
	buffer_load_dword v4, off, s[56:59], 0  ; 4-byte Folded Reload
	buffer_load_dword v5, off, s[56:59], 0 offset:4 ; 4-byte Folded Reload
	v_mul_f32_e32 v8, s33, v21
	v_mul_f32_e32 v9, s31, v21
	v_fma_f32 v8, v20, s31, -v8
	v_fmac_f32_e32 v9, s33, v20
	s_waitcnt vmcnt(1)
	v_add_co_u32_e64 v4, s[8:9], v2, v4
	s_waitcnt vmcnt(0)
	v_addc_co_u32_e64 v5, s[8:9], v3, v5, s[8:9]
	global_load_dwordx2 v[6:7], v[4:5], off
	s_waitcnt vmcnt(0)
	v_add_f32_e32 v6, v6, v8
	v_add_f32_e32 v7, v9, v7
	global_store_dwordx2 v[4:5], v[6:7], off
.LBB87_57:                              ;   in Loop: Header=BB87_4 Depth=1
	s_or_b64 exec, exec, s[10:11]
	s_and_b64 s[10:11], s[16:17], vcc
	s_and_saveexec_b64 s[8:9], s[10:11]
	s_cbranch_execz .LBB87_59
; %bb.58:                               ;   in Loop: Header=BB87_4 Depth=1
	v_add_co_u32_e32 v2, vcc, v2, v31
	v_addc_co_u32_e32 v3, vcc, v3, v32, vcc
	global_load_dwordx2 v[4:5], v[2:3], off
	v_mul_f32_e32 v6, s33, v19
	v_mul_f32_e32 v7, s31, v19
	v_fma_f32 v6, v18, s31, -v6
	v_fmac_f32_e32 v7, s33, v18
	s_waitcnt vmcnt(0)
	v_add_f32_e32 v4, v4, v6
	v_add_f32_e32 v5, v7, v5
	global_store_dwordx2 v[2:3], v[4:5], off
.LBB87_59:                              ;   in Loop: Header=BB87_4 Depth=1
	s_or_b64 exec, exec, s[8:9]
	v_add_u32_e32 v4, 16, v33
	v_ashrrev_i32_e32 v2, 31, v4
	v_mul_lo_u32 v5, s24, v2
	v_mul_lo_u32 v6, s25, v4
	v_mad_u64_u32 v[2:3], s[8:9], s24, v4, 0
	v_cmp_gt_i32_e32 vcc, s30, v4
	v_mov_b32_e32 v4, s51
	v_add3_u32 v3, v3, v5, v6
	v_lshlrev_b64 v[2:3], 3, v[2:3]
	v_add_co_u32_e64 v2, s[8:9], s50, v2
	v_addc_co_u32_e64 v3, s[8:9], v4, v3, s[8:9]
	s_and_b64 s[8:9], s[4:5], vcc
	s_and_saveexec_b64 s[10:11], s[8:9]
	s_cbranch_execz .LBB87_61
; %bb.60:                               ;   in Loop: Header=BB87_4 Depth=1
	buffer_load_dword v4, off, s[56:59], 0  ; 4-byte Folded Reload
	buffer_load_dword v5, off, s[56:59], 0 offset:4 ; 4-byte Folded Reload
	v_mul_f32_e32 v8, s33, v17
	v_mul_f32_e32 v9, s31, v17
	v_fma_f32 v8, v16, s31, -v8
	v_fmac_f32_e32 v9, s33, v16
	s_waitcnt vmcnt(1)
	v_add_co_u32_e64 v4, s[8:9], v2, v4
	s_waitcnt vmcnt(0)
	v_addc_co_u32_e64 v5, s[8:9], v3, v5, s[8:9]
	global_load_dwordx2 v[6:7], v[4:5], off
	s_waitcnt vmcnt(0)
	v_add_f32_e32 v6, v6, v8
	v_add_f32_e32 v7, v9, v7
	global_store_dwordx2 v[4:5], v[6:7], off
.LBB87_61:                              ;   in Loop: Header=BB87_4 Depth=1
	s_or_b64 exec, exec, s[10:11]
	s_and_b64 s[10:11], s[16:17], vcc
	s_and_saveexec_b64 s[8:9], s[10:11]
	s_cbranch_execz .LBB87_3
; %bb.62:                               ;   in Loop: Header=BB87_4 Depth=1
	v_add_co_u32_e32 v2, vcc, v2, v31
	v_addc_co_u32_e32 v3, vcc, v3, v32, vcc
	global_load_dwordx2 v[4:5], v[2:3], off
	v_mul_f32_e32 v6, s33, v14
	v_mul_f32_e32 v7, s31, v14
	v_fma_f32 v6, v15, s31, -v6
	v_fmac_f32_e32 v7, s33, v15
	s_waitcnt vmcnt(0)
	v_add_f32_e32 v4, v4, v6
	v_add_f32_e32 v5, v7, v5
	global_store_dwordx2 v[2:3], v[4:5], off
	s_branch .LBB87_3
.LBB87_63:
	s_endpgm
	.section	.rodata,"a",@progbits
	.p2align	6, 0x0
	.amdhsa_kernel _ZL30rocblas_trmm_outofplace_kernelI19rocblas_complex_numIfELi32ELi2ELb0ELb1ELb0ELb0ES1_KS1_S1_Ev17rocblas_diagonal_iiT6_lPT7_lllS6_lllPT8_llli
		.amdhsa_group_segment_fixed_size 16384
		.amdhsa_private_segment_fixed_size 28
		.amdhsa_kernarg_size 392
		.amdhsa_user_sgpr_count 6
		.amdhsa_user_sgpr_private_segment_buffer 1
		.amdhsa_user_sgpr_dispatch_ptr 0
		.amdhsa_user_sgpr_queue_ptr 0
		.amdhsa_user_sgpr_kernarg_segment_ptr 1
		.amdhsa_user_sgpr_dispatch_id 0
		.amdhsa_user_sgpr_flat_scratch_init 0
		.amdhsa_user_sgpr_private_segment_size 0
		.amdhsa_uses_dynamic_stack 0
		.amdhsa_system_sgpr_private_segment_wavefront_offset 1
		.amdhsa_system_sgpr_workgroup_id_x 1
		.amdhsa_system_sgpr_workgroup_id_y 1
		.amdhsa_system_sgpr_workgroup_id_z 1
		.amdhsa_system_sgpr_workgroup_info 0
		.amdhsa_system_vgpr_workitem_id 1
		.amdhsa_next_free_vgpr 64
		.amdhsa_next_free_sgpr 61
		.amdhsa_reserve_vcc 1
		.amdhsa_reserve_flat_scratch 0
		.amdhsa_float_round_mode_32 0
		.amdhsa_float_round_mode_16_64 0
		.amdhsa_float_denorm_mode_32 3
		.amdhsa_float_denorm_mode_16_64 3
		.amdhsa_dx10_clamp 1
		.amdhsa_ieee_mode 1
		.amdhsa_fp16_overflow 0
		.amdhsa_exception_fp_ieee_invalid_op 0
		.amdhsa_exception_fp_denorm_src 0
		.amdhsa_exception_fp_ieee_div_zero 0
		.amdhsa_exception_fp_ieee_overflow 0
		.amdhsa_exception_fp_ieee_underflow 0
		.amdhsa_exception_fp_ieee_inexact 0
		.amdhsa_exception_int_div_zero 0
	.end_amdhsa_kernel
	.section	.text._ZL30rocblas_trmm_outofplace_kernelI19rocblas_complex_numIfELi32ELi2ELb0ELb1ELb0ELb0ES1_KS1_S1_Ev17rocblas_diagonal_iiT6_lPT7_lllS6_lllPT8_llli,"axG",@progbits,_ZL30rocblas_trmm_outofplace_kernelI19rocblas_complex_numIfELi32ELi2ELb0ELb1ELb0ELb0ES1_KS1_S1_Ev17rocblas_diagonal_iiT6_lPT7_lllS6_lllPT8_llli,comdat
.Lfunc_end87:
	.size	_ZL30rocblas_trmm_outofplace_kernelI19rocblas_complex_numIfELi32ELi2ELb0ELb1ELb0ELb0ES1_KS1_S1_Ev17rocblas_diagonal_iiT6_lPT7_lllS6_lllPT8_llli, .Lfunc_end87-_ZL30rocblas_trmm_outofplace_kernelI19rocblas_complex_numIfELi32ELi2ELb0ELb1ELb0ELb0ES1_KS1_S1_Ev17rocblas_diagonal_iiT6_lPT7_lllS6_lllPT8_llli
                                        ; -- End function
	.set _ZL30rocblas_trmm_outofplace_kernelI19rocblas_complex_numIfELi32ELi2ELb0ELb1ELb0ELb0ES1_KS1_S1_Ev17rocblas_diagonal_iiT6_lPT7_lllS6_lllPT8_llli.num_vgpr, 64
	.set _ZL30rocblas_trmm_outofplace_kernelI19rocblas_complex_numIfELi32ELi2ELb0ELb1ELb0ELb0ES1_KS1_S1_Ev17rocblas_diagonal_iiT6_lPT7_lllS6_lllPT8_llli.num_agpr, 0
	.set _ZL30rocblas_trmm_outofplace_kernelI19rocblas_complex_numIfELi32ELi2ELb0ELb1ELb0ELb0ES1_KS1_S1_Ev17rocblas_diagonal_iiT6_lPT7_lllS6_lllPT8_llli.numbered_sgpr, 60
	.set _ZL30rocblas_trmm_outofplace_kernelI19rocblas_complex_numIfELi32ELi2ELb0ELb1ELb0ELb0ES1_KS1_S1_Ev17rocblas_diagonal_iiT6_lPT7_lllS6_lllPT8_llli.num_named_barrier, 0
	.set _ZL30rocblas_trmm_outofplace_kernelI19rocblas_complex_numIfELi32ELi2ELb0ELb1ELb0ELb0ES1_KS1_S1_Ev17rocblas_diagonal_iiT6_lPT7_lllS6_lllPT8_llli.private_seg_size, 28
	.set _ZL30rocblas_trmm_outofplace_kernelI19rocblas_complex_numIfELi32ELi2ELb0ELb1ELb0ELb0ES1_KS1_S1_Ev17rocblas_diagonal_iiT6_lPT7_lllS6_lllPT8_llli.uses_vcc, 1
	.set _ZL30rocblas_trmm_outofplace_kernelI19rocblas_complex_numIfELi32ELi2ELb0ELb1ELb0ELb0ES1_KS1_S1_Ev17rocblas_diagonal_iiT6_lPT7_lllS6_lllPT8_llli.uses_flat_scratch, 0
	.set _ZL30rocblas_trmm_outofplace_kernelI19rocblas_complex_numIfELi32ELi2ELb0ELb1ELb0ELb0ES1_KS1_S1_Ev17rocblas_diagonal_iiT6_lPT7_lllS6_lllPT8_llli.has_dyn_sized_stack, 0
	.set _ZL30rocblas_trmm_outofplace_kernelI19rocblas_complex_numIfELi32ELi2ELb0ELb1ELb0ELb0ES1_KS1_S1_Ev17rocblas_diagonal_iiT6_lPT7_lllS6_lllPT8_llli.has_recursion, 0
	.set _ZL30rocblas_trmm_outofplace_kernelI19rocblas_complex_numIfELi32ELi2ELb0ELb1ELb0ELb0ES1_KS1_S1_Ev17rocblas_diagonal_iiT6_lPT7_lllS6_lllPT8_llli.has_indirect_call, 0
	.section	.AMDGPU.csdata,"",@progbits
; Kernel info:
; codeLenInByte = 6556
; TotalNumSgprs: 64
; NumVgprs: 64
; ScratchSize: 28
; MemoryBound: 1
; FloatMode: 240
; IeeeMode: 1
; LDSByteSize: 16384 bytes/workgroup (compile time only)
; SGPRBlocks: 8
; VGPRBlocks: 15
; NumSGPRsForWavesPerEU: 65
; NumVGPRsForWavesPerEU: 64
; Occupancy: 4
; WaveLimiterHint : 0
; COMPUTE_PGM_RSRC2:SCRATCH_EN: 1
; COMPUTE_PGM_RSRC2:USER_SGPR: 6
; COMPUTE_PGM_RSRC2:TRAP_HANDLER: 0
; COMPUTE_PGM_RSRC2:TGID_X_EN: 1
; COMPUTE_PGM_RSRC2:TGID_Y_EN: 1
; COMPUTE_PGM_RSRC2:TGID_Z_EN: 1
; COMPUTE_PGM_RSRC2:TIDIG_COMP_CNT: 1
	.section	.text._ZL30rocblas_trmm_outofplace_kernelI19rocblas_complex_numIfELi32ELi2ELb0ELb0ELb1ELb0EPKS1_S2_S1_Ev17rocblas_diagonal_iiT6_lPT7_lllS7_lllPT8_llli,"axG",@progbits,_ZL30rocblas_trmm_outofplace_kernelI19rocblas_complex_numIfELi32ELi2ELb0ELb0ELb1ELb0EPKS1_S2_S1_Ev17rocblas_diagonal_iiT6_lPT7_lllS7_lllPT8_llli,comdat
	.globl	_ZL30rocblas_trmm_outofplace_kernelI19rocblas_complex_numIfELi32ELi2ELb0ELb0ELb1ELb0EPKS1_S2_S1_Ev17rocblas_diagonal_iiT6_lPT7_lllS7_lllPT8_llli ; -- Begin function _ZL30rocblas_trmm_outofplace_kernelI19rocblas_complex_numIfELi32ELi2ELb0ELb0ELb1ELb0EPKS1_S2_S1_Ev17rocblas_diagonal_iiT6_lPT7_lllS7_lllPT8_llli
	.p2align	8
	.type	_ZL30rocblas_trmm_outofplace_kernelI19rocblas_complex_numIfELi32ELi2ELb0ELb0ELb1ELb0EPKS1_S2_S1_Ev17rocblas_diagonal_iiT6_lPT7_lllS7_lllPT8_llli,@function
_ZL30rocblas_trmm_outofplace_kernelI19rocblas_complex_numIfELi32ELi2ELb0ELb0ELb1ELb0EPKS1_S2_S1_Ev17rocblas_diagonal_iiT6_lPT7_lllS7_lllPT8_llli: ; @_ZL30rocblas_trmm_outofplace_kernelI19rocblas_complex_numIfELi32ELi2ELb0ELb0ELb1ELb0EPKS1_S2_S1_Ev17rocblas_diagonal_iiT6_lPT7_lllS7_lllPT8_llli
; %bb.0:
	s_load_dwordx16 s[12:27], s[4:5], 0x10
	s_mov_b64 s[54:55], s[2:3]
	s_mov_b64 s[52:53], s[0:1]
	s_add_u32 s52, s52, s9
	s_addc_u32 s53, s53, 0
	s_waitcnt lgkmcnt(0)
	s_mul_i32 s0, s15, s8
	s_mul_hi_u32 s1, s14, s8
	s_add_i32 s1, s1, s0
	s_mul_i32 s0, s14, s8
	s_lshl_b64 s[0:1], s[0:1], 3
	s_add_u32 s0, s12, s0
	s_addc_u32 s1, s13, s1
	s_load_dwordx2 s[34:35], s[0:1], 0x0
	s_waitcnt lgkmcnt(0)
	s_or_b32 s0, s34, s35
	s_bitset0_b32 s0, 31
	s_cmp_eq_u32 s0, 0
	s_cbranch_scc1 .LBB88_63
; %bb.1:
	s_load_dwordx4 s[28:31], s[4:5], 0x0
	s_waitcnt lgkmcnt(0)
	s_add_i32 s0, s30, -1
	s_ashr_i32 s1, s0, 31
	s_lshr_b32 s1, s1, 27
	s_add_i32 s0, s0, s1
	s_ashr_i32 s33, s0, 5
	s_cmp_gt_i32 s7, s33
	s_cbranch_scc1 .LBB88_63
; %bb.2:
	s_mul_i32 s0, s23, s8
	s_mul_hi_u32 s1, s22, s8
	s_add_i32 s1, s1, s0
	s_mul_i32 s0, s22, s8
	s_load_dwordx8 s[36:43], s[4:5], 0x50
	s_load_dwordx4 s[44:47], s[4:5], 0x70
	s_lshl_b64 s[10:11], s[0:1], 3
	s_add_u32 s0, s16, s10
	s_addc_u32 s1, s17, s11
	s_lshl_b64 s[12:13], s[18:19], 3
	s_add_u32 s2, s0, s12
	s_addc_u32 s3, s1, s13
	s_waitcnt lgkmcnt(0)
	s_mul_i32 s0, s39, s8
	s_mul_hi_u32 s1, s38, s8
	s_add_i32 s1, s1, s0
	s_mul_i32 s0, s38, s8
	s_lshl_b64 s[0:1], s[0:1], 3
	s_add_u32 s9, s24, s0
	s_addc_u32 s14, s25, s1
	s_lshl_b64 s[0:1], s[26:27], 3
	s_add_u32 s9, s9, s0
	s_addc_u32 s14, s14, s1
	s_mul_i32 s0, s47, s8
	s_mul_hi_u32 s1, s46, s8
	s_add_i32 s1, s1, s0
	s_mul_i32 s0, s46, s8
	s_lshl_b64 s[0:1], s[0:1], 3
	s_load_dword s48, s[4:5], 0x8c
	s_add_u32 s4, s40, s0
	s_addc_u32 s5, s41, s1
	v_mad_u64_u32 v[2:3], s[0:1], s20, v0, 0
	s_lshl_b64 s[0:1], s[42:43], 3
	s_add_u32 s46, s4, s0
	s_addc_u32 s47, s5, s1
	v_mad_u64_u32 v[3:4], s[0:1], s21, v0, v[3:4]
	v_lshl_add_u32 v4, s6, 5, v0
	v_ashrrev_i32_e32 v5, 31, v4
	v_lshlrev_b64 v[2:3], 3, v[2:3]
	v_mov_b32_e32 v6, s3
	v_add_co_u32_e32 v2, vcc, s2, v2
	v_addc_co_u32_e32 v3, vcc, v6, v3, vcc
	v_lshlrev_b64 v[35:36], 3, v[4:5]
	buffer_store_dword v2, off, s[52:55], 0 offset:8 ; 4-byte Folded Spill
	s_nop 0
	buffer_store_dword v3, off, s[52:55], 0 offset:12 ; 4-byte Folded Spill
	v_mov_b32_e32 v2, s14
	v_add_co_u32_e32 v6, vcc, s9, v35
	s_cmpk_eq_i32 s28, 0x84
	v_addc_co_u32_e32 v7, vcc, v2, v36, vcc
	s_cselect_b64 s[22:23], -1, 0
	s_ashr_i32 s0, s29, 31
	v_mov_b32_e32 v3, s0
	v_sub_co_u32_e32 v2, vcc, s29, v4
	v_subb_co_u32_e32 v3, vcc, v3, v5, vcc
	v_cmp_gt_i64_e32 vcc, 1, v[2:3]
	v_cmp_gt_i64_e64 s[0:1], 17, v[2:3]
	v_mad_u64_u32 v[2:3], s[2:3], s36, v1, 0
	buffer_store_dword v6, off, s[52:55], 0 offset:16 ; 4-byte Folded Spill
	s_nop 0
	buffer_store_dword v7, off, s[52:55], 0 offset:20 ; 4-byte Folded Spill
	v_cmp_gt_i32_e64 s[2:3], s29, v4
	v_add_u32_e32 v4, 16, v4
	v_mad_u64_u32 v[6:7], s[4:5], s37, v1, v[3:4]
	s_ashr_i32 s31, s30, 31
	s_lshl_b64 s[24:25], s[20:21], 8
	v_mov_b32_e32 v3, v6
	v_lshlrev_b64 v[2:3], 3, v[2:3]
	s_lshl_b64 s[26:27], s[36:37], 8
	s_movk_i32 s8, 0x80
	s_add_u32 s38, s30, -16
	v_add_co_u32_e64 v59, s[8:9], s8, v2
	s_addc_u32 s39, s31, -1
	s_waitcnt lgkmcnt(0)
	s_lshl_b32 s6, s48, 5
	v_addc_co_u32_e64 v60, s[8:9], 0, v3, s[8:9]
	s_add_u32 s8, s16, s12
	s_addc_u32 s9, s17, s13
	s_add_u32 s8, s8, s10
	v_lshlrev_b32_e32 v8, 3, v0
	s_addc_u32 s9, s9, s11
	v_mov_b32_e32 v2, s8
	v_lshlrev_b32_e32 v55, 8, v1
	v_add_u32_e32 v6, 0x80, v8
	v_mov_b32_e32 v3, s9
	v_add_u32_e32 v56, v55, v8
	v_or_b32_e32 v57, 0x2000, v8
	v_mad_u64_u32 v[8:9], s[8:9], s20, v6, v[2:3]
	v_mov_b32_e32 v2, 0x80
	v_lshl_add_u32 v7, v1, 3, v2
	v_mad_u64_u32 v[32:33], s[8:9], s36, v7, 0
	v_mov_b32_e32 v2, v9
	v_mad_u64_u32 v[2:3], s[8:9], s21, v6, v[2:3]
	v_mov_b32_e32 v3, v33
	v_mad_u64_u32 v[6:7], s[8:9], s37, v7, v[3:4]
	v_sub_co_u32_e64 v3, s[8:9], 0, v0
	v_ashrrev_i32_e32 v5, 31, v4
	buffer_store_dword v3, off, s[52:55], 0 offset:32 ; 4-byte Folded Spill
	v_subb_co_u32_e64 v3, s[8:9], 0, 0, s[8:9]
	buffer_store_dword v3, off, s[52:55], 0 offset:36 ; 4-byte Folded Spill
	v_mov_b32_e32 v9, v2
	v_lshlrev_b64 v[2:3], 3, v[4:5]
	v_mov_b32_e32 v23, 0
	v_add_u32_e32 v58, v57, v55
	v_cmp_gt_i32_e64 s[4:5], s29, v4
	v_lshl_add_u32 v33, s7, 5, v1
	v_mov_b32_e32 v63, v6
	v_mov_b32_e32 v22, 1.0
	buffer_store_dword v8, off, s[52:55], 0 offset:24 ; 4-byte Folded Spill
	s_nop 0
	buffer_store_dword v9, off, s[52:55], 0 offset:28 ; 4-byte Folded Spill
	buffer_store_dword v2, off, s[52:55], 0 ; 4-byte Folded Spill
	s_nop 0
	buffer_store_dword v3, off, s[52:55], 0 offset:4 ; 4-byte Folded Spill
	s_branch .LBB88_4
.LBB88_3:                               ;   in Loop: Header=BB88_4 Depth=1
	s_or_b64 exec, exec, s[10:11]
	s_add_i32 s7, s48, s7
	s_cmp_le_i32 s7, s33
	v_add_u32_e32 v33, s6, v33
	s_cbranch_scc0 .LBB88_63
.LBB88_4:                               ; =>This Loop Header: Depth=1
                                        ;     Child Loop BB88_7 Depth 2
	s_lshl_b32 s49, s7, 5
	v_add_u32_e32 v37, s49, v1
	v_ashrrev_i32_e32 v38, 31, v37
	s_cmp_lt_i32 s7, 0
	v_mov_b32_e32 v20, v23
	v_mov_b32_e32 v21, v23
	;; [unrolled: 1-line block ×8, first 2 shown]
	s_cbranch_scc1 .LBB88_55
; %bb.5:                                ;   in Loop: Header=BB88_4 Depth=1
	buffer_load_dword v2, off, s[52:55], 0 offset:32 ; 4-byte Folded Reload
	v_ashrrev_i32_e32 v34, 31, v33
	v_lshlrev_b64 v[41:42], 3, v[33:34]
	v_cmp_le_i32_e64 s[16:17], s30, v37
	v_mov_b32_e32 v14, 0
	s_mov_b64 s[28:29], 0
	v_mov_b32_e32 v15, 0
	v_mov_b32_e32 v17, 0
	;; [unrolled: 1-line block ×7, first 2 shown]
	s_waitcnt vmcnt(0)
	v_add_co_u32_e64 v39, s[8:9], v2, v33
	buffer_load_dword v2, off, s[52:55], 0 offset:36 ; 4-byte Folded Reload
	buffer_load_dword v49, off, s[52:55], 0 offset:8 ; 4-byte Folded Reload
	;; [unrolled: 1-line block ×7, first 2 shown]
	v_add_co_u32_e64 v45, s[10:11], 16, v39
	s_waitcnt vmcnt(6)
	v_addc_co_u32_e64 v40, s[8:9], v2, v34, s[8:9]
	v_add_co_u32_e64 v43, s[8:9], 16, v37
	v_addc_co_u32_e64 v44, s[8:9], 0, v38, s[8:9]
	v_addc_co_u32_e64 v46, s[10:11], 0, v40, s[10:11]
	v_cmp_le_i64_e64 s[8:9], s[30:31], v[43:44]
	v_add_co_u32_e64 v47, s[10:11], -16, v39
	v_addc_co_u32_e64 v48, s[10:11], -1, v40, s[10:11]
	s_branch .LBB88_7
.LBB88_6:                               ;   in Loop: Header=BB88_7 Depth=2
	s_or_b64 exec, exec, s[10:11]
	s_waitcnt lgkmcnt(0)
	s_barrier
	ds_read_b128 v[28:31], v55
	ds_read_b128 v[10:13], v55 offset:16
	ds_read_b128 v[6:9], v55 offset:32
	;; [unrolled: 1-line block ×3, first 2 shown]
	ds_read2_b64 v[24:27], v57 offset1:16
	v_add_co_u32_e64 v53, s[10:11], s26, v53
	s_add_u32 s28, s28, 32
	s_addc_u32 s29, s29, 0
	s_waitcnt lgkmcnt(0)
	v_mul_f32_e32 v34, v29, v25
	v_mul_f32_e32 v61, v28, v25
	v_fma_f32 v34, v28, v24, -v34
	v_fmac_f32_e32 v61, v29, v24
	v_add_f32_e32 v34, v20, v34
	v_add_f32_e32 v61, v21, v61
	v_mul_f32_e32 v20, v29, v27
	v_mul_f32_e32 v21, v28, v27
	v_fma_f32 v20, v28, v26, -v20
	v_fmac_f32_e32 v21, v29, v26
	v_add_f32_e32 v28, v18, v20
	v_add_f32_e32 v29, v19, v21
	ds_read_b128 v[18:21], v55 offset:4096
	s_sub_i32 s12, s28, 32
	s_cmp_ge_i32 s12, s49
	s_waitcnt lgkmcnt(0)
	v_mul_f32_e32 v62, v19, v25
	v_mul_f32_e32 v25, v18, v25
	v_fma_f32 v62, v18, v24, -v62
	v_fmac_f32_e32 v25, v19, v24
	v_add_f32_e32 v24, v16, v62
	v_add_f32_e32 v25, v17, v25
	v_mul_f32_e32 v16, v19, v27
	v_mul_f32_e32 v17, v18, v27
	v_fma_f32 v16, v18, v26, -v16
	v_fmac_f32_e32 v17, v19, v26
	v_add_f32_e32 v18, v15, v16
	v_add_f32_e32 v19, v14, v17
	ds_read2_b64 v[14:17], v57 offset0:32 offset1:48
	s_waitcnt lgkmcnt(0)
	v_mul_f32_e32 v26, v31, v15
	v_fma_f32 v26, v30, v14, -v26
	v_add_f32_e32 v26, v34, v26
	v_mul_f32_e32 v34, v31, v17
	v_mul_f32_e32 v27, v30, v15
	v_fma_f32 v34, v30, v16, -v34
	v_mul_f32_e32 v30, v30, v17
	v_fmac_f32_e32 v27, v31, v14
	v_fmac_f32_e32 v30, v31, v16
	v_add_f32_e32 v31, v28, v34
	v_mul_f32_e32 v28, v21, v15
	v_mul_f32_e32 v15, v20, v15
	v_fma_f32 v28, v20, v14, -v28
	v_fmac_f32_e32 v15, v21, v14
	v_add_f32_e32 v62, v24, v28
	v_add_f32_e32 v24, v25, v15
	v_mul_f32_e32 v14, v21, v17
	v_mul_f32_e32 v15, v20, v17
	v_fma_f32 v14, v20, v16, -v14
	v_fmac_f32_e32 v15, v21, v16
	v_add_f32_e32 v25, v18, v14
	v_add_f32_e32 v28, v19, v15
	ds_read2_b64 v[14:17], v57 offset0:64 offset1:80
	v_add_f32_e32 v27, v61, v27
	v_add_f32_e32 v29, v29, v30
	s_waitcnt lgkmcnt(0)
	v_mul_f32_e32 v18, v11, v15
	v_mul_f32_e32 v19, v10, v15
	v_fma_f32 v18, v10, v14, -v18
	v_fmac_f32_e32 v19, v11, v14
	v_add_f32_e32 v34, v26, v18
	v_add_f32_e32 v61, v27, v19
	v_mul_f32_e32 v18, v11, v17
	v_mul_f32_e32 v19, v10, v17
	v_fma_f32 v18, v10, v16, -v18
	v_fmac_f32_e32 v19, v11, v16
	v_add_f32_e32 v10, v31, v18
	v_add_f32_e32 v11, v29, v19
	ds_read_b128 v[18:21], v55 offset:4112
	s_waitcnt lgkmcnt(0)
	v_mul_f32_e32 v26, v19, v15
	v_mul_f32_e32 v15, v18, v15
	v_fmac_f32_e32 v15, v19, v14
	v_fma_f32 v26, v18, v14, -v26
	v_add_f32_e32 v24, v24, v15
	v_mul_f32_e32 v14, v19, v17
	v_mul_f32_e32 v15, v18, v17
	v_fma_f32 v14, v18, v16, -v14
	v_fmac_f32_e32 v15, v19, v16
	v_add_f32_e32 v18, v25, v14
	v_add_f32_e32 v19, v28, v15
	ds_read2_b64 v[14:17], v57 offset0:96 offset1:112
	v_add_f32_e32 v26, v62, v26
	s_waitcnt lgkmcnt(0)
	v_mul_f32_e32 v25, v13, v15
	v_mul_f32_e32 v28, v13, v17
	v_fma_f32 v25, v12, v14, -v25
	v_mul_f32_e32 v27, v12, v15
	v_fma_f32 v28, v12, v16, -v28
	v_mul_f32_e32 v12, v12, v17
	v_fmac_f32_e32 v12, v13, v16
	v_add_f32_e32 v28, v10, v28
	v_add_f32_e32 v29, v11, v12
	v_mul_f32_e32 v10, v21, v15
	v_mul_f32_e32 v11, v20, v15
	v_fma_f32 v10, v20, v14, -v10
	v_fmac_f32_e32 v11, v21, v14
	v_fmac_f32_e32 v27, v13, v14
	v_add_f32_e32 v14, v26, v10
	v_add_f32_e32 v15, v24, v11
	v_mul_f32_e32 v10, v21, v17
	v_mul_f32_e32 v11, v20, v17
	v_fma_f32 v10, v20, v16, -v10
	v_fmac_f32_e32 v11, v21, v16
	v_add_f32_e32 v20, v18, v10
	v_add_f32_e32 v21, v19, v11
	ds_read2_b64 v[10:13], v57 offset0:128 offset1:144
	v_add_f32_e32 v25, v34, v25
	v_add_f32_e32 v27, v61, v27
	s_waitcnt lgkmcnt(0)
	v_mul_f32_e32 v16, v7, v11
	v_fma_f32 v16, v6, v10, -v16
	v_mul_f32_e32 v17, v6, v11
	v_add_f32_e32 v24, v25, v16
	v_mul_f32_e32 v16, v7, v13
	v_fmac_f32_e32 v17, v7, v10
	v_fma_f32 v16, v6, v12, -v16
	v_mul_f32_e32 v6, v6, v13
	v_add_f32_e32 v25, v27, v17
	v_fmac_f32_e32 v6, v7, v12
	v_add_f32_e32 v7, v28, v16
	ds_read_b128 v[16:19], v55 offset:4128
	v_add_f32_e32 v6, v29, v6
	s_waitcnt lgkmcnt(0)
	v_mul_f32_e32 v26, v17, v11
	v_mul_f32_e32 v11, v16, v11
	v_fmac_f32_e32 v11, v17, v10
	v_fma_f32 v26, v16, v10, -v26
	v_add_f32_e32 v15, v15, v11
	v_mul_f32_e32 v10, v17, v13
	v_mul_f32_e32 v11, v16, v13
	v_fma_f32 v10, v16, v12, -v10
	v_fmac_f32_e32 v11, v17, v12
	v_add_f32_e32 v20, v20, v10
	v_add_f32_e32 v21, v21, v11
	ds_read2_b64 v[10:13], v57 offset0:160 offset1:176
	v_add_f32_e32 v14, v14, v26
	s_waitcnt lgkmcnt(0)
	v_mul_f32_e32 v16, v9, v11
	v_fma_f32 v16, v8, v10, -v16
	v_add_f32_e32 v24, v24, v16
	v_mul_f32_e32 v16, v9, v13
	v_mul_f32_e32 v17, v8, v11
	v_fma_f32 v16, v8, v12, -v16
	v_mul_f32_e32 v8, v8, v13
	v_fmac_f32_e32 v8, v9, v12
	v_add_f32_e32 v26, v7, v16
	v_add_f32_e32 v27, v6, v8
	v_mul_f32_e32 v6, v19, v11
	v_mul_f32_e32 v7, v18, v11
	v_fmac_f32_e32 v17, v9, v10
	v_fma_f32 v6, v18, v10, -v6
	v_fmac_f32_e32 v7, v19, v10
	v_add_f32_e32 v25, v25, v17
	v_add_f32_e32 v16, v14, v6
	;; [unrolled: 1-line block ×3, first 2 shown]
	v_mul_f32_e32 v6, v19, v13
	v_mul_f32_e32 v7, v18, v13
	v_fma_f32 v6, v18, v12, -v6
	v_fmac_f32_e32 v7, v19, v12
	v_add_f32_e32 v18, v20, v6
	v_add_f32_e32 v19, v21, v7
	ds_read2_b64 v[6:9], v57 offset0:192 offset1:208
	s_waitcnt lgkmcnt(0)
	v_mul_f32_e32 v10, v3, v7
	v_mul_f32_e32 v11, v2, v7
	v_fma_f32 v10, v2, v6, -v10
	v_fmac_f32_e32 v11, v3, v6
	v_add_f32_e32 v14, v24, v10
	v_add_f32_e32 v15, v25, v11
	v_mul_f32_e32 v10, v3, v9
	v_mul_f32_e32 v11, v2, v9
	v_fma_f32 v10, v2, v8, -v10
	v_fmac_f32_e32 v11, v3, v8
	v_add_f32_e32 v2, v26, v10
	v_add_f32_e32 v3, v27, v11
	ds_read_b128 v[10:13], v55 offset:4144
	s_waitcnt lgkmcnt(0)
	v_mul_f32_e32 v20, v11, v7
	v_mul_f32_e32 v7, v10, v7
	v_fmac_f32_e32 v7, v11, v6
	v_fma_f32 v20, v10, v6, -v20
	v_add_f32_e32 v17, v17, v7
	v_mul_f32_e32 v6, v11, v9
	v_mul_f32_e32 v7, v10, v9
	v_fma_f32 v6, v10, v8, -v6
	v_fmac_f32_e32 v7, v11, v8
	v_add_f32_e32 v10, v18, v6
	v_add_f32_e32 v11, v19, v7
	ds_read2_b64 v[6:9], v57 offset0:224 offset1:240
	v_add_f32_e32 v16, v16, v20
	s_waitcnt lgkmcnt(0)
	v_mul_f32_e32 v18, v5, v7
	v_fma_f32 v18, v4, v6, -v18
	v_add_f32_e32 v18, v14, v18
	v_mul_f32_e32 v14, v5, v9
	v_mul_f32_e32 v19, v4, v7
	v_fma_f32 v14, v4, v8, -v14
	v_mul_f32_e32 v4, v4, v9
	v_fmac_f32_e32 v19, v5, v6
	v_fmac_f32_e32 v4, v5, v8
	v_add_f32_e32 v15, v15, v19
	v_add_f32_e32 v19, v2, v14
	v_add_f32_e32 v20, v3, v4
	v_mul_f32_e32 v2, v13, v7
	v_mul_f32_e32 v3, v12, v7
	v_fma_f32 v2, v12, v6, -v2
	v_fmac_f32_e32 v3, v13, v6
	v_add_f32_e32 v21, v16, v2
	v_add_f32_e32 v24, v17, v3
	v_mul_f32_e32 v2, v13, v9
	v_mul_f32_e32 v3, v12, v9
	v_fma_f32 v2, v12, v8, -v2
	v_fmac_f32_e32 v3, v13, v8
	v_add_u32_e32 v14, 0x800, v57
	v_add_f32_e32 v10, v10, v2
	v_add_f32_e32 v11, v11, v3
	ds_read_b128 v[2:5], v55 offset:64
	ds_read2_b64 v[6:9], v14 offset1:16
	s_waitcnt lgkmcnt(0)
	v_mul_f32_e32 v13, v2, v7
	v_fmac_f32_e32 v13, v3, v6
	v_mul_f32_e32 v12, v3, v7
	v_add_f32_e32 v13, v15, v13
	v_mul_f32_e32 v15, v3, v9
	v_fma_f32 v12, v2, v6, -v12
	v_fma_f32 v15, v2, v8, -v15
	v_mul_f32_e32 v2, v2, v9
	v_add_f32_e32 v12, v18, v12
	v_fmac_f32_e32 v2, v3, v8
	v_add_f32_e32 v3, v19, v15
	ds_read_b128 v[15:18], v55 offset:4160
	v_add_f32_e32 v2, v20, v2
	s_waitcnt lgkmcnt(0)
	v_mul_f32_e32 v19, v16, v7
	v_mul_f32_e32 v7, v15, v7
	v_fmac_f32_e32 v7, v16, v6
	v_fma_f32 v19, v15, v6, -v19
	v_add_f32_e32 v20, v24, v7
	v_mul_f32_e32 v6, v16, v9
	v_mul_f32_e32 v7, v15, v9
	v_fma_f32 v6, v15, v8, -v6
	v_fmac_f32_e32 v7, v16, v8
	v_add_f32_e32 v19, v21, v19
	v_add_f32_e32 v21, v10, v6
	;; [unrolled: 1-line block ×3, first 2 shown]
	ds_read2_b64 v[6:9], v14 offset0:32 offset1:48
	s_waitcnt lgkmcnt(0)
	v_mul_f32_e32 v10, v5, v7
	v_fma_f32 v10, v4, v6, -v10
	v_add_f32_e32 v10, v12, v10
	v_mul_f32_e32 v12, v5, v9
	v_mul_f32_e32 v11, v4, v7
	v_fma_f32 v12, v4, v8, -v12
	v_mul_f32_e32 v4, v4, v9
	v_fmac_f32_e32 v11, v5, v6
	v_fmac_f32_e32 v4, v5, v8
	v_add_f32_e32 v11, v13, v11
	v_add_f32_e32 v12, v3, v12
	v_add_f32_e32 v13, v2, v4
	v_mul_f32_e32 v2, v18, v7
	v_mul_f32_e32 v3, v17, v7
	v_fma_f32 v2, v17, v6, -v2
	v_fmac_f32_e32 v3, v18, v6
	v_add_f32_e32 v15, v19, v2
	v_add_f32_e32 v16, v20, v3
	v_mul_f32_e32 v2, v18, v9
	v_mul_f32_e32 v3, v17, v9
	v_fma_f32 v2, v17, v8, -v2
	v_fmac_f32_e32 v3, v18, v8
	v_add_f32_e32 v17, v21, v2
	v_add_f32_e32 v18, v24, v3
	ds_read_b128 v[2:5], v55 offset:80
	ds_read2_b64 v[6:9], v14 offset0:64 offset1:80
	s_waitcnt lgkmcnt(0)
	v_mul_f32_e32 v19, v3, v7
	v_mul_f32_e32 v20, v2, v7
	v_fma_f32 v19, v2, v6, -v19
	v_fmac_f32_e32 v20, v3, v6
	v_add_f32_e32 v19, v10, v19
	v_add_f32_e32 v20, v11, v20
	v_mul_f32_e32 v10, v3, v9
	v_mul_f32_e32 v11, v2, v9
	v_fma_f32 v10, v2, v8, -v10
	v_fmac_f32_e32 v11, v3, v8
	v_add_f32_e32 v2, v12, v10
	v_add_f32_e32 v3, v13, v11
	ds_read_b128 v[10:13], v55 offset:4176
	s_waitcnt lgkmcnt(0)
	v_mul_f32_e32 v21, v11, v7
	v_mul_f32_e32 v7, v10, v7
	v_fmac_f32_e32 v7, v11, v6
	v_fma_f32 v21, v10, v6, -v21
	v_add_f32_e32 v16, v16, v7
	v_mul_f32_e32 v6, v11, v9
	v_mul_f32_e32 v7, v10, v9
	v_fma_f32 v6, v10, v8, -v6
	v_fmac_f32_e32 v7, v11, v8
	v_add_f32_e32 v10, v17, v6
	v_add_f32_e32 v11, v18, v7
	ds_read2_b64 v[6:9], v14 offset0:96 offset1:112
	v_add_f32_e32 v15, v15, v21
	s_waitcnt lgkmcnt(0)
	v_mul_f32_e32 v17, v5, v7
	v_fma_f32 v17, v4, v6, -v17
	v_add_f32_e32 v17, v19, v17
	v_mul_f32_e32 v19, v5, v9
	v_mul_f32_e32 v18, v4, v7
	v_fma_f32 v19, v4, v8, -v19
	v_mul_f32_e32 v4, v4, v9
	v_fmac_f32_e32 v18, v5, v6
	v_fmac_f32_e32 v4, v5, v8
	v_add_f32_e32 v18, v20, v18
	v_add_f32_e32 v19, v2, v19
	;; [unrolled: 1-line block ×3, first 2 shown]
	v_mul_f32_e32 v2, v13, v7
	v_mul_f32_e32 v3, v12, v7
	v_fma_f32 v2, v12, v6, -v2
	v_fmac_f32_e32 v3, v13, v6
	v_add_f32_e32 v21, v15, v2
	v_add_f32_e32 v24, v16, v3
	v_mul_f32_e32 v2, v13, v9
	v_mul_f32_e32 v3, v12, v9
	v_fma_f32 v2, v12, v8, -v2
	v_fmac_f32_e32 v3, v13, v8
	v_add_f32_e32 v10, v10, v2
	v_add_f32_e32 v11, v11, v3
	ds_read_b128 v[2:5], v55 offset:96
	ds_read2_b64 v[6:9], v14 offset0:128 offset1:144
	s_waitcnt lgkmcnt(0)
	v_mul_f32_e32 v12, v3, v7
	v_mul_f32_e32 v13, v2, v7
	;; [unrolled: 1-line block ×3, first 2 shown]
	v_fma_f32 v12, v2, v6, -v12
	v_fmac_f32_e32 v13, v3, v6
	v_fma_f32 v15, v2, v8, -v15
	v_mul_f32_e32 v2, v2, v9
	v_add_f32_e32 v12, v17, v12
	v_add_f32_e32 v13, v18, v13
	v_fmac_f32_e32 v2, v3, v8
	v_add_f32_e32 v3, v19, v15
	ds_read_b128 v[15:18], v55 offset:4192
	v_add_f32_e32 v2, v20, v2
	s_waitcnt lgkmcnt(0)
	v_mul_f32_e32 v19, v16, v7
	v_mul_f32_e32 v7, v15, v7
	v_fmac_f32_e32 v7, v16, v6
	v_fma_f32 v19, v15, v6, -v19
	v_add_f32_e32 v20, v24, v7
	v_mul_f32_e32 v6, v16, v9
	v_mul_f32_e32 v7, v15, v9
	v_fma_f32 v6, v15, v8, -v6
	v_fmac_f32_e32 v7, v16, v8
	v_add_f32_e32 v19, v21, v19
	v_add_f32_e32 v21, v10, v6
	v_add_f32_e32 v24, v11, v7
	ds_read2_b64 v[6:9], v14 offset0:160 offset1:176
	s_waitcnt lgkmcnt(0)
	v_mul_f32_e32 v10, v5, v7
	v_fma_f32 v10, v4, v6, -v10
	v_add_f32_e32 v10, v12, v10
	v_mul_f32_e32 v12, v5, v9
	v_mul_f32_e32 v11, v4, v7
	v_fma_f32 v12, v4, v8, -v12
	v_mul_f32_e32 v4, v4, v9
	v_fmac_f32_e32 v11, v5, v6
	v_fmac_f32_e32 v4, v5, v8
	v_add_f32_e32 v11, v13, v11
	v_add_f32_e32 v12, v3, v12
	;; [unrolled: 1-line block ×3, first 2 shown]
	v_mul_f32_e32 v2, v18, v7
	v_mul_f32_e32 v3, v17, v7
	v_fma_f32 v2, v17, v6, -v2
	v_fmac_f32_e32 v3, v18, v6
	v_add_f32_e32 v15, v19, v2
	v_add_f32_e32 v16, v20, v3
	v_mul_f32_e32 v2, v18, v9
	v_mul_f32_e32 v3, v17, v9
	v_fma_f32 v2, v17, v8, -v2
	v_fmac_f32_e32 v3, v18, v8
	v_add_f32_e32 v17, v21, v2
	v_add_f32_e32 v18, v24, v3
	ds_read_b128 v[2:5], v55 offset:112
	ds_read2_b64 v[6:9], v14 offset0:192 offset1:208
	s_waitcnt lgkmcnt(0)
	v_mul_f32_e32 v19, v3, v7
	v_mul_f32_e32 v20, v2, v7
	v_fma_f32 v19, v2, v6, -v19
	v_fmac_f32_e32 v20, v3, v6
	v_add_f32_e32 v19, v10, v19
	v_add_f32_e32 v20, v11, v20
	v_mul_f32_e32 v10, v3, v9
	v_mul_f32_e32 v11, v2, v9
	v_fma_f32 v10, v2, v8, -v10
	v_fmac_f32_e32 v11, v3, v8
	v_add_f32_e32 v2, v12, v10
	v_add_f32_e32 v3, v13, v11
	ds_read_b128 v[10:13], v55 offset:4208
	s_waitcnt lgkmcnt(0)
	v_mul_f32_e32 v21, v11, v7
	v_mul_f32_e32 v7, v10, v7
	v_fmac_f32_e32 v7, v11, v6
	v_fma_f32 v21, v10, v6, -v21
	v_add_f32_e32 v16, v16, v7
	v_mul_f32_e32 v6, v11, v9
	v_mul_f32_e32 v7, v10, v9
	v_fma_f32 v6, v10, v8, -v6
	v_fmac_f32_e32 v7, v11, v8
	v_add_f32_e32 v10, v17, v6
	v_add_f32_e32 v11, v18, v7
	ds_read2_b64 v[6:9], v14 offset0:224 offset1:240
	v_add_f32_e32 v15, v15, v21
	s_waitcnt lgkmcnt(0)
	v_mul_f32_e32 v14, v5, v7
	v_fma_f32 v14, v4, v6, -v14
	v_add_f32_e32 v18, v19, v14
	v_mul_f32_e32 v14, v5, v9
	v_mul_f32_e32 v17, v4, v7
	v_fma_f32 v14, v4, v8, -v14
	v_mul_f32_e32 v4, v4, v9
	v_fmac_f32_e32 v17, v5, v6
	v_fmac_f32_e32 v4, v5, v8
	v_add_f32_e32 v17, v20, v17
	v_add_f32_e32 v19, v2, v14
	;; [unrolled: 1-line block ×3, first 2 shown]
	v_mul_f32_e32 v2, v13, v7
	v_mul_f32_e32 v3, v12, v7
	v_fma_f32 v2, v12, v6, -v2
	v_fmac_f32_e32 v3, v13, v6
	v_add_f32_e32 v21, v15, v2
	v_add_f32_e32 v24, v16, v3
	v_mul_f32_e32 v2, v13, v9
	v_mul_f32_e32 v3, v12, v9
	v_fma_f32 v2, v12, v8, -v2
	v_fmac_f32_e32 v3, v13, v8
	v_add_u32_e32 v14, 0x1000, v57
	v_add_f32_e32 v10, v10, v2
	v_add_f32_e32 v11, v11, v3
	ds_read_b128 v[2:5], v55 offset:128
	ds_read2_b64 v[6:9], v14 offset1:16
	s_waitcnt lgkmcnt(0)
	v_mul_f32_e32 v12, v3, v7
	v_mul_f32_e32 v13, v2, v7
	;; [unrolled: 1-line block ×3, first 2 shown]
	v_fma_f32 v12, v2, v6, -v12
	v_fmac_f32_e32 v13, v3, v6
	v_fma_f32 v15, v2, v8, -v15
	v_mul_f32_e32 v2, v2, v9
	v_add_f32_e32 v12, v18, v12
	v_add_f32_e32 v13, v17, v13
	v_fmac_f32_e32 v2, v3, v8
	v_add_f32_e32 v3, v19, v15
	ds_read_b128 v[15:18], v55 offset:4224
	v_add_f32_e32 v2, v20, v2
	s_waitcnt lgkmcnt(0)
	v_mul_f32_e32 v19, v16, v7
	v_mul_f32_e32 v7, v15, v7
	v_fmac_f32_e32 v7, v16, v6
	v_fma_f32 v19, v15, v6, -v19
	v_add_f32_e32 v20, v24, v7
	v_mul_f32_e32 v6, v16, v9
	v_mul_f32_e32 v7, v15, v9
	v_fma_f32 v6, v15, v8, -v6
	v_fmac_f32_e32 v7, v16, v8
	v_add_f32_e32 v19, v21, v19
	v_add_f32_e32 v21, v10, v6
	;; [unrolled: 1-line block ×3, first 2 shown]
	ds_read2_b64 v[6:9], v14 offset0:32 offset1:48
	s_waitcnt lgkmcnt(0)
	v_mul_f32_e32 v10, v5, v7
	v_fma_f32 v10, v4, v6, -v10
	v_add_f32_e32 v10, v12, v10
	v_mul_f32_e32 v12, v5, v9
	v_mul_f32_e32 v11, v4, v7
	v_fma_f32 v12, v4, v8, -v12
	v_mul_f32_e32 v4, v4, v9
	v_fmac_f32_e32 v11, v5, v6
	v_fmac_f32_e32 v4, v5, v8
	v_add_f32_e32 v11, v13, v11
	v_add_f32_e32 v12, v3, v12
	;; [unrolled: 1-line block ×3, first 2 shown]
	v_mul_f32_e32 v2, v18, v7
	v_mul_f32_e32 v3, v17, v7
	v_fma_f32 v2, v17, v6, -v2
	v_fmac_f32_e32 v3, v18, v6
	v_add_f32_e32 v15, v19, v2
	v_add_f32_e32 v16, v20, v3
	v_mul_f32_e32 v2, v18, v9
	v_mul_f32_e32 v3, v17, v9
	v_fma_f32 v2, v17, v8, -v2
	v_fmac_f32_e32 v3, v18, v8
	v_add_f32_e32 v17, v21, v2
	v_add_f32_e32 v18, v24, v3
	ds_read_b128 v[2:5], v55 offset:144
	ds_read2_b64 v[6:9], v14 offset0:64 offset1:80
	s_waitcnt lgkmcnt(0)
	v_mul_f32_e32 v19, v3, v7
	v_mul_f32_e32 v20, v2, v7
	v_fma_f32 v19, v2, v6, -v19
	v_fmac_f32_e32 v20, v3, v6
	v_add_f32_e32 v19, v10, v19
	v_add_f32_e32 v20, v11, v20
	v_mul_f32_e32 v10, v3, v9
	v_mul_f32_e32 v11, v2, v9
	v_fma_f32 v10, v2, v8, -v10
	v_fmac_f32_e32 v11, v3, v8
	v_add_f32_e32 v2, v12, v10
	v_add_f32_e32 v3, v13, v11
	ds_read_b128 v[10:13], v55 offset:4240
	s_waitcnt lgkmcnt(0)
	v_mul_f32_e32 v21, v11, v7
	v_mul_f32_e32 v7, v10, v7
	v_fmac_f32_e32 v7, v11, v6
	v_fma_f32 v21, v10, v6, -v21
	v_add_f32_e32 v16, v16, v7
	v_mul_f32_e32 v6, v11, v9
	v_mul_f32_e32 v7, v10, v9
	v_fma_f32 v6, v10, v8, -v6
	v_fmac_f32_e32 v7, v11, v8
	v_add_f32_e32 v10, v17, v6
	v_add_f32_e32 v11, v18, v7
	ds_read2_b64 v[6:9], v14 offset0:96 offset1:112
	v_add_f32_e32 v15, v15, v21
	s_waitcnt lgkmcnt(0)
	v_mul_f32_e32 v17, v5, v7
	v_fma_f32 v17, v4, v6, -v17
	v_add_f32_e32 v17, v19, v17
	v_mul_f32_e32 v19, v5, v9
	v_mul_f32_e32 v18, v4, v7
	v_fma_f32 v19, v4, v8, -v19
	v_mul_f32_e32 v4, v4, v9
	v_fmac_f32_e32 v18, v5, v6
	v_fmac_f32_e32 v4, v5, v8
	v_add_f32_e32 v18, v20, v18
	v_add_f32_e32 v19, v2, v19
	;; [unrolled: 1-line block ×3, first 2 shown]
	v_mul_f32_e32 v2, v13, v7
	v_mul_f32_e32 v3, v12, v7
	v_fma_f32 v2, v12, v6, -v2
	v_fmac_f32_e32 v3, v13, v6
	v_add_f32_e32 v21, v15, v2
	v_add_f32_e32 v24, v16, v3
	v_mul_f32_e32 v2, v13, v9
	v_mul_f32_e32 v3, v12, v9
	v_fma_f32 v2, v12, v8, -v2
	v_fmac_f32_e32 v3, v13, v8
	v_add_f32_e32 v10, v10, v2
	v_add_f32_e32 v11, v11, v3
	ds_read_b128 v[2:5], v55 offset:160
	ds_read2_b64 v[6:9], v14 offset0:128 offset1:144
	s_waitcnt lgkmcnt(0)
	v_mul_f32_e32 v12, v3, v7
	v_mul_f32_e32 v13, v2, v7
	;; [unrolled: 1-line block ×3, first 2 shown]
	v_fma_f32 v12, v2, v6, -v12
	v_fmac_f32_e32 v13, v3, v6
	v_fma_f32 v15, v2, v8, -v15
	v_mul_f32_e32 v2, v2, v9
	v_add_f32_e32 v12, v17, v12
	v_add_f32_e32 v13, v18, v13
	v_fmac_f32_e32 v2, v3, v8
	v_add_f32_e32 v3, v19, v15
	ds_read_b128 v[15:18], v55 offset:4256
	v_add_f32_e32 v2, v20, v2
	s_waitcnt lgkmcnt(0)
	v_mul_f32_e32 v19, v16, v7
	v_mul_f32_e32 v7, v15, v7
	v_fmac_f32_e32 v7, v16, v6
	v_fma_f32 v19, v15, v6, -v19
	v_add_f32_e32 v20, v24, v7
	v_mul_f32_e32 v6, v16, v9
	v_mul_f32_e32 v7, v15, v9
	v_fma_f32 v6, v15, v8, -v6
	v_fmac_f32_e32 v7, v16, v8
	v_add_f32_e32 v19, v21, v19
	v_add_f32_e32 v21, v10, v6
	;; [unrolled: 1-line block ×3, first 2 shown]
	ds_read2_b64 v[6:9], v14 offset0:160 offset1:176
	s_waitcnt lgkmcnt(0)
	v_mul_f32_e32 v10, v5, v7
	v_fma_f32 v10, v4, v6, -v10
	v_add_f32_e32 v10, v12, v10
	v_mul_f32_e32 v12, v5, v9
	v_mul_f32_e32 v11, v4, v7
	v_fma_f32 v12, v4, v8, -v12
	v_mul_f32_e32 v4, v4, v9
	v_fmac_f32_e32 v11, v5, v6
	v_fmac_f32_e32 v4, v5, v8
	v_add_f32_e32 v11, v13, v11
	v_add_f32_e32 v12, v3, v12
	;; [unrolled: 1-line block ×3, first 2 shown]
	v_mul_f32_e32 v2, v18, v7
	v_mul_f32_e32 v3, v17, v7
	v_fma_f32 v2, v17, v6, -v2
	v_fmac_f32_e32 v3, v18, v6
	v_add_f32_e32 v15, v19, v2
	v_add_f32_e32 v16, v20, v3
	v_mul_f32_e32 v2, v18, v9
	v_mul_f32_e32 v3, v17, v9
	v_fma_f32 v2, v17, v8, -v2
	v_fmac_f32_e32 v3, v18, v8
	v_add_f32_e32 v17, v21, v2
	v_add_f32_e32 v18, v24, v3
	ds_read_b128 v[2:5], v55 offset:176
	ds_read2_b64 v[6:9], v14 offset0:192 offset1:208
	s_waitcnt lgkmcnt(0)
	v_mul_f32_e32 v19, v3, v7
	v_mul_f32_e32 v20, v2, v7
	v_fma_f32 v19, v2, v6, -v19
	v_fmac_f32_e32 v20, v3, v6
	v_add_f32_e32 v19, v10, v19
	v_add_f32_e32 v20, v11, v20
	v_mul_f32_e32 v10, v3, v9
	v_mul_f32_e32 v11, v2, v9
	v_fma_f32 v10, v2, v8, -v10
	v_fmac_f32_e32 v11, v3, v8
	v_add_f32_e32 v2, v12, v10
	v_add_f32_e32 v3, v13, v11
	ds_read_b128 v[10:13], v55 offset:4272
	s_waitcnt lgkmcnt(0)
	v_mul_f32_e32 v21, v11, v7
	v_mul_f32_e32 v7, v10, v7
	v_fmac_f32_e32 v7, v11, v6
	v_fma_f32 v21, v10, v6, -v21
	v_add_f32_e32 v16, v16, v7
	v_mul_f32_e32 v6, v11, v9
	v_mul_f32_e32 v7, v10, v9
	v_fma_f32 v6, v10, v8, -v6
	v_fmac_f32_e32 v7, v11, v8
	v_add_f32_e32 v10, v17, v6
	v_add_f32_e32 v11, v18, v7
	ds_read2_b64 v[6:9], v14 offset0:224 offset1:240
	v_add_f32_e32 v15, v15, v21
	s_waitcnt lgkmcnt(0)
	v_mul_f32_e32 v14, v5, v7
	v_fma_f32 v14, v4, v6, -v14
	v_add_f32_e32 v18, v19, v14
	v_mul_f32_e32 v14, v5, v9
	v_mul_f32_e32 v17, v4, v7
	v_fma_f32 v14, v4, v8, -v14
	v_mul_f32_e32 v4, v4, v9
	v_fmac_f32_e32 v17, v5, v6
	v_fmac_f32_e32 v4, v5, v8
	v_add_f32_e32 v17, v20, v17
	v_add_f32_e32 v19, v2, v14
	;; [unrolled: 1-line block ×3, first 2 shown]
	v_mul_f32_e32 v2, v13, v7
	v_mul_f32_e32 v3, v12, v7
	v_fma_f32 v2, v12, v6, -v2
	v_fmac_f32_e32 v3, v13, v6
	v_add_f32_e32 v21, v15, v2
	v_add_f32_e32 v24, v16, v3
	v_mul_f32_e32 v2, v13, v9
	v_mul_f32_e32 v3, v12, v9
	v_fma_f32 v2, v12, v8, -v2
	v_fmac_f32_e32 v3, v13, v8
	v_add_u32_e32 v14, 0x1800, v57
	v_add_f32_e32 v10, v10, v2
	v_add_f32_e32 v11, v11, v3
	ds_read_b128 v[2:5], v55 offset:192
	ds_read2_b64 v[6:9], v14 offset1:16
	s_waitcnt lgkmcnt(0)
	v_mul_f32_e32 v12, v3, v7
	v_mul_f32_e32 v13, v2, v7
	;; [unrolled: 1-line block ×3, first 2 shown]
	v_fma_f32 v12, v2, v6, -v12
	v_fmac_f32_e32 v13, v3, v6
	v_fma_f32 v15, v2, v8, -v15
	v_mul_f32_e32 v2, v2, v9
	v_add_f32_e32 v12, v18, v12
	v_add_f32_e32 v13, v17, v13
	v_fmac_f32_e32 v2, v3, v8
	v_add_f32_e32 v3, v19, v15
	ds_read_b128 v[15:18], v55 offset:4288
	v_add_f32_e32 v2, v20, v2
	s_waitcnt lgkmcnt(0)
	v_mul_f32_e32 v19, v16, v7
	v_mul_f32_e32 v7, v15, v7
	v_fmac_f32_e32 v7, v16, v6
	v_fma_f32 v19, v15, v6, -v19
	v_add_f32_e32 v20, v24, v7
	v_mul_f32_e32 v6, v16, v9
	v_mul_f32_e32 v7, v15, v9
	v_fma_f32 v6, v15, v8, -v6
	v_fmac_f32_e32 v7, v16, v8
	v_add_f32_e32 v19, v21, v19
	v_add_f32_e32 v21, v10, v6
	;; [unrolled: 1-line block ×3, first 2 shown]
	ds_read2_b64 v[6:9], v14 offset0:32 offset1:48
	s_waitcnt lgkmcnt(0)
	v_mul_f32_e32 v10, v5, v7
	v_fma_f32 v10, v4, v6, -v10
	v_add_f32_e32 v10, v12, v10
	v_mul_f32_e32 v12, v5, v9
	v_mul_f32_e32 v11, v4, v7
	v_fma_f32 v12, v4, v8, -v12
	v_mul_f32_e32 v4, v4, v9
	v_fmac_f32_e32 v11, v5, v6
	v_fmac_f32_e32 v4, v5, v8
	v_add_f32_e32 v11, v13, v11
	v_add_f32_e32 v12, v3, v12
	;; [unrolled: 1-line block ×3, first 2 shown]
	v_mul_f32_e32 v2, v18, v7
	v_mul_f32_e32 v3, v17, v7
	v_fma_f32 v2, v17, v6, -v2
	v_fmac_f32_e32 v3, v18, v6
	v_add_f32_e32 v15, v19, v2
	v_add_f32_e32 v16, v20, v3
	v_mul_f32_e32 v2, v18, v9
	v_mul_f32_e32 v3, v17, v9
	v_fma_f32 v2, v17, v8, -v2
	v_fmac_f32_e32 v3, v18, v8
	v_add_f32_e32 v17, v21, v2
	v_add_f32_e32 v18, v24, v3
	ds_read_b128 v[2:5], v55 offset:208
	ds_read2_b64 v[6:9], v14 offset0:64 offset1:80
	s_waitcnt lgkmcnt(0)
	v_mul_f32_e32 v19, v3, v7
	v_mul_f32_e32 v20, v2, v7
	v_fma_f32 v19, v2, v6, -v19
	v_fmac_f32_e32 v20, v3, v6
	v_add_f32_e32 v19, v10, v19
	v_add_f32_e32 v20, v11, v20
	v_mul_f32_e32 v10, v3, v9
	v_mul_f32_e32 v11, v2, v9
	v_fma_f32 v10, v2, v8, -v10
	v_fmac_f32_e32 v11, v3, v8
	v_add_f32_e32 v2, v12, v10
	v_add_f32_e32 v3, v13, v11
	ds_read_b128 v[10:13], v55 offset:4304
	s_waitcnt lgkmcnt(0)
	v_mul_f32_e32 v21, v11, v7
	v_mul_f32_e32 v7, v10, v7
	v_fmac_f32_e32 v7, v11, v6
	v_fma_f32 v21, v10, v6, -v21
	v_add_f32_e32 v16, v16, v7
	v_mul_f32_e32 v6, v11, v9
	v_mul_f32_e32 v7, v10, v9
	v_fma_f32 v6, v10, v8, -v6
	v_fmac_f32_e32 v7, v11, v8
	v_add_f32_e32 v10, v17, v6
	v_add_f32_e32 v11, v18, v7
	ds_read2_b64 v[6:9], v14 offset0:96 offset1:112
	v_add_f32_e32 v15, v15, v21
	s_waitcnt lgkmcnt(0)
	v_mul_f32_e32 v17, v5, v7
	v_fma_f32 v17, v4, v6, -v17
	v_add_f32_e32 v17, v19, v17
	v_mul_f32_e32 v19, v5, v9
	v_mul_f32_e32 v18, v4, v7
	v_fma_f32 v19, v4, v8, -v19
	v_mul_f32_e32 v4, v4, v9
	v_fmac_f32_e32 v18, v5, v6
	v_fmac_f32_e32 v4, v5, v8
	v_add_f32_e32 v18, v20, v18
	v_add_f32_e32 v19, v2, v19
	;; [unrolled: 1-line block ×3, first 2 shown]
	v_mul_f32_e32 v2, v13, v7
	v_mul_f32_e32 v3, v12, v7
	v_fma_f32 v2, v12, v6, -v2
	v_fmac_f32_e32 v3, v13, v6
	v_add_f32_e32 v21, v15, v2
	v_add_f32_e32 v24, v16, v3
	v_mul_f32_e32 v2, v13, v9
	v_mul_f32_e32 v3, v12, v9
	v_fma_f32 v2, v12, v8, -v2
	v_fmac_f32_e32 v3, v13, v8
	v_add_f32_e32 v10, v10, v2
	v_add_f32_e32 v11, v11, v3
	ds_read_b128 v[2:5], v55 offset:224
	ds_read2_b64 v[6:9], v14 offset0:128 offset1:144
	s_waitcnt lgkmcnt(0)
	v_mul_f32_e32 v12, v3, v7
	v_mul_f32_e32 v13, v2, v7
	;; [unrolled: 1-line block ×3, first 2 shown]
	v_fma_f32 v12, v2, v6, -v12
	v_fmac_f32_e32 v13, v3, v6
	v_fma_f32 v15, v2, v8, -v15
	v_mul_f32_e32 v2, v2, v9
	v_add_f32_e32 v12, v17, v12
	v_add_f32_e32 v13, v18, v13
	v_fmac_f32_e32 v2, v3, v8
	v_add_f32_e32 v3, v19, v15
	ds_read_b128 v[15:18], v55 offset:4320
	v_add_f32_e32 v2, v20, v2
	s_waitcnt lgkmcnt(0)
	v_mul_f32_e32 v19, v16, v7
	v_mul_f32_e32 v7, v15, v7
	v_fmac_f32_e32 v7, v16, v6
	v_fma_f32 v19, v15, v6, -v19
	v_add_f32_e32 v20, v24, v7
	v_mul_f32_e32 v6, v16, v9
	v_mul_f32_e32 v7, v15, v9
	v_fma_f32 v6, v15, v8, -v6
	v_fmac_f32_e32 v7, v16, v8
	v_add_f32_e32 v19, v21, v19
	v_add_f32_e32 v21, v10, v6
	;; [unrolled: 1-line block ×3, first 2 shown]
	ds_read2_b64 v[6:9], v14 offset0:160 offset1:176
	s_waitcnt lgkmcnt(0)
	v_mul_f32_e32 v10, v5, v7
	v_fma_f32 v10, v4, v6, -v10
	v_add_f32_e32 v10, v12, v10
	v_mul_f32_e32 v12, v5, v9
	v_mul_f32_e32 v11, v4, v7
	v_fma_f32 v12, v4, v8, -v12
	v_mul_f32_e32 v4, v4, v9
	v_fmac_f32_e32 v11, v5, v6
	v_fmac_f32_e32 v4, v5, v8
	v_add_f32_e32 v11, v13, v11
	v_add_f32_e32 v12, v3, v12
	;; [unrolled: 1-line block ×3, first 2 shown]
	v_mul_f32_e32 v2, v18, v7
	v_mul_f32_e32 v3, v17, v7
	v_fma_f32 v2, v17, v6, -v2
	v_fmac_f32_e32 v3, v18, v6
	v_add_f32_e32 v15, v19, v2
	v_add_f32_e32 v16, v20, v3
	v_mul_f32_e32 v2, v18, v9
	v_mul_f32_e32 v3, v17, v9
	v_fma_f32 v2, v17, v8, -v2
	v_fmac_f32_e32 v3, v18, v8
	v_add_f32_e32 v17, v21, v2
	v_add_f32_e32 v18, v24, v3
	ds_read_b128 v[2:5], v55 offset:240
	ds_read2_b64 v[6:9], v14 offset0:192 offset1:208
	s_waitcnt lgkmcnt(0)
	v_mul_f32_e32 v19, v3, v7
	v_mul_f32_e32 v20, v2, v7
	v_fma_f32 v19, v2, v6, -v19
	v_fmac_f32_e32 v20, v3, v6
	v_add_f32_e32 v19, v10, v19
	v_add_f32_e32 v21, v11, v20
	v_mul_f32_e32 v10, v3, v9
	v_mul_f32_e32 v11, v2, v9
	v_fma_f32 v10, v2, v8, -v10
	v_fmac_f32_e32 v11, v3, v8
	v_add_f32_e32 v2, v12, v10
	v_add_f32_e32 v3, v13, v11
	ds_read_b128 v[10:13], v55 offset:4336
	s_waitcnt lgkmcnt(0)
	v_mul_f32_e32 v20, v11, v7
	v_mul_f32_e32 v7, v10, v7
	v_fmac_f32_e32 v7, v11, v6
	v_fma_f32 v20, v10, v6, -v20
	v_add_f32_e32 v24, v16, v7
	v_mul_f32_e32 v6, v11, v9
	v_mul_f32_e32 v7, v10, v9
	v_fma_f32 v6, v10, v8, -v6
	v_fmac_f32_e32 v7, v11, v8
	v_add_f32_e32 v10, v17, v6
	v_add_f32_e32 v11, v18, v7
	ds_read2_b64 v[6:9], v14 offset0:224 offset1:240
	v_add_f32_e32 v15, v15, v20
	s_waitcnt lgkmcnt(0)
	s_barrier
	v_mul_f32_e32 v14, v5, v7
	v_fma_f32 v14, v4, v6, -v14
	v_add_f32_e32 v20, v19, v14
	v_mul_f32_e32 v14, v5, v9
	v_fma_f32 v14, v4, v8, -v14
	v_mul_f32_e32 v16, v4, v7
	v_add_f32_e32 v18, v2, v14
	v_mul_f32_e32 v2, v13, v7
	v_fmac_f32_e32 v16, v5, v6
	v_fma_f32 v2, v12, v6, -v2
	v_add_f32_e32 v21, v21, v16
	v_add_f32_e32 v16, v15, v2
	v_mul_f32_e32 v2, v13, v9
	v_mul_f32_e32 v4, v4, v9
	v_fma_f32 v2, v12, v8, -v2
	v_fmac_f32_e32 v4, v5, v8
	v_add_f32_e32 v15, v10, v2
	v_mov_b32_e32 v2, s27
	v_add_f32_e32 v19, v3, v4
	v_mul_f32_e32 v3, v12, v7
	v_addc_co_u32_e64 v54, s[10:11], v54, v2, s[10:11]
	v_fmac_f32_e32 v3, v13, v6
	v_add_co_u32_e64 v51, s[10:11], s24, v51
	v_mov_b32_e32 v2, s25
	v_add_f32_e32 v17, v24, v3
	v_mul_f32_e32 v3, v12, v9
	v_addc_co_u32_e64 v52, s[10:11], v52, v2, s[10:11]
	v_fmac_f32_e32 v3, v13, v8
	v_add_co_u32_e64 v49, s[10:11], s24, v49
	v_add_f32_e32 v14, v11, v3
	v_addc_co_u32_e64 v50, s[10:11], v50, v2, s[10:11]
	s_cbranch_scc1 .LBB88_55
.LBB88_7:                               ;   Parent Loop BB88_4 Depth=1
                                        ; =>  This Inner Loop Header: Depth=2
	v_mov_b32_e32 v2, s29
	v_add_co_u32_e64 v4, s[10:11], s28, v0
	v_addc_co_u32_e64 v5, s[10:11], 0, v2, s[10:11]
	v_cmp_eq_u64_e64 s[10:11], s[28:29], v[39:40]
	s_waitcnt vmcnt(5)
	v_add_co_u32_e64 v2, s[12:13], v49, v41
	s_and_b64 s[40:41], s[22:23], s[10:11]
	v_cmp_gt_i64_e64 s[10:11], v[4:5], v[37:38]
	s_waitcnt vmcnt(4)
	v_addc_co_u32_e64 v3, s[12:13], v50, v42, s[12:13]
	v_cmp_le_i64_e64 s[12:13], s[30:31], v[4:5]
	s_or_b64 s[14:15], s[16:17], s[10:11]
	s_or_b64 s[14:15], s[14:15], s[40:41]
	s_nor_b64 s[14:15], s[12:13], s[14:15]
	s_and_saveexec_b64 s[18:19], s[14:15]
	s_xor_b64 s[14:15], exec, s[18:19]
	s_cbranch_execz .LBB88_9
; %bb.8:                                ;   in Loop: Header=BB88_7 Depth=2
	global_load_dwordx2 v[6:7], v[2:3], off
	s_waitcnt vmcnt(0)
	ds_write_b64 v56, v[6:7]
.LBB88_9:                               ;   in Loop: Header=BB88_7 Depth=2
	s_or_saveexec_b64 s[14:15], s[14:15]
	s_xor_b64 s[36:37], s[40:41], -1
	s_xor_b64 exec, exec, s[14:15]
	s_cbranch_execz .LBB88_15
; %bb.10:                               ;   in Loop: Header=BB88_7 Depth=2
	s_and_saveexec_b64 s[18:19], s[36:37]
	s_xor_b64 s[18:19], exec, s[18:19]
; %bb.11:                               ;   in Loop: Header=BB88_7 Depth=2
	v_mov_b32_e32 v6, v23
	v_mov_b32_e32 v7, v23
	ds_write_b64 v56, v[6:7]
; %bb.12:                               ;   in Loop: Header=BB88_7 Depth=2
	s_andn2_saveexec_b64 s[18:19], s[18:19]
; %bb.13:                               ;   in Loop: Header=BB88_7 Depth=2
	ds_write_b64 v56, v[22:23]
; %bb.14:                               ;   in Loop: Header=BB88_7 Depth=2
	s_or_b64 exec, exec, s[18:19]
.LBB88_15:                              ;   in Loop: Header=BB88_7 Depth=2
	s_or_b64 exec, exec, s[14:15]
	v_add_co_u32_e64 v6, s[18:19], 16, v4
	v_addc_co_u32_e64 v7, s[18:19], 0, v5, s[18:19]
	v_cmp_eq_u64_e64 s[14:15], s[28:29], v[47:48]
	v_cmp_gt_i64_e64 s[18:19], v[6:7], v[37:38]
	s_and_b64 s[20:21], s[22:23], s[14:15]
	v_cmp_le_i64_e64 s[14:15], s[30:31], v[6:7]
	s_or_b64 s[18:19], s[16:17], s[18:19]
	s_or_b64 s[18:19], s[18:19], s[20:21]
	s_nor_b64 s[18:19], s[14:15], s[18:19]
	s_and_saveexec_b64 s[42:43], s[18:19]
	s_xor_b64 s[42:43], exec, s[42:43]
	s_cbranch_execz .LBB88_17
; %bb.16:                               ;   in Loop: Header=BB88_7 Depth=2
	s_waitcnt vmcnt(3)
	v_add_co_u32_e64 v6, s[18:19], v51, v41
	s_waitcnt vmcnt(2)
	v_addc_co_u32_e64 v7, s[18:19], v52, v42, s[18:19]
	global_load_dwordx2 v[6:7], v[6:7], off
	s_waitcnt vmcnt(0)
	ds_write_b64 v56, v[6:7] offset:128
.LBB88_17:                              ;   in Loop: Header=BB88_7 Depth=2
	s_andn2_saveexec_b64 s[18:19], s[42:43]
	s_cbranch_execz .LBB88_23
; %bb.18:                               ;   in Loop: Header=BB88_7 Depth=2
	s_xor_b64 s[20:21], s[20:21], -1
	s_and_saveexec_b64 s[42:43], s[20:21]
	s_xor_b64 s[20:21], exec, s[42:43]
; %bb.19:                               ;   in Loop: Header=BB88_7 Depth=2
	v_mov_b32_e32 v6, v23
	v_mov_b32_e32 v7, v23
	ds_write_b64 v56, v[6:7] offset:128
; %bb.20:                               ;   in Loop: Header=BB88_7 Depth=2
	s_andn2_saveexec_b64 s[20:21], s[20:21]
; %bb.21:                               ;   in Loop: Header=BB88_7 Depth=2
	ds_write_b64 v56, v[22:23] offset:128
; %bb.22:                               ;   in Loop: Header=BB88_7 Depth=2
	s_or_b64 exec, exec, s[20:21]
.LBB88_23:                              ;   in Loop: Header=BB88_7 Depth=2
	s_or_b64 exec, exec, s[18:19]
	v_cmp_eq_u64_e64 s[18:19], s[28:29], v[45:46]
	v_cmp_gt_i64_e64 s[20:21], v[4:5], v[43:44]
	s_and_b64 s[18:19], s[22:23], s[18:19]
	s_or_b64 s[20:21], s[8:9], s[20:21]
	s_or_b64 s[20:21], s[20:21], s[18:19]
	s_nor_b64 s[12:13], s[12:13], s[20:21]
	s_and_saveexec_b64 s[20:21], s[12:13]
	s_xor_b64 s[12:13], exec, s[20:21]
	s_cbranch_execz .LBB88_25
; %bb.24:                               ;   in Loop: Header=BB88_7 Depth=2
	global_load_dwordx2 v[2:3], v[2:3], off offset:128
	s_waitcnt vmcnt(0)
	ds_write_b64 v56, v[2:3] offset:4096
.LBB88_25:                              ;   in Loop: Header=BB88_7 Depth=2
	s_andn2_saveexec_b64 s[12:13], s[12:13]
	s_cbranch_execz .LBB88_31
; %bb.26:                               ;   in Loop: Header=BB88_7 Depth=2
	s_xor_b64 s[18:19], s[18:19], -1
	s_and_saveexec_b64 s[20:21], s[18:19]
	s_xor_b64 s[18:19], exec, s[20:21]
; %bb.27:                               ;   in Loop: Header=BB88_7 Depth=2
	v_mov_b32_e32 v2, v23
	v_mov_b32_e32 v3, v23
	ds_write_b64 v56, v[2:3] offset:4096
; %bb.28:                               ;   in Loop: Header=BB88_7 Depth=2
	s_andn2_saveexec_b64 s[18:19], s[18:19]
; %bb.29:                               ;   in Loop: Header=BB88_7 Depth=2
	ds_write_b64 v56, v[22:23] offset:4096
; %bb.30:                               ;   in Loop: Header=BB88_7 Depth=2
	s_or_b64 exec, exec, s[18:19]
.LBB88_31:                              ;   in Loop: Header=BB88_7 Depth=2
	s_or_b64 exec, exec, s[12:13]
	s_or_b64 s[10:11], s[8:9], s[10:11]
	s_or_b64 s[10:11], s[10:11], s[40:41]
	s_nor_b64 s[10:11], s[14:15], s[10:11]
	s_and_saveexec_b64 s[12:13], s[10:11]
	s_xor_b64 s[12:13], exec, s[12:13]
	s_cbranch_execz .LBB88_33
; %bb.32:                               ;   in Loop: Header=BB88_7 Depth=2
	s_waitcnt vmcnt(3)
	v_add_co_u32_e64 v2, s[10:11], v51, v41
	s_waitcnt vmcnt(2)
	v_addc_co_u32_e64 v3, s[10:11], v52, v42, s[10:11]
	global_load_dwordx2 v[2:3], v[2:3], off offset:128
	s_waitcnt vmcnt(0)
	ds_write_b64 v56, v[2:3] offset:4224
.LBB88_33:                              ;   in Loop: Header=BB88_7 Depth=2
	s_andn2_saveexec_b64 s[10:11], s[12:13]
	s_cbranch_execz .LBB88_39
; %bb.34:                               ;   in Loop: Header=BB88_7 Depth=2
	s_and_saveexec_b64 s[12:13], s[36:37]
	s_xor_b64 s[12:13], exec, s[12:13]
; %bb.35:                               ;   in Loop: Header=BB88_7 Depth=2
	v_mov_b32_e32 v2, v23
	v_mov_b32_e32 v3, v23
	ds_write_b64 v56, v[2:3] offset:4224
; %bb.36:                               ;   in Loop: Header=BB88_7 Depth=2
	s_andn2_saveexec_b64 s[12:13], s[12:13]
; %bb.37:                               ;   in Loop: Header=BB88_7 Depth=2
	ds_write_b64 v56, v[22:23] offset:4224
; %bb.38:                               ;   in Loop: Header=BB88_7 Depth=2
	s_or_b64 exec, exec, s[12:13]
.LBB88_39:                              ;   in Loop: Header=BB88_7 Depth=2
	s_or_b64 exec, exec, s[10:11]
	v_mov_b32_e32 v3, s29
	v_add_co_u32_e64 v2, s[10:11], s28, v1
	v_addc_co_u32_e64 v3, s[10:11], 0, v3, s[10:11]
	v_cmp_le_i64_e64 s[10:11], s[30:31], v[2:3]
	s_waitcnt vmcnt(1)
	v_add_co_u32_e64 v4, s[12:13], v53, v59
	s_waitcnt vmcnt(0)
	v_addc_co_u32_e64 v5, s[12:13], v54, v60, s[12:13]
	s_nor_b64 s[12:13], s[10:11], vcc
	s_and_saveexec_b64 s[14:15], s[12:13]
	s_xor_b64 s[12:13], exec, s[14:15]
	s_cbranch_execz .LBB88_41
; %bb.40:                               ;   in Loop: Header=BB88_7 Depth=2
	global_load_dwordx2 v[6:7], v[4:5], off offset:-128
	s_waitcnt vmcnt(0)
	ds_write_b64 v58, v[6:7]
.LBB88_41:                              ;   in Loop: Header=BB88_7 Depth=2
	s_andn2_saveexec_b64 s[12:13], s[12:13]
; %bb.42:                               ;   in Loop: Header=BB88_7 Depth=2
	v_mov_b32_e32 v6, v23
	v_mov_b32_e32 v7, v23
	ds_write_b64 v58, v[6:7]
; %bb.43:                               ;   in Loop: Header=BB88_7 Depth=2
	s_or_b64 exec, exec, s[12:13]
	s_nor_b64 s[10:11], s[10:11], s[0:1]
	s_and_saveexec_b64 s[12:13], s[10:11]
	s_xor_b64 s[10:11], exec, s[12:13]
	s_cbranch_execz .LBB88_45
; %bb.44:                               ;   in Loop: Header=BB88_7 Depth=2
	global_load_dwordx2 v[4:5], v[4:5], off
	s_waitcnt vmcnt(0)
	ds_write_b64 v58, v[4:5] offset:128
.LBB88_45:                              ;   in Loop: Header=BB88_7 Depth=2
	s_andn2_saveexec_b64 s[10:11], s[10:11]
; %bb.46:                               ;   in Loop: Header=BB88_7 Depth=2
	v_mov_b32_e32 v4, v23
	v_mov_b32_e32 v5, v23
	ds_write_b64 v58, v[4:5] offset:128
; %bb.47:                               ;   in Loop: Header=BB88_7 Depth=2
	s_or_b64 exec, exec, s[10:11]
	v_cmp_le_i64_e64 s[10:11], s[38:39], v[2:3]
	v_add_co_u32_e64 v2, s[12:13], v53, v32
	v_addc_co_u32_e64 v3, s[12:13], v54, v63, s[12:13]
	s_nor_b64 s[12:13], s[10:11], vcc
	s_and_saveexec_b64 s[14:15], s[12:13]
	s_xor_b64 s[12:13], exec, s[14:15]
	s_cbranch_execz .LBB88_49
; %bb.48:                               ;   in Loop: Header=BB88_7 Depth=2
	global_load_dwordx2 v[4:5], v[2:3], off
	s_waitcnt vmcnt(0)
	ds_write_b64 v58, v[4:5] offset:4096
.LBB88_49:                              ;   in Loop: Header=BB88_7 Depth=2
	s_andn2_saveexec_b64 s[12:13], s[12:13]
; %bb.50:                               ;   in Loop: Header=BB88_7 Depth=2
	v_mov_b32_e32 v4, v23
	v_mov_b32_e32 v5, v23
	ds_write_b64 v58, v[4:5] offset:4096
; %bb.51:                               ;   in Loop: Header=BB88_7 Depth=2
	s_or_b64 exec, exec, s[12:13]
	s_nor_b64 s[10:11], s[10:11], s[0:1]
	s_and_saveexec_b64 s[12:13], s[10:11]
	s_xor_b64 s[10:11], exec, s[12:13]
	s_cbranch_execz .LBB88_53
; %bb.52:                               ;   in Loop: Header=BB88_7 Depth=2
	global_load_dwordx2 v[2:3], v[2:3], off offset:128
	s_waitcnt vmcnt(0)
	ds_write_b64 v58, v[2:3] offset:4224
.LBB88_53:                              ;   in Loop: Header=BB88_7 Depth=2
	s_andn2_saveexec_b64 s[10:11], s[10:11]
	s_cbranch_execz .LBB88_6
; %bb.54:                               ;   in Loop: Header=BB88_7 Depth=2
	v_mov_b32_e32 v2, v23
	v_mov_b32_e32 v3, v23
	ds_write_b64 v58, v[2:3] offset:4224
	s_branch .LBB88_6
.LBB88_55:                              ;   in Loop: Header=BB88_4 Depth=1
	v_mul_lo_u32 v4, s45, v37
	v_mul_lo_u32 v5, s44, v38
	v_mad_u64_u32 v[2:3], s[8:9], s44, v37, 0
	v_cmp_gt_i32_e64 s[8:9], s30, v37
	v_add3_u32 v3, v3, v5, v4
	v_lshlrev_b64 v[2:3], 3, v[2:3]
	v_mov_b32_e32 v4, s47
	v_add_co_u32_e64 v2, s[10:11], s46, v2
	v_addc_co_u32_e64 v3, s[10:11], v4, v3, s[10:11]
	s_and_b64 s[10:11], s[2:3], s[8:9]
	s_and_saveexec_b64 s[12:13], s[10:11]
	s_cbranch_execz .LBB88_57
; %bb.56:                               ;   in Loop: Header=BB88_4 Depth=1
	v_add_co_u32_e64 v4, s[10:11], v2, v35
	v_addc_co_u32_e64 v5, s[10:11], v3, v36, s[10:11]
	global_load_dwordx2 v[6:7], v[4:5], off
	v_mul_f32_e32 v8, s35, v21
	v_mul_f32_e32 v9, s34, v21
	v_fma_f32 v8, v20, s34, -v8
	v_fmac_f32_e32 v9, s35, v20
	s_waitcnt vmcnt(0)
	v_add_f32_e32 v6, v6, v8
	v_add_f32_e32 v7, v9, v7
	global_store_dwordx2 v[4:5], v[6:7], off
.LBB88_57:                              ;   in Loop: Header=BB88_4 Depth=1
	s_or_b64 exec, exec, s[12:13]
	s_and_b64 s[8:9], s[4:5], s[8:9]
	s_and_saveexec_b64 s[10:11], s[8:9]
	s_cbranch_execz .LBB88_59
; %bb.58:                               ;   in Loop: Header=BB88_4 Depth=1
	buffer_load_dword v4, off, s[52:55], 0  ; 4-byte Folded Reload
	buffer_load_dword v5, off, s[52:55], 0 offset:4 ; 4-byte Folded Reload
	v_mul_f32_e32 v6, s35, v19
	v_mul_f32_e32 v7, s34, v19
	v_fma_f32 v6, v18, s34, -v6
	v_fmac_f32_e32 v7, s35, v18
	s_waitcnt vmcnt(1)
	v_add_co_u32_e64 v2, s[8:9], v2, v4
	s_waitcnt vmcnt(0)
	v_addc_co_u32_e64 v3, s[8:9], v3, v5, s[8:9]
	global_load_dwordx2 v[4:5], v[2:3], off
	s_waitcnt vmcnt(0)
	v_add_f32_e32 v4, v4, v6
	v_add_f32_e32 v5, v7, v5
	global_store_dwordx2 v[2:3], v[4:5], off
.LBB88_59:                              ;   in Loop: Header=BB88_4 Depth=1
	s_or_b64 exec, exec, s[10:11]
	v_add_u32_e32 v4, 16, v37
	v_ashrrev_i32_e32 v2, 31, v4
	v_mul_lo_u32 v5, s44, v2
	v_mul_lo_u32 v6, s45, v4
	v_mad_u64_u32 v[2:3], s[8:9], s44, v4, 0
	v_cmp_gt_i32_e64 s[8:9], s30, v4
	v_mov_b32_e32 v4, s47
	v_add3_u32 v3, v3, v5, v6
	v_lshlrev_b64 v[2:3], 3, v[2:3]
	v_add_co_u32_e64 v2, s[10:11], s46, v2
	v_addc_co_u32_e64 v3, s[10:11], v4, v3, s[10:11]
	s_and_b64 s[10:11], s[2:3], s[8:9]
	s_and_saveexec_b64 s[12:13], s[10:11]
	s_cbranch_execz .LBB88_61
; %bb.60:                               ;   in Loop: Header=BB88_4 Depth=1
	v_add_co_u32_e64 v4, s[10:11], v2, v35
	v_addc_co_u32_e64 v5, s[10:11], v3, v36, s[10:11]
	global_load_dwordx2 v[6:7], v[4:5], off
	v_mul_f32_e32 v8, s35, v17
	v_mul_f32_e32 v9, s34, v17
	v_fma_f32 v8, v16, s34, -v8
	v_fmac_f32_e32 v9, s35, v16
	s_waitcnt vmcnt(0)
	v_add_f32_e32 v6, v6, v8
	v_add_f32_e32 v7, v9, v7
	global_store_dwordx2 v[4:5], v[6:7], off
.LBB88_61:                              ;   in Loop: Header=BB88_4 Depth=1
	s_or_b64 exec, exec, s[12:13]
	s_and_b64 s[8:9], s[4:5], s[8:9]
	s_and_saveexec_b64 s[10:11], s[8:9]
	s_cbranch_execz .LBB88_3
; %bb.62:                               ;   in Loop: Header=BB88_4 Depth=1
	buffer_load_dword v4, off, s[52:55], 0  ; 4-byte Folded Reload
	buffer_load_dword v5, off, s[52:55], 0 offset:4 ; 4-byte Folded Reload
	v_mul_f32_e32 v6, s35, v14
	v_mul_f32_e32 v7, s34, v14
	v_fma_f32 v6, v15, s34, -v6
	v_fmac_f32_e32 v7, s35, v15
	s_waitcnt vmcnt(1)
	v_add_co_u32_e64 v2, s[8:9], v2, v4
	s_waitcnt vmcnt(0)
	v_addc_co_u32_e64 v3, s[8:9], v3, v5, s[8:9]
	global_load_dwordx2 v[4:5], v[2:3], off
	s_waitcnt vmcnt(0)
	v_add_f32_e32 v4, v4, v6
	v_add_f32_e32 v5, v7, v5
	global_store_dwordx2 v[2:3], v[4:5], off
	s_branch .LBB88_3
.LBB88_63:
	s_endpgm
	.section	.rodata,"a",@progbits
	.p2align	6, 0x0
	.amdhsa_kernel _ZL30rocblas_trmm_outofplace_kernelI19rocblas_complex_numIfELi32ELi2ELb0ELb0ELb1ELb0EPKS1_S2_S1_Ev17rocblas_diagonal_iiT6_lPT7_lllS7_lllPT8_llli
		.amdhsa_group_segment_fixed_size 16384
		.amdhsa_private_segment_fixed_size 44
		.amdhsa_kernarg_size 392
		.amdhsa_user_sgpr_count 6
		.amdhsa_user_sgpr_private_segment_buffer 1
		.amdhsa_user_sgpr_dispatch_ptr 0
		.amdhsa_user_sgpr_queue_ptr 0
		.amdhsa_user_sgpr_kernarg_segment_ptr 1
		.amdhsa_user_sgpr_dispatch_id 0
		.amdhsa_user_sgpr_flat_scratch_init 0
		.amdhsa_user_sgpr_private_segment_size 0
		.amdhsa_uses_dynamic_stack 0
		.amdhsa_system_sgpr_private_segment_wavefront_offset 1
		.amdhsa_system_sgpr_workgroup_id_x 1
		.amdhsa_system_sgpr_workgroup_id_y 1
		.amdhsa_system_sgpr_workgroup_id_z 1
		.amdhsa_system_sgpr_workgroup_info 0
		.amdhsa_system_vgpr_workitem_id 1
		.amdhsa_next_free_vgpr 64
		.amdhsa_next_free_sgpr 61
		.amdhsa_reserve_vcc 1
		.amdhsa_reserve_flat_scratch 0
		.amdhsa_float_round_mode_32 0
		.amdhsa_float_round_mode_16_64 0
		.amdhsa_float_denorm_mode_32 3
		.amdhsa_float_denorm_mode_16_64 3
		.amdhsa_dx10_clamp 1
		.amdhsa_ieee_mode 1
		.amdhsa_fp16_overflow 0
		.amdhsa_exception_fp_ieee_invalid_op 0
		.amdhsa_exception_fp_denorm_src 0
		.amdhsa_exception_fp_ieee_div_zero 0
		.amdhsa_exception_fp_ieee_overflow 0
		.amdhsa_exception_fp_ieee_underflow 0
		.amdhsa_exception_fp_ieee_inexact 0
		.amdhsa_exception_int_div_zero 0
	.end_amdhsa_kernel
	.section	.text._ZL30rocblas_trmm_outofplace_kernelI19rocblas_complex_numIfELi32ELi2ELb0ELb0ELb1ELb0EPKS1_S2_S1_Ev17rocblas_diagonal_iiT6_lPT7_lllS7_lllPT8_llli,"axG",@progbits,_ZL30rocblas_trmm_outofplace_kernelI19rocblas_complex_numIfELi32ELi2ELb0ELb0ELb1ELb0EPKS1_S2_S1_Ev17rocblas_diagonal_iiT6_lPT7_lllS7_lllPT8_llli,comdat
.Lfunc_end88:
	.size	_ZL30rocblas_trmm_outofplace_kernelI19rocblas_complex_numIfELi32ELi2ELb0ELb0ELb1ELb0EPKS1_S2_S1_Ev17rocblas_diagonal_iiT6_lPT7_lllS7_lllPT8_llli, .Lfunc_end88-_ZL30rocblas_trmm_outofplace_kernelI19rocblas_complex_numIfELi32ELi2ELb0ELb0ELb1ELb0EPKS1_S2_S1_Ev17rocblas_diagonal_iiT6_lPT7_lllS7_lllPT8_llli
                                        ; -- End function
	.set _ZL30rocblas_trmm_outofplace_kernelI19rocblas_complex_numIfELi32ELi2ELb0ELb0ELb1ELb0EPKS1_S2_S1_Ev17rocblas_diagonal_iiT6_lPT7_lllS7_lllPT8_llli.num_vgpr, 64
	.set _ZL30rocblas_trmm_outofplace_kernelI19rocblas_complex_numIfELi32ELi2ELb0ELb0ELb1ELb0EPKS1_S2_S1_Ev17rocblas_diagonal_iiT6_lPT7_lllS7_lllPT8_llli.num_agpr, 0
	.set _ZL30rocblas_trmm_outofplace_kernelI19rocblas_complex_numIfELi32ELi2ELb0ELb0ELb1ELb0EPKS1_S2_S1_Ev17rocblas_diagonal_iiT6_lPT7_lllS7_lllPT8_llli.numbered_sgpr, 56
	.set _ZL30rocblas_trmm_outofplace_kernelI19rocblas_complex_numIfELi32ELi2ELb0ELb0ELb1ELb0EPKS1_S2_S1_Ev17rocblas_diagonal_iiT6_lPT7_lllS7_lllPT8_llli.num_named_barrier, 0
	.set _ZL30rocblas_trmm_outofplace_kernelI19rocblas_complex_numIfELi32ELi2ELb0ELb0ELb1ELb0EPKS1_S2_S1_Ev17rocblas_diagonal_iiT6_lPT7_lllS7_lllPT8_llli.private_seg_size, 44
	.set _ZL30rocblas_trmm_outofplace_kernelI19rocblas_complex_numIfELi32ELi2ELb0ELb0ELb1ELb0EPKS1_S2_S1_Ev17rocblas_diagonal_iiT6_lPT7_lllS7_lllPT8_llli.uses_vcc, 1
	.set _ZL30rocblas_trmm_outofplace_kernelI19rocblas_complex_numIfELi32ELi2ELb0ELb0ELb1ELb0EPKS1_S2_S1_Ev17rocblas_diagonal_iiT6_lPT7_lllS7_lllPT8_llli.uses_flat_scratch, 0
	.set _ZL30rocblas_trmm_outofplace_kernelI19rocblas_complex_numIfELi32ELi2ELb0ELb0ELb1ELb0EPKS1_S2_S1_Ev17rocblas_diagonal_iiT6_lPT7_lllS7_lllPT8_llli.has_dyn_sized_stack, 0
	.set _ZL30rocblas_trmm_outofplace_kernelI19rocblas_complex_numIfELi32ELi2ELb0ELb0ELb1ELb0EPKS1_S2_S1_Ev17rocblas_diagonal_iiT6_lPT7_lllS7_lllPT8_llli.has_recursion, 0
	.set _ZL30rocblas_trmm_outofplace_kernelI19rocblas_complex_numIfELi32ELi2ELb0ELb0ELb1ELb0EPKS1_S2_S1_Ev17rocblas_diagonal_iiT6_lPT7_lllS7_lllPT8_llli.has_indirect_call, 0
	.section	.AMDGPU.csdata,"",@progbits
; Kernel info:
; codeLenInByte = 6836
; TotalNumSgprs: 60
; NumVgprs: 64
; ScratchSize: 44
; MemoryBound: 1
; FloatMode: 240
; IeeeMode: 1
; LDSByteSize: 16384 bytes/workgroup (compile time only)
; SGPRBlocks: 8
; VGPRBlocks: 15
; NumSGPRsForWavesPerEU: 65
; NumVGPRsForWavesPerEU: 64
; Occupancy: 4
; WaveLimiterHint : 0
; COMPUTE_PGM_RSRC2:SCRATCH_EN: 1
; COMPUTE_PGM_RSRC2:USER_SGPR: 6
; COMPUTE_PGM_RSRC2:TRAP_HANDLER: 0
; COMPUTE_PGM_RSRC2:TGID_X_EN: 1
; COMPUTE_PGM_RSRC2:TGID_Y_EN: 1
; COMPUTE_PGM_RSRC2:TGID_Z_EN: 1
; COMPUTE_PGM_RSRC2:TIDIG_COMP_CNT: 1
	.section	.text._ZL30rocblas_trmm_outofplace_kernelI19rocblas_complex_numIfELi32ELi2ELb0ELb0ELb1ELb0ES1_KS1_S1_Ev17rocblas_diagonal_iiT6_lPT7_lllS6_lllPT8_llli,"axG",@progbits,_ZL30rocblas_trmm_outofplace_kernelI19rocblas_complex_numIfELi32ELi2ELb0ELb0ELb1ELb0ES1_KS1_S1_Ev17rocblas_diagonal_iiT6_lPT7_lllS6_lllPT8_llli,comdat
	.globl	_ZL30rocblas_trmm_outofplace_kernelI19rocblas_complex_numIfELi32ELi2ELb0ELb0ELb1ELb0ES1_KS1_S1_Ev17rocblas_diagonal_iiT6_lPT7_lllS6_lllPT8_llli ; -- Begin function _ZL30rocblas_trmm_outofplace_kernelI19rocblas_complex_numIfELi32ELi2ELb0ELb0ELb1ELb0ES1_KS1_S1_Ev17rocblas_diagonal_iiT6_lPT7_lllS6_lllPT8_llli
	.p2align	8
	.type	_ZL30rocblas_trmm_outofplace_kernelI19rocblas_complex_numIfELi32ELi2ELb0ELb0ELb1ELb0ES1_KS1_S1_Ev17rocblas_diagonal_iiT6_lPT7_lllS6_lllPT8_llli,@function
_ZL30rocblas_trmm_outofplace_kernelI19rocblas_complex_numIfELi32ELi2ELb0ELb0ELb1ELb0ES1_KS1_S1_Ev17rocblas_diagonal_iiT6_lPT7_lllS6_lllPT8_llli: ; @_ZL30rocblas_trmm_outofplace_kernelI19rocblas_complex_numIfELi32ELi2ELb0ELb0ELb1ELb0ES1_KS1_S1_Ev17rocblas_diagonal_iiT6_lPT7_lllS6_lllPT8_llli
; %bb.0:
	s_load_dwordx4 s[28:31], s[4:5], 0x0
	s_load_dword s33, s[4:5], 0x10
	s_mov_b64 s[54:55], s[2:3]
	s_mov_b64 s[52:53], s[0:1]
	s_add_u32 s52, s52, s9
	s_addc_u32 s53, s53, 0
	s_waitcnt lgkmcnt(0)
	s_or_b32 s0, s31, s33
	s_bitset0_b32 s0, 31
	s_cmp_eq_u32 s0, 0
	s_cbranch_scc1 .LBB89_63
; %bb.1:
	s_add_i32 s0, s30, -1
	s_ashr_i32 s1, s0, 31
	s_lshr_b32 s1, s1, 27
	s_add_i32 s0, s0, s1
	s_ashr_i32 s46, s0, 5
	s_cmp_gt_i32 s7, s46
	s_cbranch_scc1 .LBB89_63
; %bb.2:
	s_load_dwordx16 s[12:27], s[4:5], 0x20
	s_load_dwordx8 s[36:43], s[4:5], 0x60
	v_lshlrev_b32_e32 v8, 3, v0
	v_lshlrev_b32_e32 v55, 8, v1
	v_add_u32_e32 v56, v55, v8
	s_waitcnt lgkmcnt(0)
	s_mul_i32 s1, s19, s8
	s_mul_hi_u32 s2, s18, s8
	s_mul_i32 s0, s18, s8
	s_add_i32 s1, s2, s1
	s_lshl_b64 s[10:11], s[0:1], 3
	s_add_u32 s0, s12, s10
	s_addc_u32 s1, s13, s11
	s_lshl_b64 s[14:15], s[14:15], 3
	s_add_u32 s2, s0, s14
	s_addc_u32 s3, s1, s15
	s_mul_i32 s0, s27, s8
	s_mul_hi_u32 s1, s26, s8
	s_add_i32 s1, s1, s0
	s_mul_i32 s0, s26, s8
	s_lshl_b64 s[0:1], s[0:1], 3
	s_add_u32 s9, s20, s0
	s_addc_u32 s18, s21, s1
	s_lshl_b64 s[0:1], s[22:23], 3
	s_add_u32 s9, s9, s0
	s_addc_u32 s18, s18, s1
	s_mul_i32 s0, s43, s8
	s_mul_hi_u32 s1, s42, s8
	s_add_i32 s1, s1, s0
	s_mul_i32 s0, s42, s8
	s_lshl_b64 s[0:1], s[0:1], 3
	s_add_u32 s8, s36, s0
	s_addc_u32 s19, s37, s1
	v_mad_u64_u32 v[2:3], s[0:1], s16, v0, 0
	s_lshl_b64 s[0:1], s[38:39], 3
	s_add_u32 s47, s8, s0
	s_addc_u32 s48, s19, s1
	v_mad_u64_u32 v[3:4], s[0:1], s17, v0, v[3:4]
	v_lshl_add_u32 v4, s6, 5, v0
	v_ashrrev_i32_e32 v5, 31, v4
	v_lshlrev_b64 v[2:3], 3, v[2:3]
	v_mov_b32_e32 v6, s3
	v_add_co_u32_e32 v2, vcc, s2, v2
	v_addc_co_u32_e32 v3, vcc, v6, v3, vcc
	v_lshlrev_b64 v[35:36], 3, v[4:5]
	buffer_store_dword v2, off, s[52:55], 0 offset:8 ; 4-byte Folded Spill
	s_nop 0
	buffer_store_dword v3, off, s[52:55], 0 offset:12 ; 4-byte Folded Spill
	v_mov_b32_e32 v2, s18
	v_add_co_u32_e32 v6, vcc, s9, v35
	s_cmpk_eq_i32 s28, 0x84
	v_addc_co_u32_e32 v7, vcc, v2, v36, vcc
	s_cselect_b64 s[22:23], -1, 0
	s_ashr_i32 s0, s29, 31
	v_mov_b32_e32 v3, s0
	v_sub_co_u32_e32 v2, vcc, s29, v4
	v_subb_co_u32_e32 v3, vcc, v3, v5, vcc
	v_cmp_gt_i64_e32 vcc, 1, v[2:3]
	v_cmp_gt_i64_e64 s[0:1], 17, v[2:3]
	v_mad_u64_u32 v[2:3], s[2:3], s24, v1, 0
	buffer_store_dword v6, off, s[52:55], 0 offset:16 ; 4-byte Folded Spill
	s_nop 0
	buffer_store_dword v7, off, s[52:55], 0 offset:20 ; 4-byte Folded Spill
	v_cmp_gt_i32_e64 s[2:3], s29, v4
	v_add_u32_e32 v4, 16, v4
	s_load_dword s6, s[4:5], 0x8c
	v_mad_u64_u32 v[6:7], s[4:5], s25, v1, v[3:4]
	s_ashr_i32 s27, s30, 31
	s_lshl_b64 s[34:35], s[16:17], 8
	v_mov_b32_e32 v3, v6
	v_lshlrev_b64 v[2:3], 3, v[2:3]
	s_lshl_b64 s[36:37], s[24:25], 8
	s_movk_i32 s8, 0x80
	s_add_u32 s38, s30, -16
	v_add_co_u32_e64 v59, s[8:9], s8, v2
	s_addc_u32 s39, s27, -1
	s_waitcnt lgkmcnt(0)
	s_lshl_b32 s49, s6, 5
	v_addc_co_u32_e64 v60, s[8:9], 0, v3, s[8:9]
	s_add_u32 s8, s12, s14
	s_addc_u32 s9, s13, s15
	s_add_u32 s8, s8, s10
	s_addc_u32 s9, s9, s11
	v_mov_b32_e32 v2, s8
	v_add_u32_e32 v6, 0x80, v8
	v_mov_b32_e32 v3, s9
	v_or_b32_e32 v57, 0x2000, v8
	v_mad_u64_u32 v[8:9], s[8:9], s16, v6, v[2:3]
	v_mov_b32_e32 v2, 0x80
	v_lshl_add_u32 v7, v1, 3, v2
	v_mad_u64_u32 v[32:33], s[8:9], s24, v7, 0
	v_mov_b32_e32 v2, v9
	v_mad_u64_u32 v[2:3], s[8:9], s17, v6, v[2:3]
	v_mov_b32_e32 v3, v33
	v_mad_u64_u32 v[6:7], s[8:9], s25, v7, v[3:4]
	v_sub_co_u32_e64 v3, s[8:9], 0, v0
	v_ashrrev_i32_e32 v5, 31, v4
	buffer_store_dword v3, off, s[52:55], 0 offset:32 ; 4-byte Folded Spill
	v_subb_co_u32_e64 v3, s[8:9], 0, 0, s[8:9]
	buffer_store_dword v3, off, s[52:55], 0 offset:36 ; 4-byte Folded Spill
	v_mov_b32_e32 v9, v2
	v_lshlrev_b64 v[2:3], 3, v[4:5]
	v_mov_b32_e32 v23, 0
	s_mov_b32 s26, s30
	v_add_u32_e32 v58, v57, v55
	v_cmp_gt_i32_e64 s[4:5], s29, v4
	v_lshl_add_u32 v33, s7, 5, v1
	v_mov_b32_e32 v63, v6
	v_mov_b32_e32 v22, 1.0
	buffer_store_dword v8, off, s[52:55], 0 offset:24 ; 4-byte Folded Spill
	s_nop 0
	buffer_store_dword v9, off, s[52:55], 0 offset:28 ; 4-byte Folded Spill
	buffer_store_dword v2, off, s[52:55], 0 ; 4-byte Folded Spill
	s_nop 0
	buffer_store_dword v3, off, s[52:55], 0 offset:4 ; 4-byte Folded Spill
	s_branch .LBB89_4
.LBB89_3:                               ;   in Loop: Header=BB89_4 Depth=1
	s_or_b64 exec, exec, s[10:11]
	s_add_i32 s7, s6, s7
	s_cmp_le_i32 s7, s46
	v_add_u32_e32 v33, s49, v33
	s_cbranch_scc0 .LBB89_63
.LBB89_4:                               ; =>This Loop Header: Depth=1
                                        ;     Child Loop BB89_7 Depth 2
	s_lshl_b32 s50, s7, 5
	v_add_u32_e32 v37, s50, v1
	v_ashrrev_i32_e32 v38, 31, v37
	s_cmp_lt_i32 s7, 0
	v_mov_b32_e32 v20, v23
	v_mov_b32_e32 v21, v23
	;; [unrolled: 1-line block ×8, first 2 shown]
	s_cbranch_scc1 .LBB89_55
; %bb.5:                                ;   in Loop: Header=BB89_4 Depth=1
	buffer_load_dword v2, off, s[52:55], 0 offset:32 ; 4-byte Folded Reload
	v_ashrrev_i32_e32 v34, 31, v33
	v_lshlrev_b64 v[41:42], 3, v[33:34]
	v_cmp_le_i32_e64 s[16:17], s30, v37
	v_mov_b32_e32 v14, 0
	s_mov_b64 s[24:25], 0
	v_mov_b32_e32 v15, 0
	v_mov_b32_e32 v17, 0
	;; [unrolled: 1-line block ×7, first 2 shown]
	s_waitcnt vmcnt(0)
	v_add_co_u32_e64 v39, s[8:9], v2, v33
	buffer_load_dword v2, off, s[52:55], 0 offset:36 ; 4-byte Folded Reload
	buffer_load_dword v49, off, s[52:55], 0 offset:8 ; 4-byte Folded Reload
	;; [unrolled: 1-line block ×7, first 2 shown]
	v_add_co_u32_e64 v45, s[10:11], 16, v39
	s_waitcnt vmcnt(6)
	v_addc_co_u32_e64 v40, s[8:9], v2, v34, s[8:9]
	v_add_co_u32_e64 v43, s[8:9], 16, v37
	v_addc_co_u32_e64 v44, s[8:9], 0, v38, s[8:9]
	v_addc_co_u32_e64 v46, s[10:11], 0, v40, s[10:11]
	v_cmp_le_i64_e64 s[8:9], s[26:27], v[43:44]
	v_add_co_u32_e64 v47, s[10:11], -16, v39
	v_addc_co_u32_e64 v48, s[10:11], -1, v40, s[10:11]
	s_branch .LBB89_7
.LBB89_6:                               ;   in Loop: Header=BB89_7 Depth=2
	s_or_b64 exec, exec, s[10:11]
	s_waitcnt lgkmcnt(0)
	s_barrier
	ds_read_b128 v[28:31], v55
	ds_read_b128 v[10:13], v55 offset:16
	ds_read_b128 v[6:9], v55 offset:32
	;; [unrolled: 1-line block ×3, first 2 shown]
	ds_read2_b64 v[24:27], v57 offset1:16
	v_add_co_u32_e64 v53, s[10:11], s36, v53
	s_add_u32 s24, s24, 32
	s_addc_u32 s25, s25, 0
	s_waitcnt lgkmcnt(0)
	v_mul_f32_e32 v34, v29, v25
	v_mul_f32_e32 v61, v28, v25
	v_fma_f32 v34, v28, v24, -v34
	v_fmac_f32_e32 v61, v29, v24
	v_add_f32_e32 v34, v20, v34
	v_add_f32_e32 v61, v21, v61
	v_mul_f32_e32 v20, v29, v27
	v_mul_f32_e32 v21, v28, v27
	v_fma_f32 v20, v28, v26, -v20
	v_fmac_f32_e32 v21, v29, v26
	v_add_f32_e32 v28, v18, v20
	v_add_f32_e32 v29, v19, v21
	ds_read_b128 v[18:21], v55 offset:4096
	s_sub_i32 s12, s24, 32
	s_cmp_ge_i32 s12, s50
	s_waitcnt lgkmcnt(0)
	v_mul_f32_e32 v62, v19, v25
	v_mul_f32_e32 v25, v18, v25
	v_fma_f32 v62, v18, v24, -v62
	v_fmac_f32_e32 v25, v19, v24
	v_add_f32_e32 v24, v16, v62
	v_add_f32_e32 v25, v17, v25
	v_mul_f32_e32 v16, v19, v27
	v_mul_f32_e32 v17, v18, v27
	v_fma_f32 v16, v18, v26, -v16
	v_fmac_f32_e32 v17, v19, v26
	v_add_f32_e32 v18, v15, v16
	v_add_f32_e32 v19, v14, v17
	ds_read2_b64 v[14:17], v57 offset0:32 offset1:48
	s_waitcnt lgkmcnt(0)
	v_mul_f32_e32 v26, v31, v15
	v_fma_f32 v26, v30, v14, -v26
	v_add_f32_e32 v26, v34, v26
	v_mul_f32_e32 v34, v31, v17
	v_mul_f32_e32 v27, v30, v15
	v_fma_f32 v34, v30, v16, -v34
	v_mul_f32_e32 v30, v30, v17
	v_fmac_f32_e32 v27, v31, v14
	v_fmac_f32_e32 v30, v31, v16
	v_add_f32_e32 v31, v28, v34
	v_mul_f32_e32 v28, v21, v15
	v_mul_f32_e32 v15, v20, v15
	v_fma_f32 v28, v20, v14, -v28
	v_fmac_f32_e32 v15, v21, v14
	v_add_f32_e32 v62, v24, v28
	v_add_f32_e32 v24, v25, v15
	v_mul_f32_e32 v14, v21, v17
	v_mul_f32_e32 v15, v20, v17
	v_fma_f32 v14, v20, v16, -v14
	v_fmac_f32_e32 v15, v21, v16
	v_add_f32_e32 v25, v18, v14
	v_add_f32_e32 v28, v19, v15
	ds_read2_b64 v[14:17], v57 offset0:64 offset1:80
	v_add_f32_e32 v27, v61, v27
	v_add_f32_e32 v29, v29, v30
	s_waitcnt lgkmcnt(0)
	v_mul_f32_e32 v18, v11, v15
	v_mul_f32_e32 v19, v10, v15
	v_fma_f32 v18, v10, v14, -v18
	v_fmac_f32_e32 v19, v11, v14
	v_add_f32_e32 v34, v26, v18
	v_add_f32_e32 v61, v27, v19
	v_mul_f32_e32 v18, v11, v17
	v_mul_f32_e32 v19, v10, v17
	v_fma_f32 v18, v10, v16, -v18
	v_fmac_f32_e32 v19, v11, v16
	v_add_f32_e32 v10, v31, v18
	v_add_f32_e32 v11, v29, v19
	ds_read_b128 v[18:21], v55 offset:4112
	s_waitcnt lgkmcnt(0)
	v_mul_f32_e32 v26, v19, v15
	v_mul_f32_e32 v15, v18, v15
	v_fmac_f32_e32 v15, v19, v14
	v_fma_f32 v26, v18, v14, -v26
	v_add_f32_e32 v24, v24, v15
	v_mul_f32_e32 v14, v19, v17
	v_mul_f32_e32 v15, v18, v17
	v_fma_f32 v14, v18, v16, -v14
	v_fmac_f32_e32 v15, v19, v16
	v_add_f32_e32 v18, v25, v14
	v_add_f32_e32 v19, v28, v15
	ds_read2_b64 v[14:17], v57 offset0:96 offset1:112
	v_add_f32_e32 v26, v62, v26
	s_waitcnt lgkmcnt(0)
	v_mul_f32_e32 v25, v13, v15
	v_mul_f32_e32 v28, v13, v17
	v_fma_f32 v25, v12, v14, -v25
	v_mul_f32_e32 v27, v12, v15
	v_fma_f32 v28, v12, v16, -v28
	v_mul_f32_e32 v12, v12, v17
	v_fmac_f32_e32 v12, v13, v16
	v_add_f32_e32 v28, v10, v28
	v_add_f32_e32 v29, v11, v12
	v_mul_f32_e32 v10, v21, v15
	v_mul_f32_e32 v11, v20, v15
	v_fma_f32 v10, v20, v14, -v10
	v_fmac_f32_e32 v11, v21, v14
	v_fmac_f32_e32 v27, v13, v14
	v_add_f32_e32 v14, v26, v10
	v_add_f32_e32 v15, v24, v11
	v_mul_f32_e32 v10, v21, v17
	v_mul_f32_e32 v11, v20, v17
	v_fma_f32 v10, v20, v16, -v10
	v_fmac_f32_e32 v11, v21, v16
	v_add_f32_e32 v20, v18, v10
	v_add_f32_e32 v21, v19, v11
	ds_read2_b64 v[10:13], v57 offset0:128 offset1:144
	v_add_f32_e32 v25, v34, v25
	v_add_f32_e32 v27, v61, v27
	s_waitcnt lgkmcnt(0)
	v_mul_f32_e32 v16, v7, v11
	v_fma_f32 v16, v6, v10, -v16
	v_mul_f32_e32 v17, v6, v11
	v_add_f32_e32 v24, v25, v16
	v_mul_f32_e32 v16, v7, v13
	v_fmac_f32_e32 v17, v7, v10
	v_fma_f32 v16, v6, v12, -v16
	v_mul_f32_e32 v6, v6, v13
	v_add_f32_e32 v25, v27, v17
	v_fmac_f32_e32 v6, v7, v12
	v_add_f32_e32 v7, v28, v16
	ds_read_b128 v[16:19], v55 offset:4128
	v_add_f32_e32 v6, v29, v6
	s_waitcnt lgkmcnt(0)
	v_mul_f32_e32 v26, v17, v11
	v_mul_f32_e32 v11, v16, v11
	v_fmac_f32_e32 v11, v17, v10
	v_fma_f32 v26, v16, v10, -v26
	v_add_f32_e32 v15, v15, v11
	v_mul_f32_e32 v10, v17, v13
	v_mul_f32_e32 v11, v16, v13
	v_fma_f32 v10, v16, v12, -v10
	v_fmac_f32_e32 v11, v17, v12
	v_add_f32_e32 v20, v20, v10
	v_add_f32_e32 v21, v21, v11
	ds_read2_b64 v[10:13], v57 offset0:160 offset1:176
	v_add_f32_e32 v14, v14, v26
	s_waitcnt lgkmcnt(0)
	v_mul_f32_e32 v16, v9, v11
	v_fma_f32 v16, v8, v10, -v16
	v_add_f32_e32 v24, v24, v16
	v_mul_f32_e32 v16, v9, v13
	v_mul_f32_e32 v17, v8, v11
	v_fma_f32 v16, v8, v12, -v16
	v_mul_f32_e32 v8, v8, v13
	v_fmac_f32_e32 v8, v9, v12
	v_add_f32_e32 v26, v7, v16
	v_add_f32_e32 v27, v6, v8
	v_mul_f32_e32 v6, v19, v11
	v_mul_f32_e32 v7, v18, v11
	v_fmac_f32_e32 v17, v9, v10
	v_fma_f32 v6, v18, v10, -v6
	v_fmac_f32_e32 v7, v19, v10
	v_add_f32_e32 v25, v25, v17
	v_add_f32_e32 v16, v14, v6
	;; [unrolled: 1-line block ×3, first 2 shown]
	v_mul_f32_e32 v6, v19, v13
	v_mul_f32_e32 v7, v18, v13
	v_fma_f32 v6, v18, v12, -v6
	v_fmac_f32_e32 v7, v19, v12
	v_add_f32_e32 v18, v20, v6
	v_add_f32_e32 v19, v21, v7
	ds_read2_b64 v[6:9], v57 offset0:192 offset1:208
	s_waitcnt lgkmcnt(0)
	v_mul_f32_e32 v10, v3, v7
	v_mul_f32_e32 v11, v2, v7
	v_fma_f32 v10, v2, v6, -v10
	v_fmac_f32_e32 v11, v3, v6
	v_add_f32_e32 v14, v24, v10
	v_add_f32_e32 v15, v25, v11
	v_mul_f32_e32 v10, v3, v9
	v_mul_f32_e32 v11, v2, v9
	v_fma_f32 v10, v2, v8, -v10
	v_fmac_f32_e32 v11, v3, v8
	v_add_f32_e32 v2, v26, v10
	v_add_f32_e32 v3, v27, v11
	ds_read_b128 v[10:13], v55 offset:4144
	s_waitcnt lgkmcnt(0)
	v_mul_f32_e32 v20, v11, v7
	v_mul_f32_e32 v7, v10, v7
	v_fmac_f32_e32 v7, v11, v6
	v_fma_f32 v20, v10, v6, -v20
	v_add_f32_e32 v17, v17, v7
	v_mul_f32_e32 v6, v11, v9
	v_mul_f32_e32 v7, v10, v9
	v_fma_f32 v6, v10, v8, -v6
	v_fmac_f32_e32 v7, v11, v8
	v_add_f32_e32 v10, v18, v6
	v_add_f32_e32 v11, v19, v7
	ds_read2_b64 v[6:9], v57 offset0:224 offset1:240
	v_add_f32_e32 v16, v16, v20
	s_waitcnt lgkmcnt(0)
	v_mul_f32_e32 v18, v5, v7
	v_fma_f32 v18, v4, v6, -v18
	v_add_f32_e32 v18, v14, v18
	v_mul_f32_e32 v14, v5, v9
	v_mul_f32_e32 v19, v4, v7
	v_fma_f32 v14, v4, v8, -v14
	v_mul_f32_e32 v4, v4, v9
	v_fmac_f32_e32 v19, v5, v6
	v_fmac_f32_e32 v4, v5, v8
	v_add_f32_e32 v15, v15, v19
	v_add_f32_e32 v19, v2, v14
	;; [unrolled: 1-line block ×3, first 2 shown]
	v_mul_f32_e32 v2, v13, v7
	v_mul_f32_e32 v3, v12, v7
	v_fma_f32 v2, v12, v6, -v2
	v_fmac_f32_e32 v3, v13, v6
	v_add_f32_e32 v21, v16, v2
	v_add_f32_e32 v24, v17, v3
	v_mul_f32_e32 v2, v13, v9
	v_mul_f32_e32 v3, v12, v9
	v_fma_f32 v2, v12, v8, -v2
	v_fmac_f32_e32 v3, v13, v8
	v_add_u32_e32 v14, 0x800, v57
	v_add_f32_e32 v10, v10, v2
	v_add_f32_e32 v11, v11, v3
	ds_read_b128 v[2:5], v55 offset:64
	ds_read2_b64 v[6:9], v14 offset1:16
	s_waitcnt lgkmcnt(0)
	v_mul_f32_e32 v13, v2, v7
	v_fmac_f32_e32 v13, v3, v6
	v_mul_f32_e32 v12, v3, v7
	v_add_f32_e32 v13, v15, v13
	v_mul_f32_e32 v15, v3, v9
	v_fma_f32 v12, v2, v6, -v12
	v_fma_f32 v15, v2, v8, -v15
	v_mul_f32_e32 v2, v2, v9
	v_add_f32_e32 v12, v18, v12
	v_fmac_f32_e32 v2, v3, v8
	v_add_f32_e32 v3, v19, v15
	ds_read_b128 v[15:18], v55 offset:4160
	v_add_f32_e32 v2, v20, v2
	s_waitcnt lgkmcnt(0)
	v_mul_f32_e32 v19, v16, v7
	v_mul_f32_e32 v7, v15, v7
	v_fmac_f32_e32 v7, v16, v6
	v_fma_f32 v19, v15, v6, -v19
	v_add_f32_e32 v20, v24, v7
	v_mul_f32_e32 v6, v16, v9
	v_mul_f32_e32 v7, v15, v9
	v_fma_f32 v6, v15, v8, -v6
	v_fmac_f32_e32 v7, v16, v8
	v_add_f32_e32 v19, v21, v19
	v_add_f32_e32 v21, v10, v6
	;; [unrolled: 1-line block ×3, first 2 shown]
	ds_read2_b64 v[6:9], v14 offset0:32 offset1:48
	s_waitcnt lgkmcnt(0)
	v_mul_f32_e32 v10, v5, v7
	v_fma_f32 v10, v4, v6, -v10
	v_add_f32_e32 v10, v12, v10
	v_mul_f32_e32 v12, v5, v9
	v_mul_f32_e32 v11, v4, v7
	v_fma_f32 v12, v4, v8, -v12
	v_mul_f32_e32 v4, v4, v9
	v_fmac_f32_e32 v11, v5, v6
	v_fmac_f32_e32 v4, v5, v8
	v_add_f32_e32 v11, v13, v11
	v_add_f32_e32 v12, v3, v12
	v_add_f32_e32 v13, v2, v4
	v_mul_f32_e32 v2, v18, v7
	v_mul_f32_e32 v3, v17, v7
	v_fma_f32 v2, v17, v6, -v2
	v_fmac_f32_e32 v3, v18, v6
	v_add_f32_e32 v15, v19, v2
	v_add_f32_e32 v16, v20, v3
	v_mul_f32_e32 v2, v18, v9
	v_mul_f32_e32 v3, v17, v9
	v_fma_f32 v2, v17, v8, -v2
	v_fmac_f32_e32 v3, v18, v8
	v_add_f32_e32 v17, v21, v2
	v_add_f32_e32 v18, v24, v3
	ds_read_b128 v[2:5], v55 offset:80
	ds_read2_b64 v[6:9], v14 offset0:64 offset1:80
	s_waitcnt lgkmcnt(0)
	v_mul_f32_e32 v19, v3, v7
	v_mul_f32_e32 v20, v2, v7
	v_fma_f32 v19, v2, v6, -v19
	v_fmac_f32_e32 v20, v3, v6
	v_add_f32_e32 v19, v10, v19
	v_add_f32_e32 v20, v11, v20
	v_mul_f32_e32 v10, v3, v9
	v_mul_f32_e32 v11, v2, v9
	v_fma_f32 v10, v2, v8, -v10
	v_fmac_f32_e32 v11, v3, v8
	v_add_f32_e32 v2, v12, v10
	v_add_f32_e32 v3, v13, v11
	ds_read_b128 v[10:13], v55 offset:4176
	s_waitcnt lgkmcnt(0)
	v_mul_f32_e32 v21, v11, v7
	v_mul_f32_e32 v7, v10, v7
	v_fmac_f32_e32 v7, v11, v6
	v_fma_f32 v21, v10, v6, -v21
	v_add_f32_e32 v16, v16, v7
	v_mul_f32_e32 v6, v11, v9
	v_mul_f32_e32 v7, v10, v9
	v_fma_f32 v6, v10, v8, -v6
	v_fmac_f32_e32 v7, v11, v8
	v_add_f32_e32 v10, v17, v6
	v_add_f32_e32 v11, v18, v7
	ds_read2_b64 v[6:9], v14 offset0:96 offset1:112
	v_add_f32_e32 v15, v15, v21
	s_waitcnt lgkmcnt(0)
	v_mul_f32_e32 v17, v5, v7
	v_fma_f32 v17, v4, v6, -v17
	v_add_f32_e32 v17, v19, v17
	v_mul_f32_e32 v19, v5, v9
	v_mul_f32_e32 v18, v4, v7
	v_fma_f32 v19, v4, v8, -v19
	v_mul_f32_e32 v4, v4, v9
	v_fmac_f32_e32 v18, v5, v6
	v_fmac_f32_e32 v4, v5, v8
	v_add_f32_e32 v18, v20, v18
	v_add_f32_e32 v19, v2, v19
	;; [unrolled: 1-line block ×3, first 2 shown]
	v_mul_f32_e32 v2, v13, v7
	v_mul_f32_e32 v3, v12, v7
	v_fma_f32 v2, v12, v6, -v2
	v_fmac_f32_e32 v3, v13, v6
	v_add_f32_e32 v21, v15, v2
	v_add_f32_e32 v24, v16, v3
	v_mul_f32_e32 v2, v13, v9
	v_mul_f32_e32 v3, v12, v9
	v_fma_f32 v2, v12, v8, -v2
	v_fmac_f32_e32 v3, v13, v8
	v_add_f32_e32 v10, v10, v2
	v_add_f32_e32 v11, v11, v3
	ds_read_b128 v[2:5], v55 offset:96
	ds_read2_b64 v[6:9], v14 offset0:128 offset1:144
	s_waitcnt lgkmcnt(0)
	v_mul_f32_e32 v12, v3, v7
	v_mul_f32_e32 v13, v2, v7
	;; [unrolled: 1-line block ×3, first 2 shown]
	v_fma_f32 v12, v2, v6, -v12
	v_fmac_f32_e32 v13, v3, v6
	v_fma_f32 v15, v2, v8, -v15
	v_mul_f32_e32 v2, v2, v9
	v_add_f32_e32 v12, v17, v12
	v_add_f32_e32 v13, v18, v13
	v_fmac_f32_e32 v2, v3, v8
	v_add_f32_e32 v3, v19, v15
	ds_read_b128 v[15:18], v55 offset:4192
	v_add_f32_e32 v2, v20, v2
	s_waitcnt lgkmcnt(0)
	v_mul_f32_e32 v19, v16, v7
	v_mul_f32_e32 v7, v15, v7
	v_fmac_f32_e32 v7, v16, v6
	v_fma_f32 v19, v15, v6, -v19
	v_add_f32_e32 v20, v24, v7
	v_mul_f32_e32 v6, v16, v9
	v_mul_f32_e32 v7, v15, v9
	v_fma_f32 v6, v15, v8, -v6
	v_fmac_f32_e32 v7, v16, v8
	v_add_f32_e32 v19, v21, v19
	v_add_f32_e32 v21, v10, v6
	;; [unrolled: 1-line block ×3, first 2 shown]
	ds_read2_b64 v[6:9], v14 offset0:160 offset1:176
	s_waitcnt lgkmcnt(0)
	v_mul_f32_e32 v10, v5, v7
	v_fma_f32 v10, v4, v6, -v10
	v_add_f32_e32 v10, v12, v10
	v_mul_f32_e32 v12, v5, v9
	v_mul_f32_e32 v11, v4, v7
	v_fma_f32 v12, v4, v8, -v12
	v_mul_f32_e32 v4, v4, v9
	v_fmac_f32_e32 v11, v5, v6
	v_fmac_f32_e32 v4, v5, v8
	v_add_f32_e32 v11, v13, v11
	v_add_f32_e32 v12, v3, v12
	;; [unrolled: 1-line block ×3, first 2 shown]
	v_mul_f32_e32 v2, v18, v7
	v_mul_f32_e32 v3, v17, v7
	v_fma_f32 v2, v17, v6, -v2
	v_fmac_f32_e32 v3, v18, v6
	v_add_f32_e32 v15, v19, v2
	v_add_f32_e32 v16, v20, v3
	v_mul_f32_e32 v2, v18, v9
	v_mul_f32_e32 v3, v17, v9
	v_fma_f32 v2, v17, v8, -v2
	v_fmac_f32_e32 v3, v18, v8
	v_add_f32_e32 v17, v21, v2
	v_add_f32_e32 v18, v24, v3
	ds_read_b128 v[2:5], v55 offset:112
	ds_read2_b64 v[6:9], v14 offset0:192 offset1:208
	s_waitcnt lgkmcnt(0)
	v_mul_f32_e32 v19, v3, v7
	v_mul_f32_e32 v20, v2, v7
	v_fma_f32 v19, v2, v6, -v19
	v_fmac_f32_e32 v20, v3, v6
	v_add_f32_e32 v19, v10, v19
	v_add_f32_e32 v20, v11, v20
	v_mul_f32_e32 v10, v3, v9
	v_mul_f32_e32 v11, v2, v9
	v_fma_f32 v10, v2, v8, -v10
	v_fmac_f32_e32 v11, v3, v8
	v_add_f32_e32 v2, v12, v10
	v_add_f32_e32 v3, v13, v11
	ds_read_b128 v[10:13], v55 offset:4208
	s_waitcnt lgkmcnt(0)
	v_mul_f32_e32 v21, v11, v7
	v_mul_f32_e32 v7, v10, v7
	v_fmac_f32_e32 v7, v11, v6
	v_fma_f32 v21, v10, v6, -v21
	v_add_f32_e32 v16, v16, v7
	v_mul_f32_e32 v6, v11, v9
	v_mul_f32_e32 v7, v10, v9
	v_fma_f32 v6, v10, v8, -v6
	v_fmac_f32_e32 v7, v11, v8
	v_add_f32_e32 v10, v17, v6
	v_add_f32_e32 v11, v18, v7
	ds_read2_b64 v[6:9], v14 offset0:224 offset1:240
	v_add_f32_e32 v15, v15, v21
	s_waitcnt lgkmcnt(0)
	v_mul_f32_e32 v14, v5, v7
	v_fma_f32 v14, v4, v6, -v14
	v_add_f32_e32 v18, v19, v14
	v_mul_f32_e32 v14, v5, v9
	v_mul_f32_e32 v17, v4, v7
	v_fma_f32 v14, v4, v8, -v14
	v_mul_f32_e32 v4, v4, v9
	v_fmac_f32_e32 v17, v5, v6
	v_fmac_f32_e32 v4, v5, v8
	v_add_f32_e32 v17, v20, v17
	v_add_f32_e32 v19, v2, v14
	v_add_f32_e32 v20, v3, v4
	v_mul_f32_e32 v2, v13, v7
	v_mul_f32_e32 v3, v12, v7
	v_fma_f32 v2, v12, v6, -v2
	v_fmac_f32_e32 v3, v13, v6
	v_add_f32_e32 v21, v15, v2
	v_add_f32_e32 v24, v16, v3
	v_mul_f32_e32 v2, v13, v9
	v_mul_f32_e32 v3, v12, v9
	v_fma_f32 v2, v12, v8, -v2
	v_fmac_f32_e32 v3, v13, v8
	v_add_u32_e32 v14, 0x1000, v57
	v_add_f32_e32 v10, v10, v2
	v_add_f32_e32 v11, v11, v3
	ds_read_b128 v[2:5], v55 offset:128
	ds_read2_b64 v[6:9], v14 offset1:16
	s_waitcnt lgkmcnt(0)
	v_mul_f32_e32 v12, v3, v7
	v_mul_f32_e32 v13, v2, v7
	;; [unrolled: 1-line block ×3, first 2 shown]
	v_fma_f32 v12, v2, v6, -v12
	v_fmac_f32_e32 v13, v3, v6
	v_fma_f32 v15, v2, v8, -v15
	v_mul_f32_e32 v2, v2, v9
	v_add_f32_e32 v12, v18, v12
	v_add_f32_e32 v13, v17, v13
	v_fmac_f32_e32 v2, v3, v8
	v_add_f32_e32 v3, v19, v15
	ds_read_b128 v[15:18], v55 offset:4224
	v_add_f32_e32 v2, v20, v2
	s_waitcnt lgkmcnt(0)
	v_mul_f32_e32 v19, v16, v7
	v_mul_f32_e32 v7, v15, v7
	v_fmac_f32_e32 v7, v16, v6
	v_fma_f32 v19, v15, v6, -v19
	v_add_f32_e32 v20, v24, v7
	v_mul_f32_e32 v6, v16, v9
	v_mul_f32_e32 v7, v15, v9
	v_fma_f32 v6, v15, v8, -v6
	v_fmac_f32_e32 v7, v16, v8
	v_add_f32_e32 v19, v21, v19
	v_add_f32_e32 v21, v10, v6
	;; [unrolled: 1-line block ×3, first 2 shown]
	ds_read2_b64 v[6:9], v14 offset0:32 offset1:48
	s_waitcnt lgkmcnt(0)
	v_mul_f32_e32 v10, v5, v7
	v_fma_f32 v10, v4, v6, -v10
	v_add_f32_e32 v10, v12, v10
	v_mul_f32_e32 v12, v5, v9
	v_mul_f32_e32 v11, v4, v7
	v_fma_f32 v12, v4, v8, -v12
	v_mul_f32_e32 v4, v4, v9
	v_fmac_f32_e32 v11, v5, v6
	v_fmac_f32_e32 v4, v5, v8
	v_add_f32_e32 v11, v13, v11
	v_add_f32_e32 v12, v3, v12
	;; [unrolled: 1-line block ×3, first 2 shown]
	v_mul_f32_e32 v2, v18, v7
	v_mul_f32_e32 v3, v17, v7
	v_fma_f32 v2, v17, v6, -v2
	v_fmac_f32_e32 v3, v18, v6
	v_add_f32_e32 v15, v19, v2
	v_add_f32_e32 v16, v20, v3
	v_mul_f32_e32 v2, v18, v9
	v_mul_f32_e32 v3, v17, v9
	v_fma_f32 v2, v17, v8, -v2
	v_fmac_f32_e32 v3, v18, v8
	v_add_f32_e32 v17, v21, v2
	v_add_f32_e32 v18, v24, v3
	ds_read_b128 v[2:5], v55 offset:144
	ds_read2_b64 v[6:9], v14 offset0:64 offset1:80
	s_waitcnt lgkmcnt(0)
	v_mul_f32_e32 v19, v3, v7
	v_mul_f32_e32 v20, v2, v7
	v_fma_f32 v19, v2, v6, -v19
	v_fmac_f32_e32 v20, v3, v6
	v_add_f32_e32 v19, v10, v19
	v_add_f32_e32 v20, v11, v20
	v_mul_f32_e32 v10, v3, v9
	v_mul_f32_e32 v11, v2, v9
	v_fma_f32 v10, v2, v8, -v10
	v_fmac_f32_e32 v11, v3, v8
	v_add_f32_e32 v2, v12, v10
	v_add_f32_e32 v3, v13, v11
	ds_read_b128 v[10:13], v55 offset:4240
	s_waitcnt lgkmcnt(0)
	v_mul_f32_e32 v21, v11, v7
	v_mul_f32_e32 v7, v10, v7
	v_fmac_f32_e32 v7, v11, v6
	v_fma_f32 v21, v10, v6, -v21
	v_add_f32_e32 v16, v16, v7
	v_mul_f32_e32 v6, v11, v9
	v_mul_f32_e32 v7, v10, v9
	v_fma_f32 v6, v10, v8, -v6
	v_fmac_f32_e32 v7, v11, v8
	v_add_f32_e32 v10, v17, v6
	v_add_f32_e32 v11, v18, v7
	ds_read2_b64 v[6:9], v14 offset0:96 offset1:112
	v_add_f32_e32 v15, v15, v21
	s_waitcnt lgkmcnt(0)
	v_mul_f32_e32 v17, v5, v7
	v_fma_f32 v17, v4, v6, -v17
	v_add_f32_e32 v17, v19, v17
	v_mul_f32_e32 v19, v5, v9
	v_mul_f32_e32 v18, v4, v7
	v_fma_f32 v19, v4, v8, -v19
	v_mul_f32_e32 v4, v4, v9
	v_fmac_f32_e32 v18, v5, v6
	v_fmac_f32_e32 v4, v5, v8
	v_add_f32_e32 v18, v20, v18
	v_add_f32_e32 v19, v2, v19
	;; [unrolled: 1-line block ×3, first 2 shown]
	v_mul_f32_e32 v2, v13, v7
	v_mul_f32_e32 v3, v12, v7
	v_fma_f32 v2, v12, v6, -v2
	v_fmac_f32_e32 v3, v13, v6
	v_add_f32_e32 v21, v15, v2
	v_add_f32_e32 v24, v16, v3
	v_mul_f32_e32 v2, v13, v9
	v_mul_f32_e32 v3, v12, v9
	v_fma_f32 v2, v12, v8, -v2
	v_fmac_f32_e32 v3, v13, v8
	v_add_f32_e32 v10, v10, v2
	v_add_f32_e32 v11, v11, v3
	ds_read_b128 v[2:5], v55 offset:160
	ds_read2_b64 v[6:9], v14 offset0:128 offset1:144
	s_waitcnt lgkmcnt(0)
	v_mul_f32_e32 v12, v3, v7
	v_mul_f32_e32 v13, v2, v7
	;; [unrolled: 1-line block ×3, first 2 shown]
	v_fma_f32 v12, v2, v6, -v12
	v_fmac_f32_e32 v13, v3, v6
	v_fma_f32 v15, v2, v8, -v15
	v_mul_f32_e32 v2, v2, v9
	v_add_f32_e32 v12, v17, v12
	v_add_f32_e32 v13, v18, v13
	v_fmac_f32_e32 v2, v3, v8
	v_add_f32_e32 v3, v19, v15
	ds_read_b128 v[15:18], v55 offset:4256
	v_add_f32_e32 v2, v20, v2
	s_waitcnt lgkmcnt(0)
	v_mul_f32_e32 v19, v16, v7
	v_mul_f32_e32 v7, v15, v7
	v_fmac_f32_e32 v7, v16, v6
	v_fma_f32 v19, v15, v6, -v19
	v_add_f32_e32 v20, v24, v7
	v_mul_f32_e32 v6, v16, v9
	v_mul_f32_e32 v7, v15, v9
	v_fma_f32 v6, v15, v8, -v6
	v_fmac_f32_e32 v7, v16, v8
	v_add_f32_e32 v19, v21, v19
	v_add_f32_e32 v21, v10, v6
	v_add_f32_e32 v24, v11, v7
	ds_read2_b64 v[6:9], v14 offset0:160 offset1:176
	s_waitcnt lgkmcnt(0)
	v_mul_f32_e32 v10, v5, v7
	v_fma_f32 v10, v4, v6, -v10
	v_add_f32_e32 v10, v12, v10
	v_mul_f32_e32 v12, v5, v9
	v_mul_f32_e32 v11, v4, v7
	v_fma_f32 v12, v4, v8, -v12
	v_mul_f32_e32 v4, v4, v9
	v_fmac_f32_e32 v11, v5, v6
	v_fmac_f32_e32 v4, v5, v8
	v_add_f32_e32 v11, v13, v11
	v_add_f32_e32 v12, v3, v12
	;; [unrolled: 1-line block ×3, first 2 shown]
	v_mul_f32_e32 v2, v18, v7
	v_mul_f32_e32 v3, v17, v7
	v_fma_f32 v2, v17, v6, -v2
	v_fmac_f32_e32 v3, v18, v6
	v_add_f32_e32 v15, v19, v2
	v_add_f32_e32 v16, v20, v3
	v_mul_f32_e32 v2, v18, v9
	v_mul_f32_e32 v3, v17, v9
	v_fma_f32 v2, v17, v8, -v2
	v_fmac_f32_e32 v3, v18, v8
	v_add_f32_e32 v17, v21, v2
	v_add_f32_e32 v18, v24, v3
	ds_read_b128 v[2:5], v55 offset:176
	ds_read2_b64 v[6:9], v14 offset0:192 offset1:208
	s_waitcnt lgkmcnt(0)
	v_mul_f32_e32 v19, v3, v7
	v_mul_f32_e32 v20, v2, v7
	v_fma_f32 v19, v2, v6, -v19
	v_fmac_f32_e32 v20, v3, v6
	v_add_f32_e32 v19, v10, v19
	v_add_f32_e32 v20, v11, v20
	v_mul_f32_e32 v10, v3, v9
	v_mul_f32_e32 v11, v2, v9
	v_fma_f32 v10, v2, v8, -v10
	v_fmac_f32_e32 v11, v3, v8
	v_add_f32_e32 v2, v12, v10
	v_add_f32_e32 v3, v13, v11
	ds_read_b128 v[10:13], v55 offset:4272
	s_waitcnt lgkmcnt(0)
	v_mul_f32_e32 v21, v11, v7
	v_mul_f32_e32 v7, v10, v7
	v_fmac_f32_e32 v7, v11, v6
	v_fma_f32 v21, v10, v6, -v21
	v_add_f32_e32 v16, v16, v7
	v_mul_f32_e32 v6, v11, v9
	v_mul_f32_e32 v7, v10, v9
	v_fma_f32 v6, v10, v8, -v6
	v_fmac_f32_e32 v7, v11, v8
	v_add_f32_e32 v10, v17, v6
	v_add_f32_e32 v11, v18, v7
	ds_read2_b64 v[6:9], v14 offset0:224 offset1:240
	v_add_f32_e32 v15, v15, v21
	s_waitcnt lgkmcnt(0)
	v_mul_f32_e32 v14, v5, v7
	v_fma_f32 v14, v4, v6, -v14
	v_add_f32_e32 v18, v19, v14
	v_mul_f32_e32 v14, v5, v9
	v_mul_f32_e32 v17, v4, v7
	v_fma_f32 v14, v4, v8, -v14
	v_mul_f32_e32 v4, v4, v9
	v_fmac_f32_e32 v17, v5, v6
	v_fmac_f32_e32 v4, v5, v8
	v_add_f32_e32 v17, v20, v17
	v_add_f32_e32 v19, v2, v14
	;; [unrolled: 1-line block ×3, first 2 shown]
	v_mul_f32_e32 v2, v13, v7
	v_mul_f32_e32 v3, v12, v7
	v_fma_f32 v2, v12, v6, -v2
	v_fmac_f32_e32 v3, v13, v6
	v_add_f32_e32 v21, v15, v2
	v_add_f32_e32 v24, v16, v3
	v_mul_f32_e32 v2, v13, v9
	v_mul_f32_e32 v3, v12, v9
	v_fma_f32 v2, v12, v8, -v2
	v_fmac_f32_e32 v3, v13, v8
	v_add_u32_e32 v14, 0x1800, v57
	v_add_f32_e32 v10, v10, v2
	v_add_f32_e32 v11, v11, v3
	ds_read_b128 v[2:5], v55 offset:192
	ds_read2_b64 v[6:9], v14 offset1:16
	s_waitcnt lgkmcnt(0)
	v_mul_f32_e32 v12, v3, v7
	v_mul_f32_e32 v13, v2, v7
	;; [unrolled: 1-line block ×3, first 2 shown]
	v_fma_f32 v12, v2, v6, -v12
	v_fmac_f32_e32 v13, v3, v6
	v_fma_f32 v15, v2, v8, -v15
	v_mul_f32_e32 v2, v2, v9
	v_add_f32_e32 v12, v18, v12
	v_add_f32_e32 v13, v17, v13
	v_fmac_f32_e32 v2, v3, v8
	v_add_f32_e32 v3, v19, v15
	ds_read_b128 v[15:18], v55 offset:4288
	v_add_f32_e32 v2, v20, v2
	s_waitcnt lgkmcnt(0)
	v_mul_f32_e32 v19, v16, v7
	v_mul_f32_e32 v7, v15, v7
	v_fmac_f32_e32 v7, v16, v6
	v_fma_f32 v19, v15, v6, -v19
	v_add_f32_e32 v20, v24, v7
	v_mul_f32_e32 v6, v16, v9
	v_mul_f32_e32 v7, v15, v9
	v_fma_f32 v6, v15, v8, -v6
	v_fmac_f32_e32 v7, v16, v8
	v_add_f32_e32 v19, v21, v19
	v_add_f32_e32 v21, v10, v6
	;; [unrolled: 1-line block ×3, first 2 shown]
	ds_read2_b64 v[6:9], v14 offset0:32 offset1:48
	s_waitcnt lgkmcnt(0)
	v_mul_f32_e32 v10, v5, v7
	v_fma_f32 v10, v4, v6, -v10
	v_add_f32_e32 v10, v12, v10
	v_mul_f32_e32 v12, v5, v9
	v_mul_f32_e32 v11, v4, v7
	v_fma_f32 v12, v4, v8, -v12
	v_mul_f32_e32 v4, v4, v9
	v_fmac_f32_e32 v11, v5, v6
	v_fmac_f32_e32 v4, v5, v8
	v_add_f32_e32 v11, v13, v11
	v_add_f32_e32 v12, v3, v12
	;; [unrolled: 1-line block ×3, first 2 shown]
	v_mul_f32_e32 v2, v18, v7
	v_mul_f32_e32 v3, v17, v7
	v_fma_f32 v2, v17, v6, -v2
	v_fmac_f32_e32 v3, v18, v6
	v_add_f32_e32 v15, v19, v2
	v_add_f32_e32 v16, v20, v3
	v_mul_f32_e32 v2, v18, v9
	v_mul_f32_e32 v3, v17, v9
	v_fma_f32 v2, v17, v8, -v2
	v_fmac_f32_e32 v3, v18, v8
	v_add_f32_e32 v17, v21, v2
	v_add_f32_e32 v18, v24, v3
	ds_read_b128 v[2:5], v55 offset:208
	ds_read2_b64 v[6:9], v14 offset0:64 offset1:80
	s_waitcnt lgkmcnt(0)
	v_mul_f32_e32 v19, v3, v7
	v_mul_f32_e32 v20, v2, v7
	v_fma_f32 v19, v2, v6, -v19
	v_fmac_f32_e32 v20, v3, v6
	v_add_f32_e32 v19, v10, v19
	v_add_f32_e32 v20, v11, v20
	v_mul_f32_e32 v10, v3, v9
	v_mul_f32_e32 v11, v2, v9
	v_fma_f32 v10, v2, v8, -v10
	v_fmac_f32_e32 v11, v3, v8
	v_add_f32_e32 v2, v12, v10
	v_add_f32_e32 v3, v13, v11
	ds_read_b128 v[10:13], v55 offset:4304
	s_waitcnt lgkmcnt(0)
	v_mul_f32_e32 v21, v11, v7
	v_mul_f32_e32 v7, v10, v7
	v_fmac_f32_e32 v7, v11, v6
	v_fma_f32 v21, v10, v6, -v21
	v_add_f32_e32 v16, v16, v7
	v_mul_f32_e32 v6, v11, v9
	v_mul_f32_e32 v7, v10, v9
	v_fma_f32 v6, v10, v8, -v6
	v_fmac_f32_e32 v7, v11, v8
	v_add_f32_e32 v10, v17, v6
	v_add_f32_e32 v11, v18, v7
	ds_read2_b64 v[6:9], v14 offset0:96 offset1:112
	v_add_f32_e32 v15, v15, v21
	s_waitcnt lgkmcnt(0)
	v_mul_f32_e32 v17, v5, v7
	v_fma_f32 v17, v4, v6, -v17
	v_add_f32_e32 v17, v19, v17
	v_mul_f32_e32 v19, v5, v9
	v_mul_f32_e32 v18, v4, v7
	v_fma_f32 v19, v4, v8, -v19
	v_mul_f32_e32 v4, v4, v9
	v_fmac_f32_e32 v18, v5, v6
	v_fmac_f32_e32 v4, v5, v8
	v_add_f32_e32 v18, v20, v18
	v_add_f32_e32 v19, v2, v19
	;; [unrolled: 1-line block ×3, first 2 shown]
	v_mul_f32_e32 v2, v13, v7
	v_mul_f32_e32 v3, v12, v7
	v_fma_f32 v2, v12, v6, -v2
	v_fmac_f32_e32 v3, v13, v6
	v_add_f32_e32 v21, v15, v2
	v_add_f32_e32 v24, v16, v3
	v_mul_f32_e32 v2, v13, v9
	v_mul_f32_e32 v3, v12, v9
	v_fma_f32 v2, v12, v8, -v2
	v_fmac_f32_e32 v3, v13, v8
	v_add_f32_e32 v10, v10, v2
	v_add_f32_e32 v11, v11, v3
	ds_read_b128 v[2:5], v55 offset:224
	ds_read2_b64 v[6:9], v14 offset0:128 offset1:144
	s_waitcnt lgkmcnt(0)
	v_mul_f32_e32 v12, v3, v7
	v_mul_f32_e32 v13, v2, v7
	;; [unrolled: 1-line block ×3, first 2 shown]
	v_fma_f32 v12, v2, v6, -v12
	v_fmac_f32_e32 v13, v3, v6
	v_fma_f32 v15, v2, v8, -v15
	v_mul_f32_e32 v2, v2, v9
	v_add_f32_e32 v12, v17, v12
	v_add_f32_e32 v13, v18, v13
	v_fmac_f32_e32 v2, v3, v8
	v_add_f32_e32 v3, v19, v15
	ds_read_b128 v[15:18], v55 offset:4320
	v_add_f32_e32 v2, v20, v2
	s_waitcnt lgkmcnt(0)
	v_mul_f32_e32 v19, v16, v7
	v_mul_f32_e32 v7, v15, v7
	v_fmac_f32_e32 v7, v16, v6
	v_fma_f32 v19, v15, v6, -v19
	v_add_f32_e32 v20, v24, v7
	v_mul_f32_e32 v6, v16, v9
	v_mul_f32_e32 v7, v15, v9
	v_fma_f32 v6, v15, v8, -v6
	v_fmac_f32_e32 v7, v16, v8
	v_add_f32_e32 v19, v21, v19
	v_add_f32_e32 v21, v10, v6
	;; [unrolled: 1-line block ×3, first 2 shown]
	ds_read2_b64 v[6:9], v14 offset0:160 offset1:176
	s_waitcnt lgkmcnt(0)
	v_mul_f32_e32 v10, v5, v7
	v_fma_f32 v10, v4, v6, -v10
	v_add_f32_e32 v10, v12, v10
	v_mul_f32_e32 v12, v5, v9
	v_mul_f32_e32 v11, v4, v7
	v_fma_f32 v12, v4, v8, -v12
	v_mul_f32_e32 v4, v4, v9
	v_fmac_f32_e32 v11, v5, v6
	v_fmac_f32_e32 v4, v5, v8
	v_add_f32_e32 v11, v13, v11
	v_add_f32_e32 v12, v3, v12
	;; [unrolled: 1-line block ×3, first 2 shown]
	v_mul_f32_e32 v2, v18, v7
	v_mul_f32_e32 v3, v17, v7
	v_fma_f32 v2, v17, v6, -v2
	v_fmac_f32_e32 v3, v18, v6
	v_add_f32_e32 v15, v19, v2
	v_add_f32_e32 v16, v20, v3
	v_mul_f32_e32 v2, v18, v9
	v_mul_f32_e32 v3, v17, v9
	v_fma_f32 v2, v17, v8, -v2
	v_fmac_f32_e32 v3, v18, v8
	v_add_f32_e32 v17, v21, v2
	v_add_f32_e32 v18, v24, v3
	ds_read_b128 v[2:5], v55 offset:240
	ds_read2_b64 v[6:9], v14 offset0:192 offset1:208
	s_waitcnt lgkmcnt(0)
	v_mul_f32_e32 v19, v3, v7
	v_mul_f32_e32 v20, v2, v7
	v_fma_f32 v19, v2, v6, -v19
	v_fmac_f32_e32 v20, v3, v6
	v_add_f32_e32 v19, v10, v19
	v_add_f32_e32 v21, v11, v20
	v_mul_f32_e32 v10, v3, v9
	v_mul_f32_e32 v11, v2, v9
	v_fma_f32 v10, v2, v8, -v10
	v_fmac_f32_e32 v11, v3, v8
	v_add_f32_e32 v2, v12, v10
	v_add_f32_e32 v3, v13, v11
	ds_read_b128 v[10:13], v55 offset:4336
	s_waitcnt lgkmcnt(0)
	v_mul_f32_e32 v20, v11, v7
	v_mul_f32_e32 v7, v10, v7
	v_fmac_f32_e32 v7, v11, v6
	v_fma_f32 v20, v10, v6, -v20
	v_add_f32_e32 v24, v16, v7
	v_mul_f32_e32 v6, v11, v9
	v_mul_f32_e32 v7, v10, v9
	v_fma_f32 v6, v10, v8, -v6
	v_fmac_f32_e32 v7, v11, v8
	v_add_f32_e32 v10, v17, v6
	v_add_f32_e32 v11, v18, v7
	ds_read2_b64 v[6:9], v14 offset0:224 offset1:240
	v_add_f32_e32 v15, v15, v20
	s_waitcnt lgkmcnt(0)
	s_barrier
	v_mul_f32_e32 v14, v5, v7
	v_fma_f32 v14, v4, v6, -v14
	v_add_f32_e32 v20, v19, v14
	v_mul_f32_e32 v14, v5, v9
	v_fma_f32 v14, v4, v8, -v14
	v_mul_f32_e32 v16, v4, v7
	v_add_f32_e32 v18, v2, v14
	v_mul_f32_e32 v2, v13, v7
	v_fmac_f32_e32 v16, v5, v6
	v_fma_f32 v2, v12, v6, -v2
	v_add_f32_e32 v21, v21, v16
	v_add_f32_e32 v16, v15, v2
	v_mul_f32_e32 v2, v13, v9
	v_mul_f32_e32 v4, v4, v9
	v_fma_f32 v2, v12, v8, -v2
	v_fmac_f32_e32 v4, v5, v8
	v_add_f32_e32 v15, v10, v2
	v_mov_b32_e32 v2, s37
	v_add_f32_e32 v19, v3, v4
	v_mul_f32_e32 v3, v12, v7
	v_addc_co_u32_e64 v54, s[10:11], v54, v2, s[10:11]
	v_fmac_f32_e32 v3, v13, v6
	v_add_co_u32_e64 v51, s[10:11], s34, v51
	v_mov_b32_e32 v2, s35
	v_add_f32_e32 v17, v24, v3
	v_mul_f32_e32 v3, v12, v9
	v_addc_co_u32_e64 v52, s[10:11], v52, v2, s[10:11]
	v_fmac_f32_e32 v3, v13, v8
	v_add_co_u32_e64 v49, s[10:11], s34, v49
	v_add_f32_e32 v14, v11, v3
	v_addc_co_u32_e64 v50, s[10:11], v50, v2, s[10:11]
	s_cbranch_scc1 .LBB89_55
.LBB89_7:                               ;   Parent Loop BB89_4 Depth=1
                                        ; =>  This Inner Loop Header: Depth=2
	v_mov_b32_e32 v2, s25
	v_add_co_u32_e64 v4, s[10:11], s24, v0
	v_addc_co_u32_e64 v5, s[10:11], 0, v2, s[10:11]
	v_cmp_eq_u64_e64 s[10:11], s[24:25], v[39:40]
	s_waitcnt vmcnt(5)
	v_add_co_u32_e64 v2, s[12:13], v49, v41
	s_and_b64 s[42:43], s[22:23], s[10:11]
	v_cmp_gt_i64_e64 s[10:11], v[4:5], v[37:38]
	s_waitcnt vmcnt(4)
	v_addc_co_u32_e64 v3, s[12:13], v50, v42, s[12:13]
	v_cmp_le_i64_e64 s[12:13], s[26:27], v[4:5]
	s_or_b64 s[14:15], s[16:17], s[10:11]
	s_or_b64 s[14:15], s[14:15], s[42:43]
	s_nor_b64 s[14:15], s[12:13], s[14:15]
	s_and_saveexec_b64 s[18:19], s[14:15]
	s_xor_b64 s[14:15], exec, s[18:19]
	s_cbranch_execz .LBB89_9
; %bb.8:                                ;   in Loop: Header=BB89_7 Depth=2
	global_load_dwordx2 v[6:7], v[2:3], off
	s_waitcnt vmcnt(0)
	ds_write_b64 v56, v[6:7]
.LBB89_9:                               ;   in Loop: Header=BB89_7 Depth=2
	s_or_saveexec_b64 s[14:15], s[14:15]
	s_xor_b64 s[28:29], s[42:43], -1
	s_xor_b64 exec, exec, s[14:15]
	s_cbranch_execz .LBB89_15
; %bb.10:                               ;   in Loop: Header=BB89_7 Depth=2
	s_and_saveexec_b64 s[18:19], s[28:29]
	s_xor_b64 s[18:19], exec, s[18:19]
; %bb.11:                               ;   in Loop: Header=BB89_7 Depth=2
	v_mov_b32_e32 v6, v23
	v_mov_b32_e32 v7, v23
	ds_write_b64 v56, v[6:7]
; %bb.12:                               ;   in Loop: Header=BB89_7 Depth=2
	s_andn2_saveexec_b64 s[18:19], s[18:19]
; %bb.13:                               ;   in Loop: Header=BB89_7 Depth=2
	ds_write_b64 v56, v[22:23]
; %bb.14:                               ;   in Loop: Header=BB89_7 Depth=2
	s_or_b64 exec, exec, s[18:19]
.LBB89_15:                              ;   in Loop: Header=BB89_7 Depth=2
	s_or_b64 exec, exec, s[14:15]
	v_add_co_u32_e64 v6, s[18:19], 16, v4
	v_addc_co_u32_e64 v7, s[18:19], 0, v5, s[18:19]
	v_cmp_eq_u64_e64 s[14:15], s[24:25], v[47:48]
	v_cmp_gt_i64_e64 s[18:19], v[6:7], v[37:38]
	s_and_b64 s[20:21], s[22:23], s[14:15]
	v_cmp_le_i64_e64 s[14:15], s[26:27], v[6:7]
	s_or_b64 s[18:19], s[16:17], s[18:19]
	s_or_b64 s[18:19], s[18:19], s[20:21]
	s_nor_b64 s[18:19], s[14:15], s[18:19]
	s_and_saveexec_b64 s[44:45], s[18:19]
	s_xor_b64 s[44:45], exec, s[44:45]
	s_cbranch_execz .LBB89_17
; %bb.16:                               ;   in Loop: Header=BB89_7 Depth=2
	s_waitcnt vmcnt(3)
	v_add_co_u32_e64 v6, s[18:19], v51, v41
	s_waitcnt vmcnt(2)
	v_addc_co_u32_e64 v7, s[18:19], v52, v42, s[18:19]
	global_load_dwordx2 v[6:7], v[6:7], off
	s_waitcnt vmcnt(0)
	ds_write_b64 v56, v[6:7] offset:128
.LBB89_17:                              ;   in Loop: Header=BB89_7 Depth=2
	s_andn2_saveexec_b64 s[18:19], s[44:45]
	s_cbranch_execz .LBB89_23
; %bb.18:                               ;   in Loop: Header=BB89_7 Depth=2
	s_xor_b64 s[20:21], s[20:21], -1
	s_and_saveexec_b64 s[44:45], s[20:21]
	s_xor_b64 s[20:21], exec, s[44:45]
; %bb.19:                               ;   in Loop: Header=BB89_7 Depth=2
	v_mov_b32_e32 v6, v23
	v_mov_b32_e32 v7, v23
	ds_write_b64 v56, v[6:7] offset:128
; %bb.20:                               ;   in Loop: Header=BB89_7 Depth=2
	s_andn2_saveexec_b64 s[20:21], s[20:21]
; %bb.21:                               ;   in Loop: Header=BB89_7 Depth=2
	ds_write_b64 v56, v[22:23] offset:128
; %bb.22:                               ;   in Loop: Header=BB89_7 Depth=2
	s_or_b64 exec, exec, s[20:21]
.LBB89_23:                              ;   in Loop: Header=BB89_7 Depth=2
	s_or_b64 exec, exec, s[18:19]
	v_cmp_eq_u64_e64 s[18:19], s[24:25], v[45:46]
	v_cmp_gt_i64_e64 s[20:21], v[4:5], v[43:44]
	s_and_b64 s[18:19], s[22:23], s[18:19]
	s_or_b64 s[20:21], s[8:9], s[20:21]
	s_or_b64 s[20:21], s[20:21], s[18:19]
	s_nor_b64 s[12:13], s[12:13], s[20:21]
	s_and_saveexec_b64 s[20:21], s[12:13]
	s_xor_b64 s[12:13], exec, s[20:21]
	s_cbranch_execz .LBB89_25
; %bb.24:                               ;   in Loop: Header=BB89_7 Depth=2
	global_load_dwordx2 v[2:3], v[2:3], off offset:128
	s_waitcnt vmcnt(0)
	ds_write_b64 v56, v[2:3] offset:4096
.LBB89_25:                              ;   in Loop: Header=BB89_7 Depth=2
	s_andn2_saveexec_b64 s[12:13], s[12:13]
	s_cbranch_execz .LBB89_31
; %bb.26:                               ;   in Loop: Header=BB89_7 Depth=2
	s_xor_b64 s[18:19], s[18:19], -1
	s_and_saveexec_b64 s[20:21], s[18:19]
	s_xor_b64 s[18:19], exec, s[20:21]
; %bb.27:                               ;   in Loop: Header=BB89_7 Depth=2
	v_mov_b32_e32 v2, v23
	v_mov_b32_e32 v3, v23
	ds_write_b64 v56, v[2:3] offset:4096
; %bb.28:                               ;   in Loop: Header=BB89_7 Depth=2
	s_andn2_saveexec_b64 s[18:19], s[18:19]
; %bb.29:                               ;   in Loop: Header=BB89_7 Depth=2
	ds_write_b64 v56, v[22:23] offset:4096
; %bb.30:                               ;   in Loop: Header=BB89_7 Depth=2
	s_or_b64 exec, exec, s[18:19]
.LBB89_31:                              ;   in Loop: Header=BB89_7 Depth=2
	s_or_b64 exec, exec, s[12:13]
	s_or_b64 s[10:11], s[8:9], s[10:11]
	s_or_b64 s[10:11], s[10:11], s[42:43]
	s_nor_b64 s[10:11], s[14:15], s[10:11]
	s_and_saveexec_b64 s[12:13], s[10:11]
	s_xor_b64 s[12:13], exec, s[12:13]
	s_cbranch_execz .LBB89_33
; %bb.32:                               ;   in Loop: Header=BB89_7 Depth=2
	s_waitcnt vmcnt(3)
	v_add_co_u32_e64 v2, s[10:11], v51, v41
	s_waitcnt vmcnt(2)
	v_addc_co_u32_e64 v3, s[10:11], v52, v42, s[10:11]
	global_load_dwordx2 v[2:3], v[2:3], off offset:128
	s_waitcnt vmcnt(0)
	ds_write_b64 v56, v[2:3] offset:4224
.LBB89_33:                              ;   in Loop: Header=BB89_7 Depth=2
	s_andn2_saveexec_b64 s[10:11], s[12:13]
	s_cbranch_execz .LBB89_39
; %bb.34:                               ;   in Loop: Header=BB89_7 Depth=2
	s_and_saveexec_b64 s[12:13], s[28:29]
	s_xor_b64 s[12:13], exec, s[12:13]
; %bb.35:                               ;   in Loop: Header=BB89_7 Depth=2
	v_mov_b32_e32 v2, v23
	v_mov_b32_e32 v3, v23
	ds_write_b64 v56, v[2:3] offset:4224
; %bb.36:                               ;   in Loop: Header=BB89_7 Depth=2
	s_andn2_saveexec_b64 s[12:13], s[12:13]
; %bb.37:                               ;   in Loop: Header=BB89_7 Depth=2
	ds_write_b64 v56, v[22:23] offset:4224
; %bb.38:                               ;   in Loop: Header=BB89_7 Depth=2
	s_or_b64 exec, exec, s[12:13]
.LBB89_39:                              ;   in Loop: Header=BB89_7 Depth=2
	s_or_b64 exec, exec, s[10:11]
	v_mov_b32_e32 v3, s25
	v_add_co_u32_e64 v2, s[10:11], s24, v1
	v_addc_co_u32_e64 v3, s[10:11], 0, v3, s[10:11]
	v_cmp_le_i64_e64 s[10:11], s[26:27], v[2:3]
	s_waitcnt vmcnt(1)
	v_add_co_u32_e64 v4, s[12:13], v53, v59
	s_waitcnt vmcnt(0)
	v_addc_co_u32_e64 v5, s[12:13], v54, v60, s[12:13]
	s_nor_b64 s[12:13], s[10:11], vcc
	s_and_saveexec_b64 s[14:15], s[12:13]
	s_xor_b64 s[12:13], exec, s[14:15]
	s_cbranch_execz .LBB89_41
; %bb.40:                               ;   in Loop: Header=BB89_7 Depth=2
	global_load_dwordx2 v[6:7], v[4:5], off offset:-128
	s_waitcnt vmcnt(0)
	ds_write_b64 v58, v[6:7]
.LBB89_41:                              ;   in Loop: Header=BB89_7 Depth=2
	s_andn2_saveexec_b64 s[12:13], s[12:13]
; %bb.42:                               ;   in Loop: Header=BB89_7 Depth=2
	v_mov_b32_e32 v6, v23
	v_mov_b32_e32 v7, v23
	ds_write_b64 v58, v[6:7]
; %bb.43:                               ;   in Loop: Header=BB89_7 Depth=2
	s_or_b64 exec, exec, s[12:13]
	s_nor_b64 s[10:11], s[10:11], s[0:1]
	s_and_saveexec_b64 s[12:13], s[10:11]
	s_xor_b64 s[10:11], exec, s[12:13]
	s_cbranch_execz .LBB89_45
; %bb.44:                               ;   in Loop: Header=BB89_7 Depth=2
	global_load_dwordx2 v[4:5], v[4:5], off
	s_waitcnt vmcnt(0)
	ds_write_b64 v58, v[4:5] offset:128
.LBB89_45:                              ;   in Loop: Header=BB89_7 Depth=2
	s_andn2_saveexec_b64 s[10:11], s[10:11]
; %bb.46:                               ;   in Loop: Header=BB89_7 Depth=2
	v_mov_b32_e32 v4, v23
	v_mov_b32_e32 v5, v23
	ds_write_b64 v58, v[4:5] offset:128
; %bb.47:                               ;   in Loop: Header=BB89_7 Depth=2
	s_or_b64 exec, exec, s[10:11]
	v_cmp_le_i64_e64 s[10:11], s[38:39], v[2:3]
	v_add_co_u32_e64 v2, s[12:13], v53, v32
	v_addc_co_u32_e64 v3, s[12:13], v54, v63, s[12:13]
	s_nor_b64 s[12:13], s[10:11], vcc
	s_and_saveexec_b64 s[14:15], s[12:13]
	s_xor_b64 s[12:13], exec, s[14:15]
	s_cbranch_execz .LBB89_49
; %bb.48:                               ;   in Loop: Header=BB89_7 Depth=2
	global_load_dwordx2 v[4:5], v[2:3], off
	s_waitcnt vmcnt(0)
	ds_write_b64 v58, v[4:5] offset:4096
.LBB89_49:                              ;   in Loop: Header=BB89_7 Depth=2
	s_andn2_saveexec_b64 s[12:13], s[12:13]
; %bb.50:                               ;   in Loop: Header=BB89_7 Depth=2
	v_mov_b32_e32 v4, v23
	v_mov_b32_e32 v5, v23
	ds_write_b64 v58, v[4:5] offset:4096
; %bb.51:                               ;   in Loop: Header=BB89_7 Depth=2
	s_or_b64 exec, exec, s[12:13]
	s_nor_b64 s[10:11], s[10:11], s[0:1]
	s_and_saveexec_b64 s[12:13], s[10:11]
	s_xor_b64 s[10:11], exec, s[12:13]
	s_cbranch_execz .LBB89_53
; %bb.52:                               ;   in Loop: Header=BB89_7 Depth=2
	global_load_dwordx2 v[2:3], v[2:3], off offset:128
	s_waitcnt vmcnt(0)
	ds_write_b64 v58, v[2:3] offset:4224
.LBB89_53:                              ;   in Loop: Header=BB89_7 Depth=2
	s_andn2_saveexec_b64 s[10:11], s[10:11]
	s_cbranch_execz .LBB89_6
; %bb.54:                               ;   in Loop: Header=BB89_7 Depth=2
	v_mov_b32_e32 v2, v23
	v_mov_b32_e32 v3, v23
	ds_write_b64 v58, v[2:3] offset:4224
	s_branch .LBB89_6
.LBB89_55:                              ;   in Loop: Header=BB89_4 Depth=1
	v_mul_lo_u32 v4, s41, v37
	v_mul_lo_u32 v5, s40, v38
	v_mad_u64_u32 v[2:3], s[8:9], s40, v37, 0
	v_cmp_gt_i32_e64 s[8:9], s30, v37
	v_add3_u32 v3, v3, v5, v4
	v_lshlrev_b64 v[2:3], 3, v[2:3]
	v_mov_b32_e32 v4, s48
	v_add_co_u32_e64 v2, s[10:11], s47, v2
	v_addc_co_u32_e64 v3, s[10:11], v4, v3, s[10:11]
	s_and_b64 s[10:11], s[2:3], s[8:9]
	s_and_saveexec_b64 s[12:13], s[10:11]
	s_cbranch_execz .LBB89_57
; %bb.56:                               ;   in Loop: Header=BB89_4 Depth=1
	v_add_co_u32_e64 v4, s[10:11], v2, v35
	v_addc_co_u32_e64 v5, s[10:11], v3, v36, s[10:11]
	global_load_dwordx2 v[6:7], v[4:5], off
	v_mul_f32_e32 v8, s33, v21
	v_mul_f32_e32 v9, s31, v21
	v_fma_f32 v8, v20, s31, -v8
	v_fmac_f32_e32 v9, s33, v20
	s_waitcnt vmcnt(0)
	v_add_f32_e32 v6, v6, v8
	v_add_f32_e32 v7, v9, v7
	global_store_dwordx2 v[4:5], v[6:7], off
.LBB89_57:                              ;   in Loop: Header=BB89_4 Depth=1
	s_or_b64 exec, exec, s[12:13]
	s_and_b64 s[8:9], s[4:5], s[8:9]
	s_and_saveexec_b64 s[10:11], s[8:9]
	s_cbranch_execz .LBB89_59
; %bb.58:                               ;   in Loop: Header=BB89_4 Depth=1
	buffer_load_dword v4, off, s[52:55], 0  ; 4-byte Folded Reload
	buffer_load_dword v5, off, s[52:55], 0 offset:4 ; 4-byte Folded Reload
	v_mul_f32_e32 v6, s33, v19
	v_mul_f32_e32 v7, s31, v19
	v_fma_f32 v6, v18, s31, -v6
	v_fmac_f32_e32 v7, s33, v18
	s_waitcnt vmcnt(1)
	v_add_co_u32_e64 v2, s[8:9], v2, v4
	s_waitcnt vmcnt(0)
	v_addc_co_u32_e64 v3, s[8:9], v3, v5, s[8:9]
	global_load_dwordx2 v[4:5], v[2:3], off
	s_waitcnt vmcnt(0)
	v_add_f32_e32 v4, v4, v6
	v_add_f32_e32 v5, v7, v5
	global_store_dwordx2 v[2:3], v[4:5], off
.LBB89_59:                              ;   in Loop: Header=BB89_4 Depth=1
	s_or_b64 exec, exec, s[10:11]
	v_add_u32_e32 v4, 16, v37
	v_ashrrev_i32_e32 v2, 31, v4
	v_mul_lo_u32 v5, s40, v2
	v_mul_lo_u32 v6, s41, v4
	v_mad_u64_u32 v[2:3], s[8:9], s40, v4, 0
	v_cmp_gt_i32_e64 s[8:9], s30, v4
	v_mov_b32_e32 v4, s48
	v_add3_u32 v3, v3, v5, v6
	v_lshlrev_b64 v[2:3], 3, v[2:3]
	v_add_co_u32_e64 v2, s[10:11], s47, v2
	v_addc_co_u32_e64 v3, s[10:11], v4, v3, s[10:11]
	s_and_b64 s[10:11], s[2:3], s[8:9]
	s_and_saveexec_b64 s[12:13], s[10:11]
	s_cbranch_execz .LBB89_61
; %bb.60:                               ;   in Loop: Header=BB89_4 Depth=1
	v_add_co_u32_e64 v4, s[10:11], v2, v35
	v_addc_co_u32_e64 v5, s[10:11], v3, v36, s[10:11]
	global_load_dwordx2 v[6:7], v[4:5], off
	v_mul_f32_e32 v8, s33, v17
	v_mul_f32_e32 v9, s31, v17
	v_fma_f32 v8, v16, s31, -v8
	v_fmac_f32_e32 v9, s33, v16
	s_waitcnt vmcnt(0)
	v_add_f32_e32 v6, v6, v8
	v_add_f32_e32 v7, v9, v7
	global_store_dwordx2 v[4:5], v[6:7], off
.LBB89_61:                              ;   in Loop: Header=BB89_4 Depth=1
	s_or_b64 exec, exec, s[12:13]
	s_and_b64 s[8:9], s[4:5], s[8:9]
	s_and_saveexec_b64 s[10:11], s[8:9]
	s_cbranch_execz .LBB89_3
; %bb.62:                               ;   in Loop: Header=BB89_4 Depth=1
	buffer_load_dword v4, off, s[52:55], 0  ; 4-byte Folded Reload
	buffer_load_dword v5, off, s[52:55], 0 offset:4 ; 4-byte Folded Reload
	v_mul_f32_e32 v6, s33, v14
	v_mul_f32_e32 v7, s31, v14
	v_fma_f32 v6, v15, s31, -v6
	v_fmac_f32_e32 v7, s33, v15
	s_waitcnt vmcnt(1)
	v_add_co_u32_e64 v2, s[8:9], v2, v4
	s_waitcnt vmcnt(0)
	v_addc_co_u32_e64 v3, s[8:9], v3, v5, s[8:9]
	global_load_dwordx2 v[4:5], v[2:3], off
	s_waitcnt vmcnt(0)
	v_add_f32_e32 v4, v4, v6
	v_add_f32_e32 v5, v7, v5
	global_store_dwordx2 v[2:3], v[4:5], off
	s_branch .LBB89_3
.LBB89_63:
	s_endpgm
	.section	.rodata,"a",@progbits
	.p2align	6, 0x0
	.amdhsa_kernel _ZL30rocblas_trmm_outofplace_kernelI19rocblas_complex_numIfELi32ELi2ELb0ELb0ELb1ELb0ES1_KS1_S1_Ev17rocblas_diagonal_iiT6_lPT7_lllS6_lllPT8_llli
		.amdhsa_group_segment_fixed_size 16384
		.amdhsa_private_segment_fixed_size 44
		.amdhsa_kernarg_size 392
		.amdhsa_user_sgpr_count 6
		.amdhsa_user_sgpr_private_segment_buffer 1
		.amdhsa_user_sgpr_dispatch_ptr 0
		.amdhsa_user_sgpr_queue_ptr 0
		.amdhsa_user_sgpr_kernarg_segment_ptr 1
		.amdhsa_user_sgpr_dispatch_id 0
		.amdhsa_user_sgpr_flat_scratch_init 0
		.amdhsa_user_sgpr_private_segment_size 0
		.amdhsa_uses_dynamic_stack 0
		.amdhsa_system_sgpr_private_segment_wavefront_offset 1
		.amdhsa_system_sgpr_workgroup_id_x 1
		.amdhsa_system_sgpr_workgroup_id_y 1
		.amdhsa_system_sgpr_workgroup_id_z 1
		.amdhsa_system_sgpr_workgroup_info 0
		.amdhsa_system_vgpr_workitem_id 1
		.amdhsa_next_free_vgpr 64
		.amdhsa_next_free_sgpr 61
		.amdhsa_reserve_vcc 1
		.amdhsa_reserve_flat_scratch 0
		.amdhsa_float_round_mode_32 0
		.amdhsa_float_round_mode_16_64 0
		.amdhsa_float_denorm_mode_32 3
		.amdhsa_float_denorm_mode_16_64 3
		.amdhsa_dx10_clamp 1
		.amdhsa_ieee_mode 1
		.amdhsa_fp16_overflow 0
		.amdhsa_exception_fp_ieee_invalid_op 0
		.amdhsa_exception_fp_denorm_src 0
		.amdhsa_exception_fp_ieee_div_zero 0
		.amdhsa_exception_fp_ieee_overflow 0
		.amdhsa_exception_fp_ieee_underflow 0
		.amdhsa_exception_fp_ieee_inexact 0
		.amdhsa_exception_int_div_zero 0
	.end_amdhsa_kernel
	.section	.text._ZL30rocblas_trmm_outofplace_kernelI19rocblas_complex_numIfELi32ELi2ELb0ELb0ELb1ELb0ES1_KS1_S1_Ev17rocblas_diagonal_iiT6_lPT7_lllS6_lllPT8_llli,"axG",@progbits,_ZL30rocblas_trmm_outofplace_kernelI19rocblas_complex_numIfELi32ELi2ELb0ELb0ELb1ELb0ES1_KS1_S1_Ev17rocblas_diagonal_iiT6_lPT7_lllS6_lllPT8_llli,comdat
.Lfunc_end89:
	.size	_ZL30rocblas_trmm_outofplace_kernelI19rocblas_complex_numIfELi32ELi2ELb0ELb0ELb1ELb0ES1_KS1_S1_Ev17rocblas_diagonal_iiT6_lPT7_lllS6_lllPT8_llli, .Lfunc_end89-_ZL30rocblas_trmm_outofplace_kernelI19rocblas_complex_numIfELi32ELi2ELb0ELb0ELb1ELb0ES1_KS1_S1_Ev17rocblas_diagonal_iiT6_lPT7_lllS6_lllPT8_llli
                                        ; -- End function
	.set _ZL30rocblas_trmm_outofplace_kernelI19rocblas_complex_numIfELi32ELi2ELb0ELb0ELb1ELb0ES1_KS1_S1_Ev17rocblas_diagonal_iiT6_lPT7_lllS6_lllPT8_llli.num_vgpr, 64
	.set _ZL30rocblas_trmm_outofplace_kernelI19rocblas_complex_numIfELi32ELi2ELb0ELb0ELb1ELb0ES1_KS1_S1_Ev17rocblas_diagonal_iiT6_lPT7_lllS6_lllPT8_llli.num_agpr, 0
	.set _ZL30rocblas_trmm_outofplace_kernelI19rocblas_complex_numIfELi32ELi2ELb0ELb0ELb1ELb0ES1_KS1_S1_Ev17rocblas_diagonal_iiT6_lPT7_lllS6_lllPT8_llli.numbered_sgpr, 56
	.set _ZL30rocblas_trmm_outofplace_kernelI19rocblas_complex_numIfELi32ELi2ELb0ELb0ELb1ELb0ES1_KS1_S1_Ev17rocblas_diagonal_iiT6_lPT7_lllS6_lllPT8_llli.num_named_barrier, 0
	.set _ZL30rocblas_trmm_outofplace_kernelI19rocblas_complex_numIfELi32ELi2ELb0ELb0ELb1ELb0ES1_KS1_S1_Ev17rocblas_diagonal_iiT6_lPT7_lllS6_lllPT8_llli.private_seg_size, 44
	.set _ZL30rocblas_trmm_outofplace_kernelI19rocblas_complex_numIfELi32ELi2ELb0ELb0ELb1ELb0ES1_KS1_S1_Ev17rocblas_diagonal_iiT6_lPT7_lllS6_lllPT8_llli.uses_vcc, 1
	.set _ZL30rocblas_trmm_outofplace_kernelI19rocblas_complex_numIfELi32ELi2ELb0ELb0ELb1ELb0ES1_KS1_S1_Ev17rocblas_diagonal_iiT6_lPT7_lllS6_lllPT8_llli.uses_flat_scratch, 0
	.set _ZL30rocblas_trmm_outofplace_kernelI19rocblas_complex_numIfELi32ELi2ELb0ELb0ELb1ELb0ES1_KS1_S1_Ev17rocblas_diagonal_iiT6_lPT7_lllS6_lllPT8_llli.has_dyn_sized_stack, 0
	.set _ZL30rocblas_trmm_outofplace_kernelI19rocblas_complex_numIfELi32ELi2ELb0ELb0ELb1ELb0ES1_KS1_S1_Ev17rocblas_diagonal_iiT6_lPT7_lllS6_lllPT8_llli.has_recursion, 0
	.set _ZL30rocblas_trmm_outofplace_kernelI19rocblas_complex_numIfELi32ELi2ELb0ELb0ELb1ELb0ES1_KS1_S1_Ev17rocblas_diagonal_iiT6_lPT7_lllS6_lllPT8_llli.has_indirect_call, 0
	.section	.AMDGPU.csdata,"",@progbits
; Kernel info:
; codeLenInByte = 6796
; TotalNumSgprs: 60
; NumVgprs: 64
; ScratchSize: 44
; MemoryBound: 1
; FloatMode: 240
; IeeeMode: 1
; LDSByteSize: 16384 bytes/workgroup (compile time only)
; SGPRBlocks: 8
; VGPRBlocks: 15
; NumSGPRsForWavesPerEU: 65
; NumVGPRsForWavesPerEU: 64
; Occupancy: 4
; WaveLimiterHint : 0
; COMPUTE_PGM_RSRC2:SCRATCH_EN: 1
; COMPUTE_PGM_RSRC2:USER_SGPR: 6
; COMPUTE_PGM_RSRC2:TRAP_HANDLER: 0
; COMPUTE_PGM_RSRC2:TGID_X_EN: 1
; COMPUTE_PGM_RSRC2:TGID_Y_EN: 1
; COMPUTE_PGM_RSRC2:TGID_Z_EN: 1
; COMPUTE_PGM_RSRC2:TIDIG_COMP_CNT: 1
	.section	.text._ZL30rocblas_trmm_outofplace_kernelI19rocblas_complex_numIfELi32ELi2ELb0ELb1ELb1ELb0EPKS1_S2_S1_Ev17rocblas_diagonal_iiT6_lPT7_lllS7_lllPT8_llli,"axG",@progbits,_ZL30rocblas_trmm_outofplace_kernelI19rocblas_complex_numIfELi32ELi2ELb0ELb1ELb1ELb0EPKS1_S2_S1_Ev17rocblas_diagonal_iiT6_lPT7_lllS7_lllPT8_llli,comdat
	.globl	_ZL30rocblas_trmm_outofplace_kernelI19rocblas_complex_numIfELi32ELi2ELb0ELb1ELb1ELb0EPKS1_S2_S1_Ev17rocblas_diagonal_iiT6_lPT7_lllS7_lllPT8_llli ; -- Begin function _ZL30rocblas_trmm_outofplace_kernelI19rocblas_complex_numIfELi32ELi2ELb0ELb1ELb1ELb0EPKS1_S2_S1_Ev17rocblas_diagonal_iiT6_lPT7_lllS7_lllPT8_llli
	.p2align	8
	.type	_ZL30rocblas_trmm_outofplace_kernelI19rocblas_complex_numIfELi32ELi2ELb0ELb1ELb1ELb0EPKS1_S2_S1_Ev17rocblas_diagonal_iiT6_lPT7_lllS7_lllPT8_llli,@function
_ZL30rocblas_trmm_outofplace_kernelI19rocblas_complex_numIfELi32ELi2ELb0ELb1ELb1ELb0EPKS1_S2_S1_Ev17rocblas_diagonal_iiT6_lPT7_lllS7_lllPT8_llli: ; @_ZL30rocblas_trmm_outofplace_kernelI19rocblas_complex_numIfELi32ELi2ELb0ELb1ELb1ELb0EPKS1_S2_S1_Ev17rocblas_diagonal_iiT6_lPT7_lllS7_lllPT8_llli
; %bb.0:
	s_load_dwordx16 s[16:31], s[4:5], 0x10
	s_mov_b64 s[70:71], s[2:3]
	s_mov_b64 s[68:69], s[0:1]
	s_add_u32 s68, s68, s9
	s_addc_u32 s69, s69, 0
	s_waitcnt lgkmcnt(0)
	s_mul_i32 s0, s19, s8
	s_mul_hi_u32 s1, s18, s8
	s_add_i32 s1, s1, s0
	s_mul_i32 s0, s18, s8
	s_lshl_b64 s[0:1], s[0:1], 3
	s_add_u32 s0, s16, s0
	s_addc_u32 s1, s17, s1
	s_load_dwordx2 s[34:35], s[0:1], 0x0
	s_waitcnt lgkmcnt(0)
	s_or_b32 s0, s34, s35
	s_bitset0_b32 s0, 31
	s_cmp_eq_u32 s0, 0
	s_cbranch_scc1 .LBB90_64
; %bb.1:
	s_load_dwordx4 s[44:47], s[4:5], 0x0
	s_waitcnt lgkmcnt(0)
	s_add_i32 s0, s46, -1
	s_ashr_i32 s1, s0, 31
	s_lshr_b32 s1, s1, 27
	s_add_i32 s0, s0, s1
	s_ashr_i32 s33, s0, 5
	s_cmp_gt_i32 s7, s33
	s_cbranch_scc1 .LBB90_64
; %bb.2:
	s_load_dwordx4 s[48:51], s[4:5], 0x70
	s_load_dwordx8 s[36:43], s[4:5], 0x50
	s_load_dword s60, s[4:5], 0x8c
	v_lshl_add_u32 v2, s6, 5, v0
	v_ashrrev_i32_e32 v3, 31, v2
	s_waitcnt lgkmcnt(0)
	s_mul_i32 s1, s51, s8
	s_mul_hi_u32 s2, s50, s8
	s_mul_i32 s0, s50, s8
	s_add_i32 s1, s2, s1
	s_lshl_b64 s[0:1], s[0:1], 3
	s_add_u32 s2, s40, s0
	s_addc_u32 s3, s41, s1
	s_lshl_b64 s[0:1], s[42:43], 3
	s_add_u32 s61, s2, s0
	s_addc_u32 s62, s3, s1
	s_cmpk_eq_i32 s44, 0x84
	s_cselect_b64 s[40:41], -1, 0
	s_ashr_i32 s47, s46, 31
	s_ashr_i32 s0, s45, 31
	s_lshl_b64 s[42:43], s[24:25], 8
	s_lshl_b64 s[50:51], s[36:37], 8
	v_mov_b32_e32 v5, s0
	v_sub_co_u32_e32 v4, vcc, s45, v2
	s_add_u32 s52, s46, -16
	v_subb_co_u32_e32 v5, vcc, v5, v3, vcc
	s_addc_u32 s53, s47, -1
	s_lshl_b32 s9, s7, 5
	s_lshl_b32 s6, s60, 5
	v_cmp_gt_i64_e64 s[0:1], 1, v[4:5]
	v_cmp_gt_i64_e64 s[2:3], 17, v[4:5]
	v_add_u32_e32 v4, 16, v2
	v_add_u32_e32 v24, s9, v0
	;; [unrolled: 1-line block ×3, first 2 shown]
	s_add_u32 s44, s28, 0x80
	s_mul_i32 s9, s39, s8
	s_mul_hi_u32 s10, s38, s8
	v_cmp_gt_i32_e64 s[4:5], s45, v2
	v_cmp_gt_i32_e64 s[16:17], s45, v4
	s_addc_u32 s45, s29, 0
	s_add_i32 s11, s10, s9
	s_mul_i32 s10, s38, s8
	v_ashrrev_i32_e32 v5, 31, v4
	s_lshl_b64 s[54:55], s[36:37], 3
	s_lshl_b64 s[10:11], s[10:11], 3
	;; [unrolled: 1-line block ×3, first 2 shown]
	v_lshlrev_b64 v[2:3], 3, v[2:3]
	buffer_store_dword v4, off, s[68:71], 0 offset:8 ; 4-byte Folded Spill
	s_nop 0
	buffer_store_dword v5, off, s[68:71], 0 offset:12 ; 4-byte Folded Spill
	s_add_u32 s9, s10, s12
	v_add_co_u32_e32 v4, vcc, s9, v2
	buffer_store_dword v2, off, s[68:71], 0 offset:16 ; 4-byte Folded Spill
	s_nop 0
	buffer_store_dword v3, off, s[68:71], 0 offset:20 ; 4-byte Folded Spill
	s_addc_u32 s10, s11, s13
	v_lshlrev_b32_e32 v6, 3, v0
	v_mov_b32_e32 v0, s10
	s_mul_i32 s9, s27, s8
	s_mul_hi_u32 s10, s26, s8
	s_add_i32 s9, s10, s9
	s_mul_i32 s8, s26, s8
	s_lshl_b64 s[8:9], s[8:9], 3
	s_lshl_b64 s[10:11], s[22:23], 3
	s_add_u32 s8, s8, s10
	s_addc_u32 s9, s9, s11
	v_lshlrev_b32_e32 v56, 8, v1
	v_or_b32_e32 v58, 0x2000, v6
	s_add_u32 s22, s20, s8
	v_add_u32_e32 v57, v56, v6
	v_add_u32_e32 v59, v58, v56
	s_addc_u32 s23, s21, s9
	s_lshl_b64 s[26:27], s[24:25], 3
	s_movk_i32 s63, 0x80
	v_mov_b32_e32 v33, 0
	v_mov_b32_e32 v32, 1.0
	v_addc_co_u32_e32 v5, vcc, v0, v3, vcc
	buffer_store_dword v4, off, s[68:71], 0 offset:24 ; 4-byte Folded Spill
	s_nop 0
	buffer_store_dword v5, off, s[68:71], 0 offset:28 ; 4-byte Folded Spill
	s_branch .LBB90_4
.LBB90_3:                               ;   in Loop: Header=BB90_4 Depth=1
	s_or_b64 exec, exec, s[8:9]
	s_add_i32 s7, s60, s7
	v_add_u32_e32 v24, s6, v24
	s_cmp_le_i32 s7, s33
	v_add_u32_e32 v26, s6, v26
	s_cbranch_scc0 .LBB90_64
.LBB90_4:                               ; =>This Loop Header: Depth=1
                                        ;     Child Loop BB90_7 Depth 2
	s_lshl_b32 s8, s7, 5
	v_add_u32_e32 v34, s8, v1
	s_sub_i32 s64, s46, s8
	v_ashrrev_i32_e32 v25, 31, v24
	v_ashrrev_i32_e32 v27, 31, v26
	s_cmp_lt_i32 s64, 1
	v_ashrrev_i32_e32 v35, 31, v34
	s_cbranch_scc1 .LBB90_55
; %bb.5:                                ;   in Loop: Header=BB90_4 Depth=1
	v_mov_b32_e32 v2, s44
	v_mov_b32_e32 v3, s45
	v_sub_co_u32_e32 v36, vcc, v26, v24
	v_mad_u64_u32 v[38:39], s[8:9], s54, v26, v[2:3]
	v_lshlrev_b64 v[2:3], 3, v[24:25]
	v_subb_co_u32_e32 v37, vcc, v27, v25, vcc
	v_add_co_u32_e32 v5, vcc, 0x80, v2
	v_lshlrev_b64 v[40:41], 3, v[26:27]
	v_addc_co_u32_e32 v2, vcc, 0, v3, vcc
	v_mul_lo_u32 v6, s24, v2
	v_mov_b32_e32 v2, s22
	v_mov_b32_e32 v3, s23
	v_add_co_u32_e32 v9, vcc, s63, v40
	v_mad_u64_u32 v[42:43], s[8:9], s24, v5, v[2:3]
	v_mad_u64_u32 v[44:45], s[8:9], s26, v24, v[2:3]
	v_addc_co_u32_e32 v2, vcc, 0, v41, vcc
	v_mul_lo_u32 v10, s36, v2
	v_mov_b32_e32 v2, s28
	v_mov_b32_e32 v3, s29
	v_mad_u64_u32 v[46:47], s[8:9], s36, v9, v[2:3]
	v_mul_lo_u32 v2, s37, v9
	v_mul_lo_u32 v0, s54, v27
	;; [unrolled: 1-line block ×4, first 2 shown]
	v_add3_u32 v47, v2, v47, v10
	v_add_co_u32_e64 v2, s[10:11], 16, v36
	v_addc_co_u32_e64 v3, s[10:11], 0, v37, s[10:11]
	buffer_store_dword v2, off, s[68:71], 0 ; 4-byte Folded Spill
	s_nop 0
	buffer_store_dword v3, off, s[68:71], 0 offset:4 ; 4-byte Folded Spill
	buffer_load_dword v54, off, s[68:71], 0 offset:24 ; 4-byte Folded Reload
	buffer_load_dword v55, off, s[68:71], 0 offset:28 ; 4-byte Folded Reload
	v_mul_lo_u32 v5, s26, v25
	v_mul_lo_u32 v8, s27, v24
	v_add_co_u32_e64 v48, s[8:9], 16, v34
	v_addc_co_u32_e64 v49, s[8:9], 0, v35, s[8:9]
	v_cmp_le_i64_e64 s[8:9], s[46:47], v[48:49]
	v_add_co_u32_e64 v52, s[10:11], -16, v36
	v_add3_u32 v39, v4, v39, v0
	v_add3_u32 v43, v7, v43, v6
	;; [unrolled: 1-line block ×3, first 2 shown]
	v_cmp_le_i32_e32 vcc, s46, v34
	v_addc_co_u32_e64 v53, s[10:11], -1, v37, s[10:11]
	v_mov_b32_e32 v0, 0
	s_mov_b64 s[30:31], 0
	v_mov_b32_e32 v14, 0
	v_mov_b32_e32 v16, 0
	;; [unrolled: 1-line block ×7, first 2 shown]
	s_branch .LBB90_7
.LBB90_6:                               ;   in Loop: Header=BB90_7 Depth=2
	s_or_b64 exec, exec, s[10:11]
	s_waitcnt lgkmcnt(0)
	s_barrier
	ds_read_b128 v[60:63], v56
	ds_read_b128 v[10:13], v56 offset:16
	ds_read_b128 v[6:9], v56 offset:32
	;; [unrolled: 1-line block ×3, first 2 shown]
	ds_read2_b64 v[28:31], v58 offset1:16
	v_add_co_u32_e64 v54, s[10:11], s50, v54
	s_add_u32 s30, s30, 32
	s_addc_u32 s31, s31, 0
	s_waitcnt lgkmcnt(0)
	v_mul_f32_e32 v21, v61, v29
	v_mul_f32_e32 v22, v60, v29
	v_fma_f32 v21, v60, v28, -v21
	v_fmac_f32_e32 v22, v61, v28
	v_add_f32_e32 v21, v19, v21
	v_add_f32_e32 v22, v20, v22
	v_mul_f32_e32 v19, v61, v31
	v_mul_f32_e32 v20, v60, v31
	v_fma_f32 v19, v60, v30, -v19
	v_fmac_f32_e32 v20, v61, v30
	v_add_f32_e32 v23, v17, v19
	v_add_f32_e32 v60, v18, v20
	ds_read_b128 v[17:20], v56 offset:4096
	s_cmp_ge_i32 s30, s64
	s_waitcnt lgkmcnt(0)
	v_mul_f32_e32 v61, v18, v29
	v_mul_f32_e32 v29, v17, v29
	v_fma_f32 v61, v17, v28, -v61
	v_fmac_f32_e32 v29, v18, v28
	v_add_f32_e32 v28, v15, v61
	v_add_f32_e32 v29, v16, v29
	v_mul_f32_e32 v15, v18, v31
	v_mul_f32_e32 v16, v17, v31
	v_fma_f32 v15, v17, v30, -v15
	v_fmac_f32_e32 v16, v18, v30
	v_add_f32_e32 v18, v14, v15
	v_add_f32_e32 v0, v0, v16
	ds_read2_b64 v[14:17], v58 offset0:32 offset1:48
	s_waitcnt lgkmcnt(0)
	v_mul_f32_e32 v30, v63, v15
	v_fma_f32 v30, v62, v14, -v30
	v_add_f32_e32 v21, v21, v30
	v_mul_f32_e32 v30, v63, v17
	v_mul_f32_e32 v31, v62, v15
	v_fma_f32 v30, v62, v16, -v30
	v_fmac_f32_e32 v31, v63, v14
	v_add_f32_e32 v23, v23, v30
	v_mul_f32_e32 v30, v20, v15
	v_mul_f32_e32 v15, v19, v15
	v_add_f32_e32 v22, v22, v31
	v_mul_f32_e32 v31, v62, v17
	v_fmac_f32_e32 v15, v20, v14
	v_fmac_f32_e32 v31, v63, v16
	v_fma_f32 v30, v19, v14, -v30
	v_add_f32_e32 v63, v29, v15
	v_mul_f32_e32 v14, v20, v17
	v_mul_f32_e32 v15, v19, v17
	v_fma_f32 v14, v19, v16, -v14
	v_fmac_f32_e32 v15, v20, v16
	v_add_f32_e32 v50, v60, v31
	v_add_f32_e32 v62, v28, v30
	;; [unrolled: 1-line block ×4, first 2 shown]
	ds_read2_b64 v[14:17], v58 offset0:64 offset1:80
	s_waitcnt lgkmcnt(0)
	v_mul_f32_e32 v0, v11, v15
	v_mul_f32_e32 v18, v10, v15
	v_fma_f32 v0, v10, v14, -v0
	v_fmac_f32_e32 v18, v11, v14
	v_add_f32_e32 v60, v21, v0
	v_add_f32_e32 v61, v22, v18
	ds_read_b128 v[18:21], v56 offset:4112
	v_mul_f32_e32 v0, v11, v17
	v_fma_f32 v0, v10, v16, -v0
	v_mul_f32_e32 v10, v10, v17
	v_fmac_f32_e32 v10, v11, v16
	s_waitcnt lgkmcnt(0)
	v_mul_f32_e32 v11, v19, v15
	v_mul_f32_e32 v15, v18, v15
	v_fmac_f32_e32 v15, v19, v14
	v_fma_f32 v11, v18, v14, -v11
	v_add_f32_e32 v22, v63, v15
	v_mul_f32_e32 v14, v19, v17
	v_mul_f32_e32 v15, v18, v17
	v_fma_f32 v14, v18, v16, -v14
	v_fmac_f32_e32 v15, v19, v16
	v_add_f32_e32 v18, v30, v14
	v_add_f32_e32 v19, v31, v15
	ds_read2_b64 v[14:17], v58 offset0:96 offset1:112
	v_add_f32_e32 v0, v23, v0
	v_add_f32_e32 v10, v50, v10
	;; [unrolled: 1-line block ×3, first 2 shown]
	s_waitcnt lgkmcnt(0)
	v_mul_f32_e32 v23, v13, v15
	v_mul_f32_e32 v29, v13, v17
	v_fma_f32 v23, v12, v14, -v23
	v_mul_f32_e32 v28, v12, v15
	v_fma_f32 v29, v12, v16, -v29
	v_mul_f32_e32 v12, v12, v17
	v_fmac_f32_e32 v12, v13, v16
	v_add_f32_e32 v0, v0, v29
	v_add_f32_e32 v29, v10, v12
	v_mul_f32_e32 v10, v21, v15
	v_fma_f32 v10, v20, v14, -v10
	v_mul_f32_e32 v12, v20, v15
	v_fmac_f32_e32 v28, v13, v14
	v_fmac_f32_e32 v12, v21, v14
	v_add_f32_e32 v14, v11, v10
	v_mul_f32_e32 v10, v21, v17
	v_mul_f32_e32 v11, v20, v17
	v_fma_f32 v10, v20, v16, -v10
	v_fmac_f32_e32 v11, v21, v16
	v_add_f32_e32 v15, v22, v12
	v_add_f32_e32 v20, v18, v10
	;; [unrolled: 1-line block ×3, first 2 shown]
	ds_read2_b64 v[10:13], v58 offset0:128 offset1:144
	v_add_f32_e32 v23, v60, v23
	v_add_f32_e32 v28, v61, v28
	s_waitcnt lgkmcnt(0)
	v_mul_f32_e32 v16, v7, v11
	v_fma_f32 v16, v6, v10, -v16
	v_mul_f32_e32 v17, v6, v11
	v_add_f32_e32 v22, v23, v16
	v_mul_f32_e32 v16, v7, v13
	v_fmac_f32_e32 v17, v7, v10
	v_fma_f32 v16, v6, v12, -v16
	v_add_f32_e32 v23, v28, v17
	v_add_f32_e32 v0, v0, v16
	ds_read_b128 v[16:19], v56 offset:4128
	v_mul_f32_e32 v6, v6, v13
	v_fmac_f32_e32 v6, v7, v12
	v_add_f32_e32 v6, v29, v6
	s_waitcnt lgkmcnt(0)
	v_mul_f32_e32 v7, v17, v11
	v_mul_f32_e32 v11, v16, v11
	v_fma_f32 v7, v16, v10, -v7
	v_fmac_f32_e32 v11, v17, v10
	v_add_f32_e32 v7, v14, v7
	v_add_f32_e32 v14, v15, v11
	v_mul_f32_e32 v10, v17, v13
	v_mul_f32_e32 v11, v16, v13
	v_fma_f32 v10, v16, v12, -v10
	v_fmac_f32_e32 v11, v17, v12
	v_add_f32_e32 v15, v20, v10
	v_add_f32_e32 v20, v21, v11
	ds_read2_b64 v[10:13], v58 offset0:160 offset1:176
	s_waitcnt lgkmcnt(0)
	v_mul_f32_e32 v16, v9, v11
	v_fma_f32 v16, v8, v10, -v16
	v_add_f32_e32 v21, v22, v16
	v_mul_f32_e32 v16, v9, v13
	v_mul_f32_e32 v17, v8, v11
	v_fma_f32 v16, v8, v12, -v16
	v_mul_f32_e32 v8, v8, v13
	v_fmac_f32_e32 v17, v9, v10
	v_fmac_f32_e32 v8, v9, v12
	v_add_f32_e32 v22, v23, v17
	v_add_f32_e32 v23, v6, v8
	v_mul_f32_e32 v6, v19, v11
	v_fma_f32 v6, v18, v10, -v6
	v_add_f32_e32 v0, v0, v16
	v_mul_f32_e32 v8, v18, v11
	v_add_f32_e32 v16, v7, v6
	v_mul_f32_e32 v6, v19, v13
	v_mul_f32_e32 v7, v18, v13
	v_fmac_f32_e32 v8, v19, v10
	v_fma_f32 v6, v18, v12, -v6
	v_fmac_f32_e32 v7, v19, v12
	v_add_f32_e32 v17, v14, v8
	v_add_f32_e32 v18, v15, v6
	;; [unrolled: 1-line block ×3, first 2 shown]
	ds_read2_b64 v[6:9], v58 offset0:192 offset1:208
	s_waitcnt lgkmcnt(0)
	v_mul_f32_e32 v10, v3, v7
	v_fma_f32 v10, v2, v6, -v10
	v_mul_f32_e32 v11, v2, v7
	v_add_f32_e32 v14, v21, v10
	v_mul_f32_e32 v10, v3, v9
	v_fmac_f32_e32 v11, v3, v6
	v_fma_f32 v10, v2, v8, -v10
	v_add_f32_e32 v15, v22, v11
	v_add_f32_e32 v0, v0, v10
	ds_read_b128 v[10:13], v56 offset:4144
	v_mul_f32_e32 v2, v2, v9
	v_fmac_f32_e32 v2, v3, v8
	v_add_f32_e32 v2, v23, v2
	s_waitcnt lgkmcnt(0)
	v_mul_f32_e32 v3, v11, v7
	v_mul_f32_e32 v7, v10, v7
	v_fma_f32 v3, v10, v6, -v3
	v_fmac_f32_e32 v7, v11, v6
	v_add_f32_e32 v3, v16, v3
	v_add_f32_e32 v16, v17, v7
	v_mul_f32_e32 v6, v11, v9
	v_mul_f32_e32 v7, v10, v9
	v_fma_f32 v6, v10, v8, -v6
	v_fmac_f32_e32 v7, v11, v8
	v_add_f32_e32 v10, v18, v6
	v_add_f32_e32 v11, v19, v7
	ds_read2_b64 v[6:9], v58 offset0:224 offset1:240
	s_waitcnt lgkmcnt(0)
	v_mul_f32_e32 v17, v5, v7
	v_fma_f32 v17, v4, v6, -v17
	v_add_f32_e32 v14, v14, v17
	v_mul_f32_e32 v17, v5, v9
	v_mul_f32_e32 v18, v4, v7
	v_fma_f32 v17, v4, v8, -v17
	v_mul_f32_e32 v4, v4, v9
	v_fmac_f32_e32 v18, v5, v6
	v_fmac_f32_e32 v4, v5, v8
	v_add_f32_e32 v17, v0, v17
	v_mul_f32_e32 v0, v13, v7
	v_add_f32_e32 v15, v15, v18
	v_add_f32_e32 v18, v2, v4
	v_fma_f32 v0, v12, v6, -v0
	v_mul_f32_e32 v2, v12, v7
	v_fmac_f32_e32 v2, v13, v6
	v_add_f32_e32 v19, v3, v0
	v_mul_f32_e32 v0, v13, v9
	v_add_f32_e32 v20, v16, v2
	v_fma_f32 v0, v12, v8, -v0
	v_mul_f32_e32 v2, v12, v9
	v_fmac_f32_e32 v2, v13, v8
	v_add_f32_e32 v10, v10, v0
	v_add_u32_e32 v0, 0x800, v58
	v_add_f32_e32 v11, v11, v2
	ds_read_b128 v[2:5], v56 offset:64
	ds_read2_b64 v[6:9], v0 offset1:16
	s_waitcnt lgkmcnt(0)
	v_mul_f32_e32 v12, v3, v7
	v_fma_f32 v12, v2, v6, -v12
	v_mul_f32_e32 v13, v2, v7
	v_add_f32_e32 v12, v14, v12
	v_mul_f32_e32 v14, v3, v9
	v_fmac_f32_e32 v13, v3, v6
	v_fma_f32 v14, v2, v8, -v14
	v_mul_f32_e32 v2, v2, v9
	v_add_f32_e32 v13, v15, v13
	v_fmac_f32_e32 v2, v3, v8
	v_add_f32_e32 v3, v17, v14
	ds_read_b128 v[14:17], v56 offset:4160
	v_add_f32_e32 v2, v18, v2
	s_waitcnt lgkmcnt(0)
	v_mul_f32_e32 v18, v15, v7
	v_mul_f32_e32 v7, v14, v7
	v_fma_f32 v18, v14, v6, -v18
	v_fmac_f32_e32 v7, v15, v6
	v_add_f32_e32 v18, v19, v18
	v_add_f32_e32 v19, v20, v7
	v_mul_f32_e32 v6, v15, v9
	v_mul_f32_e32 v7, v14, v9
	v_fma_f32 v6, v14, v8, -v6
	v_fmac_f32_e32 v7, v15, v8
	v_add_f32_e32 v20, v10, v6
	v_add_f32_e32 v21, v11, v7
	ds_read2_b64 v[6:9], v0 offset0:32 offset1:48
	s_waitcnt lgkmcnt(0)
	v_mul_f32_e32 v10, v5, v7
	v_fma_f32 v10, v4, v6, -v10
	v_add_f32_e32 v10, v12, v10
	v_mul_f32_e32 v12, v5, v9
	v_mul_f32_e32 v11, v4, v7
	v_fma_f32 v12, v4, v8, -v12
	v_mul_f32_e32 v4, v4, v9
	v_fmac_f32_e32 v11, v5, v6
	v_fmac_f32_e32 v4, v5, v8
	v_add_f32_e32 v11, v13, v11
	v_add_f32_e32 v12, v3, v12
	;; [unrolled: 1-line block ×3, first 2 shown]
	v_mul_f32_e32 v2, v17, v7
	v_mul_f32_e32 v3, v16, v7
	v_fma_f32 v2, v16, v6, -v2
	v_fmac_f32_e32 v3, v17, v6
	v_add_f32_e32 v14, v18, v2
	v_add_f32_e32 v15, v19, v3
	v_mul_f32_e32 v2, v17, v9
	v_mul_f32_e32 v3, v16, v9
	v_fma_f32 v2, v16, v8, -v2
	v_fmac_f32_e32 v3, v17, v8
	v_add_f32_e32 v16, v20, v2
	v_add_f32_e32 v17, v21, v3
	ds_read_b128 v[2:5], v56 offset:80
	ds_read2_b64 v[6:9], v0 offset0:64 offset1:80
	s_waitcnt lgkmcnt(0)
	v_mul_f32_e32 v18, v3, v7
	v_mul_f32_e32 v19, v2, v7
	v_fma_f32 v18, v2, v6, -v18
	v_fmac_f32_e32 v19, v3, v6
	v_add_f32_e32 v18, v10, v18
	v_add_f32_e32 v19, v11, v19
	v_mul_f32_e32 v10, v3, v9
	v_mul_f32_e32 v11, v2, v9
	v_fma_f32 v10, v2, v8, -v10
	v_fmac_f32_e32 v11, v3, v8
	v_add_f32_e32 v2, v12, v10
	v_add_f32_e32 v3, v13, v11
	ds_read_b128 v[10:13], v56 offset:4176
	s_waitcnt lgkmcnt(0)
	v_mul_f32_e32 v20, v11, v7
	v_mul_f32_e32 v7, v10, v7
	v_fmac_f32_e32 v7, v11, v6
	v_fma_f32 v20, v10, v6, -v20
	v_add_f32_e32 v15, v15, v7
	v_mul_f32_e32 v6, v11, v9
	v_mul_f32_e32 v7, v10, v9
	v_fma_f32 v6, v10, v8, -v6
	v_fmac_f32_e32 v7, v11, v8
	v_add_f32_e32 v10, v16, v6
	v_add_f32_e32 v11, v17, v7
	ds_read2_b64 v[6:9], v0 offset0:96 offset1:112
	v_add_f32_e32 v14, v14, v20
	s_waitcnt lgkmcnt(0)
	v_mul_f32_e32 v16, v5, v7
	v_fma_f32 v16, v4, v6, -v16
	v_add_f32_e32 v16, v18, v16
	v_mul_f32_e32 v18, v5, v9
	v_mul_f32_e32 v17, v4, v7
	v_fma_f32 v18, v4, v8, -v18
	v_mul_f32_e32 v4, v4, v9
	v_fmac_f32_e32 v17, v5, v6
	v_fmac_f32_e32 v4, v5, v8
	v_add_f32_e32 v17, v19, v17
	v_add_f32_e32 v18, v2, v18
	;; [unrolled: 1-line block ×3, first 2 shown]
	v_mul_f32_e32 v2, v13, v7
	v_mul_f32_e32 v3, v12, v7
	v_fma_f32 v2, v12, v6, -v2
	v_fmac_f32_e32 v3, v13, v6
	v_add_f32_e32 v20, v14, v2
	v_add_f32_e32 v21, v15, v3
	v_mul_f32_e32 v2, v13, v9
	v_mul_f32_e32 v3, v12, v9
	v_fma_f32 v2, v12, v8, -v2
	v_fmac_f32_e32 v3, v13, v8
	v_add_f32_e32 v10, v10, v2
	v_add_f32_e32 v11, v11, v3
	ds_read_b128 v[2:5], v56 offset:96
	ds_read2_b64 v[6:9], v0 offset0:128 offset1:144
	s_waitcnt lgkmcnt(0)
	v_mul_f32_e32 v12, v3, v7
	v_mul_f32_e32 v13, v2, v7
	;; [unrolled: 1-line block ×3, first 2 shown]
	v_fma_f32 v12, v2, v6, -v12
	v_fmac_f32_e32 v13, v3, v6
	v_fma_f32 v14, v2, v8, -v14
	v_mul_f32_e32 v2, v2, v9
	v_add_f32_e32 v12, v16, v12
	v_add_f32_e32 v13, v17, v13
	v_fmac_f32_e32 v2, v3, v8
	v_add_f32_e32 v3, v18, v14
	ds_read_b128 v[14:17], v56 offset:4192
	v_add_f32_e32 v2, v19, v2
	s_waitcnt lgkmcnt(0)
	v_mul_f32_e32 v18, v15, v7
	v_mul_f32_e32 v7, v14, v7
	v_fmac_f32_e32 v7, v15, v6
	v_fma_f32 v18, v14, v6, -v18
	v_add_f32_e32 v19, v21, v7
	v_mul_f32_e32 v6, v15, v9
	v_mul_f32_e32 v7, v14, v9
	v_fma_f32 v6, v14, v8, -v6
	v_fmac_f32_e32 v7, v15, v8
	v_add_f32_e32 v18, v20, v18
	v_add_f32_e32 v20, v10, v6
	;; [unrolled: 1-line block ×3, first 2 shown]
	ds_read2_b64 v[6:9], v0 offset0:160 offset1:176
	s_waitcnt lgkmcnt(0)
	v_mul_f32_e32 v10, v5, v7
	v_fma_f32 v10, v4, v6, -v10
	v_add_f32_e32 v10, v12, v10
	v_mul_f32_e32 v12, v5, v9
	v_mul_f32_e32 v11, v4, v7
	v_fma_f32 v12, v4, v8, -v12
	v_mul_f32_e32 v4, v4, v9
	v_fmac_f32_e32 v11, v5, v6
	v_fmac_f32_e32 v4, v5, v8
	v_add_f32_e32 v11, v13, v11
	v_add_f32_e32 v12, v3, v12
	v_add_f32_e32 v13, v2, v4
	v_mul_f32_e32 v2, v17, v7
	v_mul_f32_e32 v3, v16, v7
	v_fma_f32 v2, v16, v6, -v2
	v_fmac_f32_e32 v3, v17, v6
	v_add_f32_e32 v14, v18, v2
	v_add_f32_e32 v15, v19, v3
	v_mul_f32_e32 v2, v17, v9
	v_mul_f32_e32 v3, v16, v9
	v_fma_f32 v2, v16, v8, -v2
	v_fmac_f32_e32 v3, v17, v8
	v_add_f32_e32 v16, v20, v2
	v_add_f32_e32 v17, v21, v3
	ds_read_b128 v[2:5], v56 offset:112
	ds_read2_b64 v[6:9], v0 offset0:192 offset1:208
	s_waitcnt lgkmcnt(0)
	v_mul_f32_e32 v18, v3, v7
	v_mul_f32_e32 v19, v2, v7
	v_fma_f32 v18, v2, v6, -v18
	v_fmac_f32_e32 v19, v3, v6
	v_add_f32_e32 v18, v10, v18
	v_add_f32_e32 v19, v11, v19
	v_mul_f32_e32 v10, v3, v9
	v_mul_f32_e32 v11, v2, v9
	v_fma_f32 v10, v2, v8, -v10
	v_fmac_f32_e32 v11, v3, v8
	v_add_f32_e32 v2, v12, v10
	v_add_f32_e32 v3, v13, v11
	ds_read_b128 v[10:13], v56 offset:4208
	s_waitcnt lgkmcnt(0)
	v_mul_f32_e32 v20, v11, v7
	v_mul_f32_e32 v7, v10, v7
	v_fmac_f32_e32 v7, v11, v6
	v_fma_f32 v20, v10, v6, -v20
	v_add_f32_e32 v15, v15, v7
	v_mul_f32_e32 v6, v11, v9
	v_mul_f32_e32 v7, v10, v9
	v_fma_f32 v6, v10, v8, -v6
	v_fmac_f32_e32 v7, v11, v8
	v_add_f32_e32 v10, v16, v6
	v_add_f32_e32 v11, v17, v7
	ds_read2_b64 v[6:9], v0 offset0:224 offset1:240
	v_add_f32_e32 v14, v14, v20
	s_waitcnt lgkmcnt(0)
	v_mul_f32_e32 v0, v5, v7
	v_fma_f32 v0, v4, v6, -v0
	v_add_f32_e32 v17, v18, v0
	v_mul_f32_e32 v0, v5, v9
	v_fma_f32 v0, v4, v8, -v0
	v_add_f32_e32 v18, v2, v0
	v_mul_f32_e32 v0, v13, v7
	v_fma_f32 v0, v12, v6, -v0
	v_mul_f32_e32 v2, v12, v7
	v_fmac_f32_e32 v2, v13, v6
	v_add_f32_e32 v20, v14, v0
	v_mul_f32_e32 v0, v13, v9
	v_mul_f32_e32 v16, v4, v7
	v_mul_f32_e32 v4, v4, v9
	v_add_f32_e32 v21, v15, v2
	v_fma_f32 v0, v12, v8, -v0
	v_mul_f32_e32 v2, v12, v9
	v_fmac_f32_e32 v16, v5, v6
	v_fmac_f32_e32 v4, v5, v8
	;; [unrolled: 1-line block ×3, first 2 shown]
	v_add_f32_e32 v10, v10, v0
	v_add_u32_e32 v0, 0x1000, v58
	v_add_f32_e32 v16, v19, v16
	v_add_f32_e32 v19, v3, v4
	;; [unrolled: 1-line block ×3, first 2 shown]
	ds_read_b128 v[2:5], v56 offset:128
	ds_read2_b64 v[6:9], v0 offset1:16
	s_waitcnt lgkmcnt(0)
	v_mul_f32_e32 v12, v3, v7
	v_mul_f32_e32 v13, v2, v7
	;; [unrolled: 1-line block ×3, first 2 shown]
	v_fma_f32 v12, v2, v6, -v12
	v_fmac_f32_e32 v13, v3, v6
	v_fma_f32 v14, v2, v8, -v14
	v_mul_f32_e32 v2, v2, v9
	v_add_f32_e32 v12, v17, v12
	v_add_f32_e32 v13, v16, v13
	v_fmac_f32_e32 v2, v3, v8
	v_add_f32_e32 v3, v18, v14
	ds_read_b128 v[14:17], v56 offset:4224
	v_add_f32_e32 v2, v19, v2
	s_waitcnt lgkmcnt(0)
	v_mul_f32_e32 v18, v15, v7
	v_mul_f32_e32 v7, v14, v7
	v_fmac_f32_e32 v7, v15, v6
	v_fma_f32 v18, v14, v6, -v18
	v_add_f32_e32 v19, v21, v7
	v_mul_f32_e32 v6, v15, v9
	v_mul_f32_e32 v7, v14, v9
	v_fma_f32 v6, v14, v8, -v6
	v_fmac_f32_e32 v7, v15, v8
	v_add_f32_e32 v18, v20, v18
	v_add_f32_e32 v20, v10, v6
	;; [unrolled: 1-line block ×3, first 2 shown]
	ds_read2_b64 v[6:9], v0 offset0:32 offset1:48
	s_waitcnt lgkmcnt(0)
	v_mul_f32_e32 v10, v5, v7
	v_fma_f32 v10, v4, v6, -v10
	v_add_f32_e32 v10, v12, v10
	v_mul_f32_e32 v12, v5, v9
	v_mul_f32_e32 v11, v4, v7
	v_fma_f32 v12, v4, v8, -v12
	v_mul_f32_e32 v4, v4, v9
	v_fmac_f32_e32 v11, v5, v6
	v_fmac_f32_e32 v4, v5, v8
	v_add_f32_e32 v11, v13, v11
	v_add_f32_e32 v12, v3, v12
	;; [unrolled: 1-line block ×3, first 2 shown]
	v_mul_f32_e32 v2, v17, v7
	v_mul_f32_e32 v3, v16, v7
	v_fma_f32 v2, v16, v6, -v2
	v_fmac_f32_e32 v3, v17, v6
	v_add_f32_e32 v14, v18, v2
	v_add_f32_e32 v15, v19, v3
	v_mul_f32_e32 v2, v17, v9
	v_mul_f32_e32 v3, v16, v9
	v_fma_f32 v2, v16, v8, -v2
	v_fmac_f32_e32 v3, v17, v8
	v_add_f32_e32 v16, v20, v2
	v_add_f32_e32 v17, v21, v3
	ds_read_b128 v[2:5], v56 offset:144
	ds_read2_b64 v[6:9], v0 offset0:64 offset1:80
	s_waitcnt lgkmcnt(0)
	v_mul_f32_e32 v18, v3, v7
	v_mul_f32_e32 v19, v2, v7
	v_fma_f32 v18, v2, v6, -v18
	v_fmac_f32_e32 v19, v3, v6
	v_add_f32_e32 v18, v10, v18
	v_add_f32_e32 v19, v11, v19
	v_mul_f32_e32 v10, v3, v9
	v_mul_f32_e32 v11, v2, v9
	v_fma_f32 v10, v2, v8, -v10
	v_fmac_f32_e32 v11, v3, v8
	v_add_f32_e32 v2, v12, v10
	v_add_f32_e32 v3, v13, v11
	ds_read_b128 v[10:13], v56 offset:4240
	s_waitcnt lgkmcnt(0)
	v_mul_f32_e32 v20, v11, v7
	v_mul_f32_e32 v7, v10, v7
	v_fmac_f32_e32 v7, v11, v6
	v_fma_f32 v20, v10, v6, -v20
	v_add_f32_e32 v15, v15, v7
	v_mul_f32_e32 v6, v11, v9
	v_mul_f32_e32 v7, v10, v9
	v_fma_f32 v6, v10, v8, -v6
	v_fmac_f32_e32 v7, v11, v8
	v_add_f32_e32 v10, v16, v6
	v_add_f32_e32 v11, v17, v7
	ds_read2_b64 v[6:9], v0 offset0:96 offset1:112
	v_add_f32_e32 v14, v14, v20
	s_waitcnt lgkmcnt(0)
	v_mul_f32_e32 v16, v5, v7
	v_fma_f32 v16, v4, v6, -v16
	v_add_f32_e32 v16, v18, v16
	v_mul_f32_e32 v18, v5, v9
	v_mul_f32_e32 v17, v4, v7
	v_fma_f32 v18, v4, v8, -v18
	v_mul_f32_e32 v4, v4, v9
	v_fmac_f32_e32 v17, v5, v6
	v_fmac_f32_e32 v4, v5, v8
	v_add_f32_e32 v17, v19, v17
	v_add_f32_e32 v18, v2, v18
	;; [unrolled: 1-line block ×3, first 2 shown]
	v_mul_f32_e32 v2, v13, v7
	v_mul_f32_e32 v3, v12, v7
	v_fma_f32 v2, v12, v6, -v2
	v_fmac_f32_e32 v3, v13, v6
	v_add_f32_e32 v20, v14, v2
	v_add_f32_e32 v21, v15, v3
	v_mul_f32_e32 v2, v13, v9
	v_mul_f32_e32 v3, v12, v9
	v_fma_f32 v2, v12, v8, -v2
	v_fmac_f32_e32 v3, v13, v8
	v_add_f32_e32 v10, v10, v2
	v_add_f32_e32 v11, v11, v3
	ds_read_b128 v[2:5], v56 offset:160
	ds_read2_b64 v[6:9], v0 offset0:128 offset1:144
	s_waitcnt lgkmcnt(0)
	v_mul_f32_e32 v12, v3, v7
	v_mul_f32_e32 v13, v2, v7
	;; [unrolled: 1-line block ×3, first 2 shown]
	v_fma_f32 v12, v2, v6, -v12
	v_fmac_f32_e32 v13, v3, v6
	v_fma_f32 v14, v2, v8, -v14
	v_mul_f32_e32 v2, v2, v9
	v_add_f32_e32 v12, v16, v12
	v_add_f32_e32 v13, v17, v13
	v_fmac_f32_e32 v2, v3, v8
	v_add_f32_e32 v3, v18, v14
	ds_read_b128 v[14:17], v56 offset:4256
	v_add_f32_e32 v2, v19, v2
	s_waitcnt lgkmcnt(0)
	v_mul_f32_e32 v18, v15, v7
	v_mul_f32_e32 v7, v14, v7
	v_fmac_f32_e32 v7, v15, v6
	v_fma_f32 v18, v14, v6, -v18
	v_add_f32_e32 v19, v21, v7
	v_mul_f32_e32 v6, v15, v9
	v_mul_f32_e32 v7, v14, v9
	v_fma_f32 v6, v14, v8, -v6
	v_fmac_f32_e32 v7, v15, v8
	v_add_f32_e32 v18, v20, v18
	v_add_f32_e32 v20, v10, v6
	;; [unrolled: 1-line block ×3, first 2 shown]
	ds_read2_b64 v[6:9], v0 offset0:160 offset1:176
	s_waitcnt lgkmcnt(0)
	v_mul_f32_e32 v10, v5, v7
	v_fma_f32 v10, v4, v6, -v10
	v_add_f32_e32 v10, v12, v10
	v_mul_f32_e32 v12, v5, v9
	v_mul_f32_e32 v11, v4, v7
	v_fma_f32 v12, v4, v8, -v12
	v_mul_f32_e32 v4, v4, v9
	v_fmac_f32_e32 v11, v5, v6
	v_fmac_f32_e32 v4, v5, v8
	v_add_f32_e32 v11, v13, v11
	v_add_f32_e32 v12, v3, v12
	;; [unrolled: 1-line block ×3, first 2 shown]
	v_mul_f32_e32 v2, v17, v7
	v_mul_f32_e32 v3, v16, v7
	v_fma_f32 v2, v16, v6, -v2
	v_fmac_f32_e32 v3, v17, v6
	v_add_f32_e32 v14, v18, v2
	v_add_f32_e32 v15, v19, v3
	v_mul_f32_e32 v2, v17, v9
	v_mul_f32_e32 v3, v16, v9
	v_fma_f32 v2, v16, v8, -v2
	v_fmac_f32_e32 v3, v17, v8
	v_add_f32_e32 v16, v20, v2
	v_add_f32_e32 v17, v21, v3
	ds_read_b128 v[2:5], v56 offset:176
	ds_read2_b64 v[6:9], v0 offset0:192 offset1:208
	s_waitcnt lgkmcnt(0)
	v_mul_f32_e32 v18, v3, v7
	v_mul_f32_e32 v19, v2, v7
	v_fma_f32 v18, v2, v6, -v18
	v_fmac_f32_e32 v19, v3, v6
	v_add_f32_e32 v18, v10, v18
	v_add_f32_e32 v19, v11, v19
	v_mul_f32_e32 v10, v3, v9
	v_mul_f32_e32 v11, v2, v9
	v_fma_f32 v10, v2, v8, -v10
	v_fmac_f32_e32 v11, v3, v8
	v_add_f32_e32 v2, v12, v10
	v_add_f32_e32 v3, v13, v11
	ds_read_b128 v[10:13], v56 offset:4272
	s_waitcnt lgkmcnt(0)
	v_mul_f32_e32 v20, v11, v7
	v_mul_f32_e32 v7, v10, v7
	v_fmac_f32_e32 v7, v11, v6
	v_fma_f32 v20, v10, v6, -v20
	v_add_f32_e32 v15, v15, v7
	v_mul_f32_e32 v6, v11, v9
	v_mul_f32_e32 v7, v10, v9
	v_fma_f32 v6, v10, v8, -v6
	v_fmac_f32_e32 v7, v11, v8
	v_add_f32_e32 v10, v16, v6
	v_add_f32_e32 v11, v17, v7
	ds_read2_b64 v[6:9], v0 offset0:224 offset1:240
	v_add_f32_e32 v14, v14, v20
	s_waitcnt lgkmcnt(0)
	v_mul_f32_e32 v0, v5, v7
	v_fma_f32 v0, v4, v6, -v0
	v_add_f32_e32 v17, v18, v0
	v_mul_f32_e32 v0, v5, v9
	v_fma_f32 v0, v4, v8, -v0
	v_add_f32_e32 v18, v2, v0
	v_mul_f32_e32 v0, v13, v7
	v_fma_f32 v0, v12, v6, -v0
	v_mul_f32_e32 v2, v12, v7
	v_fmac_f32_e32 v2, v13, v6
	v_add_f32_e32 v20, v14, v0
	v_mul_f32_e32 v0, v13, v9
	v_mul_f32_e32 v16, v4, v7
	;; [unrolled: 1-line block ×3, first 2 shown]
	v_add_f32_e32 v21, v15, v2
	v_fma_f32 v0, v12, v8, -v0
	v_mul_f32_e32 v2, v12, v9
	v_fmac_f32_e32 v16, v5, v6
	v_fmac_f32_e32 v4, v5, v8
	;; [unrolled: 1-line block ×3, first 2 shown]
	v_add_f32_e32 v10, v10, v0
	v_add_u32_e32 v0, 0x1800, v58
	v_add_f32_e32 v16, v19, v16
	v_add_f32_e32 v19, v3, v4
	;; [unrolled: 1-line block ×3, first 2 shown]
	ds_read_b128 v[2:5], v56 offset:192
	ds_read2_b64 v[6:9], v0 offset1:16
	s_waitcnt lgkmcnt(0)
	v_mul_f32_e32 v12, v3, v7
	v_mul_f32_e32 v13, v2, v7
	;; [unrolled: 1-line block ×3, first 2 shown]
	v_fma_f32 v12, v2, v6, -v12
	v_fmac_f32_e32 v13, v3, v6
	v_fma_f32 v14, v2, v8, -v14
	v_mul_f32_e32 v2, v2, v9
	v_add_f32_e32 v12, v17, v12
	v_add_f32_e32 v13, v16, v13
	v_fmac_f32_e32 v2, v3, v8
	v_add_f32_e32 v3, v18, v14
	ds_read_b128 v[14:17], v56 offset:4288
	v_add_f32_e32 v2, v19, v2
	s_waitcnt lgkmcnt(0)
	v_mul_f32_e32 v18, v15, v7
	v_mul_f32_e32 v7, v14, v7
	v_fmac_f32_e32 v7, v15, v6
	v_fma_f32 v18, v14, v6, -v18
	v_add_f32_e32 v19, v21, v7
	v_mul_f32_e32 v6, v15, v9
	v_mul_f32_e32 v7, v14, v9
	v_fma_f32 v6, v14, v8, -v6
	v_fmac_f32_e32 v7, v15, v8
	v_add_f32_e32 v18, v20, v18
	v_add_f32_e32 v20, v10, v6
	;; [unrolled: 1-line block ×3, first 2 shown]
	ds_read2_b64 v[6:9], v0 offset0:32 offset1:48
	s_waitcnt lgkmcnt(0)
	v_mul_f32_e32 v10, v5, v7
	v_fma_f32 v10, v4, v6, -v10
	v_add_f32_e32 v10, v12, v10
	v_mul_f32_e32 v12, v5, v9
	v_mul_f32_e32 v11, v4, v7
	v_fma_f32 v12, v4, v8, -v12
	v_mul_f32_e32 v4, v4, v9
	v_fmac_f32_e32 v11, v5, v6
	v_fmac_f32_e32 v4, v5, v8
	v_add_f32_e32 v11, v13, v11
	v_add_f32_e32 v12, v3, v12
	;; [unrolled: 1-line block ×3, first 2 shown]
	v_mul_f32_e32 v2, v17, v7
	v_mul_f32_e32 v3, v16, v7
	v_fma_f32 v2, v16, v6, -v2
	v_fmac_f32_e32 v3, v17, v6
	v_add_f32_e32 v14, v18, v2
	v_add_f32_e32 v15, v19, v3
	v_mul_f32_e32 v2, v17, v9
	v_mul_f32_e32 v3, v16, v9
	v_fma_f32 v2, v16, v8, -v2
	v_fmac_f32_e32 v3, v17, v8
	v_add_f32_e32 v16, v20, v2
	v_add_f32_e32 v17, v21, v3
	ds_read_b128 v[2:5], v56 offset:208
	ds_read2_b64 v[6:9], v0 offset0:64 offset1:80
	s_waitcnt lgkmcnt(0)
	v_mul_f32_e32 v18, v3, v7
	v_mul_f32_e32 v19, v2, v7
	v_fma_f32 v18, v2, v6, -v18
	v_fmac_f32_e32 v19, v3, v6
	v_add_f32_e32 v18, v10, v18
	v_add_f32_e32 v19, v11, v19
	v_mul_f32_e32 v10, v3, v9
	v_mul_f32_e32 v11, v2, v9
	v_fma_f32 v10, v2, v8, -v10
	v_fmac_f32_e32 v11, v3, v8
	v_add_f32_e32 v2, v12, v10
	v_add_f32_e32 v3, v13, v11
	ds_read_b128 v[10:13], v56 offset:4304
	s_waitcnt lgkmcnt(0)
	v_mul_f32_e32 v20, v11, v7
	v_mul_f32_e32 v7, v10, v7
	v_fmac_f32_e32 v7, v11, v6
	v_fma_f32 v20, v10, v6, -v20
	v_add_f32_e32 v15, v15, v7
	v_mul_f32_e32 v6, v11, v9
	v_mul_f32_e32 v7, v10, v9
	v_fma_f32 v6, v10, v8, -v6
	v_fmac_f32_e32 v7, v11, v8
	v_add_f32_e32 v10, v16, v6
	v_add_f32_e32 v11, v17, v7
	ds_read2_b64 v[6:9], v0 offset0:96 offset1:112
	v_add_f32_e32 v14, v14, v20
	s_waitcnt lgkmcnt(0)
	v_mul_f32_e32 v16, v5, v7
	v_fma_f32 v16, v4, v6, -v16
	v_add_f32_e32 v16, v18, v16
	v_mul_f32_e32 v18, v5, v9
	v_mul_f32_e32 v17, v4, v7
	v_fma_f32 v18, v4, v8, -v18
	v_mul_f32_e32 v4, v4, v9
	v_fmac_f32_e32 v17, v5, v6
	v_fmac_f32_e32 v4, v5, v8
	v_add_f32_e32 v17, v19, v17
	v_add_f32_e32 v18, v2, v18
	v_add_f32_e32 v19, v3, v4
	v_mul_f32_e32 v2, v13, v7
	v_mul_f32_e32 v3, v12, v7
	v_fma_f32 v2, v12, v6, -v2
	v_fmac_f32_e32 v3, v13, v6
	v_add_f32_e32 v20, v14, v2
	v_add_f32_e32 v21, v15, v3
	v_mul_f32_e32 v2, v13, v9
	v_mul_f32_e32 v3, v12, v9
	v_fma_f32 v2, v12, v8, -v2
	v_fmac_f32_e32 v3, v13, v8
	v_add_f32_e32 v10, v10, v2
	v_add_f32_e32 v11, v11, v3
	ds_read_b128 v[2:5], v56 offset:224
	ds_read2_b64 v[6:9], v0 offset0:128 offset1:144
	s_waitcnt lgkmcnt(0)
	v_mul_f32_e32 v12, v3, v7
	v_mul_f32_e32 v13, v2, v7
	;; [unrolled: 1-line block ×3, first 2 shown]
	v_fma_f32 v12, v2, v6, -v12
	v_fmac_f32_e32 v13, v3, v6
	v_fma_f32 v14, v2, v8, -v14
	v_mul_f32_e32 v2, v2, v9
	v_add_f32_e32 v12, v16, v12
	v_add_f32_e32 v13, v17, v13
	v_fmac_f32_e32 v2, v3, v8
	v_add_f32_e32 v3, v18, v14
	ds_read_b128 v[14:17], v56 offset:4320
	v_add_f32_e32 v2, v19, v2
	s_waitcnt lgkmcnt(0)
	v_mul_f32_e32 v18, v15, v7
	v_mul_f32_e32 v7, v14, v7
	v_fmac_f32_e32 v7, v15, v6
	v_fma_f32 v18, v14, v6, -v18
	v_add_f32_e32 v19, v21, v7
	v_mul_f32_e32 v6, v15, v9
	v_mul_f32_e32 v7, v14, v9
	v_fma_f32 v6, v14, v8, -v6
	v_fmac_f32_e32 v7, v15, v8
	v_add_f32_e32 v18, v20, v18
	v_add_f32_e32 v20, v10, v6
	v_add_f32_e32 v21, v11, v7
	ds_read2_b64 v[6:9], v0 offset0:160 offset1:176
	s_waitcnt lgkmcnt(0)
	v_mul_f32_e32 v10, v5, v7
	v_fma_f32 v10, v4, v6, -v10
	v_add_f32_e32 v10, v12, v10
	v_mul_f32_e32 v12, v5, v9
	v_mul_f32_e32 v11, v4, v7
	v_fma_f32 v12, v4, v8, -v12
	v_mul_f32_e32 v4, v4, v9
	v_fmac_f32_e32 v11, v5, v6
	v_fmac_f32_e32 v4, v5, v8
	v_add_f32_e32 v11, v13, v11
	v_add_f32_e32 v12, v3, v12
	;; [unrolled: 1-line block ×3, first 2 shown]
	v_mul_f32_e32 v2, v17, v7
	v_mul_f32_e32 v3, v16, v7
	v_fma_f32 v2, v16, v6, -v2
	v_fmac_f32_e32 v3, v17, v6
	v_add_f32_e32 v14, v18, v2
	v_add_f32_e32 v15, v19, v3
	v_mul_f32_e32 v2, v17, v9
	v_mul_f32_e32 v3, v16, v9
	v_fma_f32 v2, v16, v8, -v2
	v_fmac_f32_e32 v3, v17, v8
	v_add_f32_e32 v16, v20, v2
	v_add_f32_e32 v17, v21, v3
	ds_read_b128 v[2:5], v56 offset:240
	ds_read2_b64 v[6:9], v0 offset0:192 offset1:208
	s_waitcnt lgkmcnt(0)
	v_mul_f32_e32 v18, v3, v7
	v_mul_f32_e32 v19, v2, v7
	v_fma_f32 v18, v2, v6, -v18
	v_fmac_f32_e32 v19, v3, v6
	v_add_f32_e32 v18, v10, v18
	v_add_f32_e32 v20, v11, v19
	v_mul_f32_e32 v10, v3, v9
	v_mul_f32_e32 v11, v2, v9
	v_fma_f32 v10, v2, v8, -v10
	v_fmac_f32_e32 v11, v3, v8
	v_add_f32_e32 v2, v12, v10
	v_add_f32_e32 v3, v13, v11
	ds_read_b128 v[10:13], v56 offset:4336
	s_waitcnt lgkmcnt(0)
	v_mul_f32_e32 v19, v11, v7
	v_mul_f32_e32 v7, v10, v7
	v_fmac_f32_e32 v7, v11, v6
	v_fma_f32 v19, v10, v6, -v19
	v_add_f32_e32 v21, v15, v7
	v_mul_f32_e32 v6, v11, v9
	v_mul_f32_e32 v7, v10, v9
	v_fma_f32 v6, v10, v8, -v6
	v_fmac_f32_e32 v7, v11, v8
	v_add_f32_e32 v10, v16, v6
	v_add_f32_e32 v11, v17, v7
	ds_read2_b64 v[6:9], v0 offset0:224 offset1:240
	v_add_f32_e32 v14, v14, v19
	s_waitcnt lgkmcnt(0)
	s_barrier
	v_mul_f32_e32 v0, v5, v7
	v_fma_f32 v0, v4, v6, -v0
	v_add_f32_e32 v19, v18, v0
	v_mul_f32_e32 v0, v5, v9
	v_fma_f32 v0, v4, v8, -v0
	v_mul_f32_e32 v15, v4, v7
	v_add_f32_e32 v17, v2, v0
	v_mul_f32_e32 v0, v13, v7
	v_mul_f32_e32 v2, v12, v7
	v_fmac_f32_e32 v15, v5, v6
	v_fma_f32 v0, v12, v6, -v0
	v_fmac_f32_e32 v2, v13, v6
	v_add_f32_e32 v20, v20, v15
	v_add_f32_e32 v15, v14, v0
	;; [unrolled: 1-line block ×3, first 2 shown]
	v_mul_f32_e32 v0, v13, v9
	v_mul_f32_e32 v2, v12, v9
	v_fma_f32 v0, v12, v8, -v0
	v_fmac_f32_e32 v2, v13, v8
	v_add_f32_e32 v14, v10, v0
	v_add_f32_e32 v0, v11, v2
	v_mov_b32_e32 v2, s51
	v_addc_co_u32_e64 v55, s[10:11], v55, v2, s[10:11]
	v_add_co_u32_e64 v42, s[10:11], s42, v42
	v_mov_b32_e32 v2, s43
	v_mul_f32_e32 v4, v4, v9
	v_addc_co_u32_e64 v43, s[10:11], v43, v2, s[10:11]
	v_fmac_f32_e32 v4, v5, v8
	v_add_co_u32_e64 v44, s[10:11], s42, v44
	v_add_f32_e32 v18, v3, v4
	v_addc_co_u32_e64 v45, s[10:11], v45, v2, s[10:11]
	s_cbranch_scc1 .LBB90_56
.LBB90_7:                               ;   Parent Loop BB90_4 Depth=1
                                        ; =>  This Inner Loop Header: Depth=2
	v_mov_b32_e32 v2, s31
	v_add_co_u32_e64 v4, s[10:11], s30, v24
	v_addc_co_u32_e64 v5, s[10:11], v25, v2, s[10:11]
	v_cmp_eq_u64_e64 s[10:11], s[30:31], v[36:37]
	v_add_co_u32_e64 v2, s[12:13], v44, v40
	v_addc_co_u32_e64 v3, s[12:13], v45, v41, s[12:13]
	s_and_b64 s[56:57], s[40:41], s[10:11]
	v_cmp_lt_i64_e64 s[10:11], v[4:5], v[34:35]
	v_cmp_le_i64_e64 s[12:13], s[46:47], v[4:5]
	s_or_b64 s[14:15], vcc, s[10:11]
	s_or_b64 s[14:15], s[12:13], s[14:15]
	s_nor_b64 s[14:15], s[14:15], s[56:57]
	s_and_saveexec_b64 s[18:19], s[14:15]
	s_xor_b64 s[14:15], exec, s[18:19]
	s_cbranch_execz .LBB90_9
; %bb.8:                                ;   in Loop: Header=BB90_7 Depth=2
	global_load_dwordx2 v[6:7], v[2:3], off
	s_waitcnt vmcnt(0)
	ds_write_b64 v57, v[6:7]
.LBB90_9:                               ;   in Loop: Header=BB90_7 Depth=2
	s_or_saveexec_b64 s[14:15], s[14:15]
	s_xor_b64 s[38:39], s[56:57], -1
	s_xor_b64 exec, exec, s[14:15]
	s_cbranch_execz .LBB90_15
; %bb.10:                               ;   in Loop: Header=BB90_7 Depth=2
	s_and_saveexec_b64 s[18:19], s[38:39]
	s_xor_b64 s[18:19], exec, s[18:19]
; %bb.11:                               ;   in Loop: Header=BB90_7 Depth=2
	v_mov_b32_e32 v6, v33
	v_mov_b32_e32 v7, v33
	ds_write_b64 v57, v[6:7]
; %bb.12:                               ;   in Loop: Header=BB90_7 Depth=2
	s_andn2_saveexec_b64 s[18:19], s[18:19]
; %bb.13:                               ;   in Loop: Header=BB90_7 Depth=2
	ds_write_b64 v57, v[32:33]
; %bb.14:                               ;   in Loop: Header=BB90_7 Depth=2
	s_or_b64 exec, exec, s[18:19]
.LBB90_15:                              ;   in Loop: Header=BB90_7 Depth=2
	s_or_b64 exec, exec, s[14:15]
	v_add_co_u32_e64 v6, s[18:19], 16, v4
	v_cmp_eq_u64_e64 s[14:15], s[30:31], v[52:53]
	v_addc_co_u32_e64 v7, s[18:19], 0, v5, s[18:19]
	v_cmp_lt_i64_e64 s[18:19], v[6:7], v[34:35]
	s_and_b64 s[20:21], s[40:41], s[14:15]
	v_cmp_le_i64_e64 s[14:15], s[46:47], v[6:7]
	s_or_b64 s[18:19], vcc, s[18:19]
	s_or_b64 s[18:19], s[14:15], s[18:19]
	s_nor_b64 s[18:19], s[18:19], s[20:21]
	s_and_saveexec_b64 s[58:59], s[18:19]
	s_xor_b64 s[58:59], exec, s[58:59]
	s_cbranch_execz .LBB90_17
; %bb.16:                               ;   in Loop: Header=BB90_7 Depth=2
	v_add_co_u32_e64 v6, s[18:19], v42, v40
	v_addc_co_u32_e64 v7, s[18:19], v43, v41, s[18:19]
	global_load_dwordx2 v[6:7], v[6:7], off
	s_waitcnt vmcnt(0)
	ds_write_b64 v57, v[6:7] offset:128
.LBB90_17:                              ;   in Loop: Header=BB90_7 Depth=2
	s_andn2_saveexec_b64 s[18:19], s[58:59]
	s_cbranch_execz .LBB90_23
; %bb.18:                               ;   in Loop: Header=BB90_7 Depth=2
	s_xor_b64 s[20:21], s[20:21], -1
	s_and_saveexec_b64 s[58:59], s[20:21]
	s_xor_b64 s[20:21], exec, s[58:59]
; %bb.19:                               ;   in Loop: Header=BB90_7 Depth=2
	v_mov_b32_e32 v6, v33
	v_mov_b32_e32 v7, v33
	ds_write_b64 v57, v[6:7] offset:128
; %bb.20:                               ;   in Loop: Header=BB90_7 Depth=2
	s_andn2_saveexec_b64 s[20:21], s[20:21]
; %bb.21:                               ;   in Loop: Header=BB90_7 Depth=2
	ds_write_b64 v57, v[32:33] offset:128
; %bb.22:                               ;   in Loop: Header=BB90_7 Depth=2
	s_or_b64 exec, exec, s[20:21]
.LBB90_23:                              ;   in Loop: Header=BB90_7 Depth=2
	s_or_b64 exec, exec, s[18:19]
	buffer_load_dword v6, off, s[68:71], 0  ; 4-byte Folded Reload
	buffer_load_dword v7, off, s[68:71], 0 offset:4 ; 4-byte Folded Reload
	v_cmp_lt_i64_e64 s[20:21], v[4:5], v[48:49]
	s_or_b64 s[20:21], s[8:9], s[20:21]
	s_waitcnt vmcnt(0)
	v_cmp_eq_u64_e64 s[18:19], s[30:31], v[6:7]
	s_and_b64 s[18:19], s[40:41], s[18:19]
	s_or_b64 s[20:21], s[20:21], s[18:19]
	s_nor_b64 s[12:13], s[12:13], s[20:21]
	s_and_saveexec_b64 s[20:21], s[12:13]
	s_xor_b64 s[12:13], exec, s[20:21]
	s_cbranch_execz .LBB90_25
; %bb.24:                               ;   in Loop: Header=BB90_7 Depth=2
	global_load_dwordx2 v[2:3], v[2:3], off offset:128
	s_waitcnt vmcnt(0)
	ds_write_b64 v57, v[2:3] offset:4096
.LBB90_25:                              ;   in Loop: Header=BB90_7 Depth=2
	s_andn2_saveexec_b64 s[12:13], s[12:13]
	s_cbranch_execz .LBB90_31
; %bb.26:                               ;   in Loop: Header=BB90_7 Depth=2
	s_xor_b64 s[18:19], s[18:19], -1
	s_and_saveexec_b64 s[20:21], s[18:19]
	s_xor_b64 s[18:19], exec, s[20:21]
; %bb.27:                               ;   in Loop: Header=BB90_7 Depth=2
	v_mov_b32_e32 v2, v33
	v_mov_b32_e32 v3, v33
	ds_write_b64 v57, v[2:3] offset:4096
; %bb.28:                               ;   in Loop: Header=BB90_7 Depth=2
	s_andn2_saveexec_b64 s[18:19], s[18:19]
; %bb.29:                               ;   in Loop: Header=BB90_7 Depth=2
	ds_write_b64 v57, v[32:33] offset:4096
; %bb.30:                               ;   in Loop: Header=BB90_7 Depth=2
	s_or_b64 exec, exec, s[18:19]
.LBB90_31:                              ;   in Loop: Header=BB90_7 Depth=2
	s_or_b64 exec, exec, s[12:13]
	s_or_b64 s[10:11], s[8:9], s[10:11]
	s_or_b64 s[10:11], s[14:15], s[10:11]
	s_nor_b64 s[10:11], s[10:11], s[56:57]
	s_and_saveexec_b64 s[12:13], s[10:11]
	s_xor_b64 s[12:13], exec, s[12:13]
	s_cbranch_execz .LBB90_33
; %bb.32:                               ;   in Loop: Header=BB90_7 Depth=2
	v_add_co_u32_e64 v2, s[10:11], v42, v40
	v_addc_co_u32_e64 v3, s[10:11], v43, v41, s[10:11]
	global_load_dwordx2 v[2:3], v[2:3], off offset:128
	s_waitcnt vmcnt(0)
	ds_write_b64 v57, v[2:3] offset:4224
.LBB90_33:                              ;   in Loop: Header=BB90_7 Depth=2
	s_andn2_saveexec_b64 s[10:11], s[12:13]
	s_cbranch_execz .LBB90_39
; %bb.34:                               ;   in Loop: Header=BB90_7 Depth=2
	s_and_saveexec_b64 s[12:13], s[38:39]
	s_xor_b64 s[12:13], exec, s[12:13]
; %bb.35:                               ;   in Loop: Header=BB90_7 Depth=2
	v_mov_b32_e32 v2, v33
	v_mov_b32_e32 v3, v33
	ds_write_b64 v57, v[2:3] offset:4224
; %bb.36:                               ;   in Loop: Header=BB90_7 Depth=2
	s_andn2_saveexec_b64 s[12:13], s[12:13]
; %bb.37:                               ;   in Loop: Header=BB90_7 Depth=2
	ds_write_b64 v57, v[32:33] offset:4224
; %bb.38:                               ;   in Loop: Header=BB90_7 Depth=2
	s_or_b64 exec, exec, s[12:13]
.LBB90_39:                              ;   in Loop: Header=BB90_7 Depth=2
	s_or_b64 exec, exec, s[10:11]
	v_mov_b32_e32 v3, s31
	v_add_co_u32_e64 v2, s[10:11], s30, v26
	v_addc_co_u32_e64 v3, s[10:11], v27, v3, s[10:11]
	v_cmp_le_i64_e64 s[10:11], s[46:47], v[2:3]
	v_add_co_u32_e64 v4, s[12:13], v38, v54
	v_addc_co_u32_e64 v5, s[12:13], v39, v55, s[12:13]
	s_nor_b64 s[12:13], s[10:11], s[0:1]
	s_and_saveexec_b64 s[14:15], s[12:13]
	s_xor_b64 s[12:13], exec, s[14:15]
	s_cbranch_execz .LBB90_41
; %bb.40:                               ;   in Loop: Header=BB90_7 Depth=2
	global_load_dwordx2 v[6:7], v[4:5], off offset:-128
	s_waitcnt vmcnt(0)
	ds_write_b64 v59, v[6:7]
.LBB90_41:                              ;   in Loop: Header=BB90_7 Depth=2
	s_andn2_saveexec_b64 s[12:13], s[12:13]
; %bb.42:                               ;   in Loop: Header=BB90_7 Depth=2
	v_mov_b32_e32 v6, v33
	v_mov_b32_e32 v7, v33
	ds_write_b64 v59, v[6:7]
; %bb.43:                               ;   in Loop: Header=BB90_7 Depth=2
	s_or_b64 exec, exec, s[12:13]
	s_nor_b64 s[10:11], s[10:11], s[2:3]
	s_and_saveexec_b64 s[12:13], s[10:11]
	s_xor_b64 s[10:11], exec, s[12:13]
	s_cbranch_execz .LBB90_45
; %bb.44:                               ;   in Loop: Header=BB90_7 Depth=2
	global_load_dwordx2 v[4:5], v[4:5], off
	s_waitcnt vmcnt(0)
	ds_write_b64 v59, v[4:5] offset:128
.LBB90_45:                              ;   in Loop: Header=BB90_7 Depth=2
	s_andn2_saveexec_b64 s[10:11], s[10:11]
; %bb.46:                               ;   in Loop: Header=BB90_7 Depth=2
	v_mov_b32_e32 v4, v33
	v_mov_b32_e32 v5, v33
	ds_write_b64 v59, v[4:5] offset:128
; %bb.47:                               ;   in Loop: Header=BB90_7 Depth=2
	s_or_b64 exec, exec, s[10:11]
	v_cmp_le_i64_e64 s[10:11], s[52:53], v[2:3]
	v_add_co_u32_e64 v2, s[12:13], v46, v54
	v_addc_co_u32_e64 v3, s[12:13], v47, v55, s[12:13]
	s_nor_b64 s[12:13], s[10:11], s[0:1]
	s_and_saveexec_b64 s[14:15], s[12:13]
	s_xor_b64 s[12:13], exec, s[14:15]
	s_cbranch_execz .LBB90_49
; %bb.48:                               ;   in Loop: Header=BB90_7 Depth=2
	global_load_dwordx2 v[4:5], v[2:3], off
	s_waitcnt vmcnt(0)
	ds_write_b64 v59, v[4:5] offset:4096
.LBB90_49:                              ;   in Loop: Header=BB90_7 Depth=2
	s_andn2_saveexec_b64 s[12:13], s[12:13]
; %bb.50:                               ;   in Loop: Header=BB90_7 Depth=2
	v_mov_b32_e32 v4, v33
	v_mov_b32_e32 v5, v33
	ds_write_b64 v59, v[4:5] offset:4096
; %bb.51:                               ;   in Loop: Header=BB90_7 Depth=2
	s_or_b64 exec, exec, s[12:13]
	s_nor_b64 s[10:11], s[10:11], s[2:3]
	s_and_saveexec_b64 s[12:13], s[10:11]
	s_xor_b64 s[10:11], exec, s[12:13]
	s_cbranch_execz .LBB90_53
; %bb.52:                               ;   in Loop: Header=BB90_7 Depth=2
	global_load_dwordx2 v[2:3], v[2:3], off offset:128
	s_waitcnt vmcnt(0)
	ds_write_b64 v59, v[2:3] offset:4224
.LBB90_53:                              ;   in Loop: Header=BB90_7 Depth=2
	s_andn2_saveexec_b64 s[10:11], s[10:11]
	s_cbranch_execz .LBB90_6
; %bb.54:                               ;   in Loop: Header=BB90_7 Depth=2
	v_mov_b32_e32 v2, v33
	v_mov_b32_e32 v3, v33
	ds_write_b64 v59, v[2:3] offset:4224
	s_branch .LBB90_6
.LBB90_55:                              ;   in Loop: Header=BB90_4 Depth=1
	v_mov_b32_e32 v19, 0
	v_mov_b32_e32 v20, 0
	;; [unrolled: 1-line block ×8, first 2 shown]
.LBB90_56:                              ;   in Loop: Header=BB90_4 Depth=1
	v_mul_lo_u32 v4, s49, v34
	v_mul_lo_u32 v5, s48, v35
	v_mad_u64_u32 v[2:3], s[8:9], s48, v34, 0
	v_cmp_gt_i32_e32 vcc, s46, v34
	v_add3_u32 v3, v3, v5, v4
	v_lshlrev_b64 v[2:3], 3, v[2:3]
	v_mov_b32_e32 v4, s62
	v_add_co_u32_e64 v2, s[8:9], s61, v2
	v_addc_co_u32_e64 v3, s[8:9], v4, v3, s[8:9]
	s_and_b64 s[8:9], s[4:5], vcc
	s_and_saveexec_b64 s[10:11], s[8:9]
	s_cbranch_execz .LBB90_58
; %bb.57:                               ;   in Loop: Header=BB90_4 Depth=1
	buffer_load_dword v4, off, s[68:71], 0 offset:16 ; 4-byte Folded Reload
	buffer_load_dword v5, off, s[68:71], 0 offset:20 ; 4-byte Folded Reload
	v_mul_f32_e32 v8, s35, v20
	v_mul_f32_e32 v9, s34, v20
	v_fma_f32 v8, v19, s34, -v8
	v_fmac_f32_e32 v9, s35, v19
	s_waitcnt vmcnt(1)
	v_add_co_u32_e64 v4, s[8:9], v2, v4
	s_waitcnt vmcnt(0)
	v_addc_co_u32_e64 v5, s[8:9], v3, v5, s[8:9]
	global_load_dwordx2 v[6:7], v[4:5], off
	s_waitcnt vmcnt(0)
	v_add_f32_e32 v6, v6, v8
	v_add_f32_e32 v7, v9, v7
	global_store_dwordx2 v[4:5], v[6:7], off
.LBB90_58:                              ;   in Loop: Header=BB90_4 Depth=1
	s_or_b64 exec, exec, s[10:11]
	s_and_b64 s[10:11], s[16:17], vcc
	s_and_saveexec_b64 s[8:9], s[10:11]
	s_cbranch_execz .LBB90_60
; %bb.59:                               ;   in Loop: Header=BB90_4 Depth=1
	buffer_load_dword v4, off, s[68:71], 0 offset:8 ; 4-byte Folded Reload
	buffer_load_dword v5, off, s[68:71], 0 offset:12 ; 4-byte Folded Reload
	v_mul_f32_e32 v6, s35, v18
	v_mul_f32_e32 v7, s34, v18
	v_fma_f32 v6, v17, s34, -v6
	v_fmac_f32_e32 v7, s35, v17
	s_waitcnt vmcnt(0)
	v_lshlrev_b64 v[4:5], 3, v[4:5]
	v_add_co_u32_e32 v2, vcc, v2, v4
	v_addc_co_u32_e32 v3, vcc, v3, v5, vcc
	global_load_dwordx2 v[4:5], v[2:3], off
	s_waitcnt vmcnt(0)
	v_add_f32_e32 v4, v4, v6
	v_add_f32_e32 v5, v7, v5
	global_store_dwordx2 v[2:3], v[4:5], off
.LBB90_60:                              ;   in Loop: Header=BB90_4 Depth=1
	s_or_b64 exec, exec, s[8:9]
	v_add_u32_e32 v4, 16, v34
	v_ashrrev_i32_e32 v2, 31, v4
	v_mul_lo_u32 v5, s48, v2
	v_mul_lo_u32 v6, s49, v4
	v_mad_u64_u32 v[2:3], s[8:9], s48, v4, 0
	v_cmp_gt_i32_e32 vcc, s46, v4
	v_mov_b32_e32 v4, s62
	v_add3_u32 v3, v3, v5, v6
	v_lshlrev_b64 v[2:3], 3, v[2:3]
	v_add_co_u32_e64 v2, s[8:9], s61, v2
	v_addc_co_u32_e64 v3, s[8:9], v4, v3, s[8:9]
	s_and_b64 s[8:9], s[4:5], vcc
	s_and_saveexec_b64 s[10:11], s[8:9]
	s_cbranch_execz .LBB90_62
; %bb.61:                               ;   in Loop: Header=BB90_4 Depth=1
	buffer_load_dword v4, off, s[68:71], 0 offset:16 ; 4-byte Folded Reload
	buffer_load_dword v5, off, s[68:71], 0 offset:20 ; 4-byte Folded Reload
	v_mul_f32_e32 v8, s35, v16
	v_mul_f32_e32 v9, s34, v16
	v_fma_f32 v8, v15, s34, -v8
	v_fmac_f32_e32 v9, s35, v15
	s_waitcnt vmcnt(1)
	v_add_co_u32_e64 v4, s[8:9], v2, v4
	s_waitcnt vmcnt(0)
	v_addc_co_u32_e64 v5, s[8:9], v3, v5, s[8:9]
	global_load_dwordx2 v[6:7], v[4:5], off
	s_waitcnt vmcnt(0)
	v_add_f32_e32 v6, v6, v8
	v_add_f32_e32 v7, v9, v7
	global_store_dwordx2 v[4:5], v[6:7], off
.LBB90_62:                              ;   in Loop: Header=BB90_4 Depth=1
	s_or_b64 exec, exec, s[10:11]
	s_and_b64 s[10:11], s[16:17], vcc
	s_and_saveexec_b64 s[8:9], s[10:11]
	s_cbranch_execz .LBB90_3
; %bb.63:                               ;   in Loop: Header=BB90_4 Depth=1
	buffer_load_dword v4, off, s[68:71], 0 offset:8 ; 4-byte Folded Reload
	buffer_load_dword v5, off, s[68:71], 0 offset:12 ; 4-byte Folded Reload
	v_mul_f32_e32 v6, s35, v0
	v_mul_f32_e32 v0, s34, v0
	v_fma_f32 v6, v14, s34, -v6
	v_fmac_f32_e32 v0, s35, v14
	s_waitcnt vmcnt(0)
	v_lshlrev_b64 v[4:5], 3, v[4:5]
	v_add_co_u32_e32 v2, vcc, v2, v4
	v_addc_co_u32_e32 v3, vcc, v3, v5, vcc
	global_load_dwordx2 v[4:5], v[2:3], off
	s_waitcnt vmcnt(0)
	v_add_f32_e32 v4, v4, v6
	v_add_f32_e32 v5, v0, v5
	global_store_dwordx2 v[2:3], v[4:5], off
	s_branch .LBB90_3
.LBB90_64:
	s_endpgm
	.section	.rodata,"a",@progbits
	.p2align	6, 0x0
	.amdhsa_kernel _ZL30rocblas_trmm_outofplace_kernelI19rocblas_complex_numIfELi32ELi2ELb0ELb1ELb1ELb0EPKS1_S2_S1_Ev17rocblas_diagonal_iiT6_lPT7_lllS7_lllPT8_llli
		.amdhsa_group_segment_fixed_size 16384
		.amdhsa_private_segment_fixed_size 36
		.amdhsa_kernarg_size 392
		.amdhsa_user_sgpr_count 6
		.amdhsa_user_sgpr_private_segment_buffer 1
		.amdhsa_user_sgpr_dispatch_ptr 0
		.amdhsa_user_sgpr_queue_ptr 0
		.amdhsa_user_sgpr_kernarg_segment_ptr 1
		.amdhsa_user_sgpr_dispatch_id 0
		.amdhsa_user_sgpr_flat_scratch_init 0
		.amdhsa_user_sgpr_private_segment_size 0
		.amdhsa_uses_dynamic_stack 0
		.amdhsa_system_sgpr_private_segment_wavefront_offset 1
		.amdhsa_system_sgpr_workgroup_id_x 1
		.amdhsa_system_sgpr_workgroup_id_y 1
		.amdhsa_system_sgpr_workgroup_id_z 1
		.amdhsa_system_sgpr_workgroup_info 0
		.amdhsa_system_vgpr_workitem_id 1
		.amdhsa_next_free_vgpr 64
		.amdhsa_next_free_sgpr 72
		.amdhsa_reserve_vcc 1
		.amdhsa_reserve_flat_scratch 0
		.amdhsa_float_round_mode_32 0
		.amdhsa_float_round_mode_16_64 0
		.amdhsa_float_denorm_mode_32 3
		.amdhsa_float_denorm_mode_16_64 3
		.amdhsa_dx10_clamp 1
		.amdhsa_ieee_mode 1
		.amdhsa_fp16_overflow 0
		.amdhsa_exception_fp_ieee_invalid_op 0
		.amdhsa_exception_fp_denorm_src 0
		.amdhsa_exception_fp_ieee_div_zero 0
		.amdhsa_exception_fp_ieee_overflow 0
		.amdhsa_exception_fp_ieee_underflow 0
		.amdhsa_exception_fp_ieee_inexact 0
		.amdhsa_exception_int_div_zero 0
	.end_amdhsa_kernel
	.section	.text._ZL30rocblas_trmm_outofplace_kernelI19rocblas_complex_numIfELi32ELi2ELb0ELb1ELb1ELb0EPKS1_S2_S1_Ev17rocblas_diagonal_iiT6_lPT7_lllS7_lllPT8_llli,"axG",@progbits,_ZL30rocblas_trmm_outofplace_kernelI19rocblas_complex_numIfELi32ELi2ELb0ELb1ELb1ELb0EPKS1_S2_S1_Ev17rocblas_diagonal_iiT6_lPT7_lllS7_lllPT8_llli,comdat
.Lfunc_end90:
	.size	_ZL30rocblas_trmm_outofplace_kernelI19rocblas_complex_numIfELi32ELi2ELb0ELb1ELb1ELb0EPKS1_S2_S1_Ev17rocblas_diagonal_iiT6_lPT7_lllS7_lllPT8_llli, .Lfunc_end90-_ZL30rocblas_trmm_outofplace_kernelI19rocblas_complex_numIfELi32ELi2ELb0ELb1ELb1ELb0EPKS1_S2_S1_Ev17rocblas_diagonal_iiT6_lPT7_lllS7_lllPT8_llli
                                        ; -- End function
	.set _ZL30rocblas_trmm_outofplace_kernelI19rocblas_complex_numIfELi32ELi2ELb0ELb1ELb1ELb0EPKS1_S2_S1_Ev17rocblas_diagonal_iiT6_lPT7_lllS7_lllPT8_llli.num_vgpr, 64
	.set _ZL30rocblas_trmm_outofplace_kernelI19rocblas_complex_numIfELi32ELi2ELb0ELb1ELb1ELb0EPKS1_S2_S1_Ev17rocblas_diagonal_iiT6_lPT7_lllS7_lllPT8_llli.num_agpr, 0
	.set _ZL30rocblas_trmm_outofplace_kernelI19rocblas_complex_numIfELi32ELi2ELb0ELb1ELb1ELb0EPKS1_S2_S1_Ev17rocblas_diagonal_iiT6_lPT7_lllS7_lllPT8_llli.numbered_sgpr, 72
	.set _ZL30rocblas_trmm_outofplace_kernelI19rocblas_complex_numIfELi32ELi2ELb0ELb1ELb1ELb0EPKS1_S2_S1_Ev17rocblas_diagonal_iiT6_lPT7_lllS7_lllPT8_llli.num_named_barrier, 0
	.set _ZL30rocblas_trmm_outofplace_kernelI19rocblas_complex_numIfELi32ELi2ELb0ELb1ELb1ELb0EPKS1_S2_S1_Ev17rocblas_diagonal_iiT6_lPT7_lllS7_lllPT8_llli.private_seg_size, 36
	.set _ZL30rocblas_trmm_outofplace_kernelI19rocblas_complex_numIfELi32ELi2ELb0ELb1ELb1ELb0EPKS1_S2_S1_Ev17rocblas_diagonal_iiT6_lPT7_lllS7_lllPT8_llli.uses_vcc, 1
	.set _ZL30rocblas_trmm_outofplace_kernelI19rocblas_complex_numIfELi32ELi2ELb0ELb1ELb1ELb0EPKS1_S2_S1_Ev17rocblas_diagonal_iiT6_lPT7_lllS7_lllPT8_llli.uses_flat_scratch, 0
	.set _ZL30rocblas_trmm_outofplace_kernelI19rocblas_complex_numIfELi32ELi2ELb0ELb1ELb1ELb0EPKS1_S2_S1_Ev17rocblas_diagonal_iiT6_lPT7_lllS7_lllPT8_llli.has_dyn_sized_stack, 0
	.set _ZL30rocblas_trmm_outofplace_kernelI19rocblas_complex_numIfELi32ELi2ELb0ELb1ELb1ELb0EPKS1_S2_S1_Ev17rocblas_diagonal_iiT6_lPT7_lllS7_lllPT8_llli.has_recursion, 0
	.set _ZL30rocblas_trmm_outofplace_kernelI19rocblas_complex_numIfELi32ELi2ELb0ELb1ELb1ELb0EPKS1_S2_S1_Ev17rocblas_diagonal_iiT6_lPT7_lllS7_lllPT8_llli.has_indirect_call, 0
	.section	.AMDGPU.csdata,"",@progbits
; Kernel info:
; codeLenInByte = 6776
; TotalNumSgprs: 76
; NumVgprs: 64
; ScratchSize: 36
; MemoryBound: 1
; FloatMode: 240
; IeeeMode: 1
; LDSByteSize: 16384 bytes/workgroup (compile time only)
; SGPRBlocks: 9
; VGPRBlocks: 15
; NumSGPRsForWavesPerEU: 76
; NumVGPRsForWavesPerEU: 64
; Occupancy: 4
; WaveLimiterHint : 0
; COMPUTE_PGM_RSRC2:SCRATCH_EN: 1
; COMPUTE_PGM_RSRC2:USER_SGPR: 6
; COMPUTE_PGM_RSRC2:TRAP_HANDLER: 0
; COMPUTE_PGM_RSRC2:TGID_X_EN: 1
; COMPUTE_PGM_RSRC2:TGID_Y_EN: 1
; COMPUTE_PGM_RSRC2:TGID_Z_EN: 1
; COMPUTE_PGM_RSRC2:TIDIG_COMP_CNT: 1
	.section	.text._ZL30rocblas_trmm_outofplace_kernelI19rocblas_complex_numIfELi32ELi2ELb0ELb1ELb1ELb0ES1_KS1_S1_Ev17rocblas_diagonal_iiT6_lPT7_lllS6_lllPT8_llli,"axG",@progbits,_ZL30rocblas_trmm_outofplace_kernelI19rocblas_complex_numIfELi32ELi2ELb0ELb1ELb1ELb0ES1_KS1_S1_Ev17rocblas_diagonal_iiT6_lPT7_lllS6_lllPT8_llli,comdat
	.globl	_ZL30rocblas_trmm_outofplace_kernelI19rocblas_complex_numIfELi32ELi2ELb0ELb1ELb1ELb0ES1_KS1_S1_Ev17rocblas_diagonal_iiT6_lPT7_lllS6_lllPT8_llli ; -- Begin function _ZL30rocblas_trmm_outofplace_kernelI19rocblas_complex_numIfELi32ELi2ELb0ELb1ELb1ELb0ES1_KS1_S1_Ev17rocblas_diagonal_iiT6_lPT7_lllS6_lllPT8_llli
	.p2align	8
	.type	_ZL30rocblas_trmm_outofplace_kernelI19rocblas_complex_numIfELi32ELi2ELb0ELb1ELb1ELb0ES1_KS1_S1_Ev17rocblas_diagonal_iiT6_lPT7_lllS6_lllPT8_llli,@function
_ZL30rocblas_trmm_outofplace_kernelI19rocblas_complex_numIfELi32ELi2ELb0ELb1ELb1ELb0ES1_KS1_S1_Ev17rocblas_diagonal_iiT6_lPT7_lllS6_lllPT8_llli: ; @_ZL30rocblas_trmm_outofplace_kernelI19rocblas_complex_numIfELi32ELi2ELb0ELb1ELb1ELb0ES1_KS1_S1_Ev17rocblas_diagonal_iiT6_lPT7_lllS6_lllPT8_llli
; %bb.0:
	s_load_dwordx4 s[28:31], s[4:5], 0x0
	s_load_dword s33, s[4:5], 0x10
	s_mov_b64 s[70:71], s[2:3]
	s_mov_b64 s[68:69], s[0:1]
	s_add_u32 s68, s68, s9
	s_addc_u32 s69, s69, 0
	s_waitcnt lgkmcnt(0)
	s_or_b32 s0, s31, s33
	s_bitset0_b32 s0, 31
	s_cmp_eq_u32 s0, 0
	s_cbranch_scc1 .LBB91_64
; %bb.1:
	s_add_i32 s0, s30, -1
	s_ashr_i32 s1, s0, 31
	s_lshr_b32 s1, s1, 27
	s_add_i32 s0, s0, s1
	s_ashr_i32 s60, s0, 5
	s_cmp_gt_i32 s7, s60
	s_cbranch_scc1 .LBB91_64
; %bb.2:
	s_load_dwordx8 s[20:27], s[4:5], 0x60
	s_load_dwordx16 s[36:51], s[4:5], 0x20
	v_lshl_add_u32 v2, s6, 5, v0
	s_load_dword s6, s[4:5], 0x8c
	v_ashrrev_i32_e32 v3, 31, v2
	s_waitcnt lgkmcnt(0)
	s_mul_i32 s1, s27, s8
	s_mul_hi_u32 s2, s26, s8
	s_mul_i32 s0, s26, s8
	s_add_i32 s1, s2, s1
	s_lshl_b64 s[0:1], s[0:1], 3
	s_add_u32 s2, s20, s0
	s_addc_u32 s3, s21, s1
	s_lshl_b64 s[0:1], s[22:23], 3
	s_add_u32 s61, s2, s0
	s_addc_u32 s62, s3, s1
	s_cmpk_eq_i32 s28, 0x84
	s_cselect_b64 s[22:23], -1, 0
	s_ashr_i32 s27, s30, 31
	s_ashr_i32 s0, s29, 31
	s_lshl_b64 s[34:35], s[40:41], 8
	s_lshl_b64 s[52:53], s[48:49], 8
	v_mov_b32_e32 v5, s0
	v_sub_co_u32_e32 v4, vcc, s29, v2
	s_add_u32 s54, s30, -16
	v_subb_co_u32_e32 v5, vcc, v5, v3, vcc
	s_addc_u32 s55, s27, -1
	s_lshl_b32 s9, s7, 5
	s_lshl_b32 s63, s6, 5
	v_cmp_gt_i64_e64 s[0:1], 1, v[4:5]
	v_cmp_gt_i64_e64 s[2:3], 17, v[4:5]
	v_add_u32_e32 v4, 16, v2
	v_add_u32_e32 v24, s9, v0
	;; [unrolled: 1-line block ×3, first 2 shown]
	s_add_u32 s28, s44, 0x80
	s_mul_i32 s9, s51, s8
	s_mul_hi_u32 s10, s50, s8
	v_cmp_gt_i32_e64 s[4:5], s29, v2
	v_cmp_gt_i32_e64 s[16:17], s29, v4
	s_addc_u32 s29, s45, 0
	s_add_i32 s11, s10, s9
	s_mul_i32 s10, s50, s8
	v_ashrrev_i32_e32 v5, 31, v4
	s_lshl_b64 s[56:57], s[48:49], 3
	s_lshl_b64 s[10:11], s[10:11], 3
	;; [unrolled: 1-line block ×3, first 2 shown]
	v_lshlrev_b64 v[2:3], 3, v[2:3]
	buffer_store_dword v4, off, s[68:71], 0 offset:8 ; 4-byte Folded Spill
	s_nop 0
	buffer_store_dword v5, off, s[68:71], 0 offset:12 ; 4-byte Folded Spill
	s_add_u32 s9, s10, s12
	v_add_co_u32_e32 v4, vcc, s9, v2
	buffer_store_dword v2, off, s[68:71], 0 offset:16 ; 4-byte Folded Spill
	s_nop 0
	buffer_store_dword v3, off, s[68:71], 0 offset:20 ; 4-byte Folded Spill
	s_addc_u32 s10, s11, s13
	v_lshlrev_b32_e32 v6, 3, v0
	v_mov_b32_e32 v0, s10
	s_mul_i32 s9, s43, s8
	s_mul_hi_u32 s10, s42, s8
	s_add_i32 s9, s10, s9
	s_mul_i32 s8, s42, s8
	s_lshl_b64 s[8:9], s[8:9], 3
	s_lshl_b64 s[10:11], s[38:39], 3
	s_add_u32 s8, s8, s10
	s_addc_u32 s9, s9, s11
	v_lshlrev_b32_e32 v56, 8, v1
	v_or_b32_e32 v58, 0x2000, v6
	s_add_u32 s36, s36, s8
	s_mov_b32 s26, s30
	v_add_u32_e32 v57, v56, v6
	v_add_u32_e32 v59, v58, v56
	s_addc_u32 s37, s37, s9
	s_lshl_b64 s[38:39], s[40:41], 3
	s_movk_i32 s64, 0x80
	v_mov_b32_e32 v33, 0
	v_mov_b32_e32 v32, 1.0
	v_addc_co_u32_e32 v5, vcc, v0, v3, vcc
	buffer_store_dword v4, off, s[68:71], 0 offset:24 ; 4-byte Folded Spill
	s_nop 0
	buffer_store_dword v5, off, s[68:71], 0 offset:28 ; 4-byte Folded Spill
	s_branch .LBB91_4
.LBB91_3:                               ;   in Loop: Header=BB91_4 Depth=1
	s_or_b64 exec, exec, s[8:9]
	s_add_i32 s7, s6, s7
	v_add_u32_e32 v24, s63, v24
	s_cmp_le_i32 s7, s60
	v_add_u32_e32 v26, s63, v26
	s_cbranch_scc0 .LBB91_64
.LBB91_4:                               ; =>This Loop Header: Depth=1
                                        ;     Child Loop BB91_7 Depth 2
	s_lshl_b32 s8, s7, 5
	v_add_u32_e32 v34, s8, v1
	s_sub_i32 s65, s30, s8
	v_ashrrev_i32_e32 v25, 31, v24
	v_ashrrev_i32_e32 v27, 31, v26
	s_cmp_lt_i32 s65, 1
	v_ashrrev_i32_e32 v35, 31, v34
	s_cbranch_scc1 .LBB91_55
; %bb.5:                                ;   in Loop: Header=BB91_4 Depth=1
	v_mov_b32_e32 v2, s28
	v_mov_b32_e32 v3, s29
	v_sub_co_u32_e32 v36, vcc, v26, v24
	v_mad_u64_u32 v[38:39], s[8:9], s56, v26, v[2:3]
	v_lshlrev_b64 v[2:3], 3, v[24:25]
	v_subb_co_u32_e32 v37, vcc, v27, v25, vcc
	v_add_co_u32_e32 v5, vcc, 0x80, v2
	v_lshlrev_b64 v[40:41], 3, v[26:27]
	v_addc_co_u32_e32 v2, vcc, 0, v3, vcc
	v_mul_lo_u32 v6, s40, v2
	v_mov_b32_e32 v2, s36
	v_mov_b32_e32 v3, s37
	v_add_co_u32_e32 v9, vcc, s64, v40
	v_mad_u64_u32 v[42:43], s[8:9], s40, v5, v[2:3]
	v_mad_u64_u32 v[44:45], s[8:9], s38, v24, v[2:3]
	v_addc_co_u32_e32 v2, vcc, 0, v41, vcc
	v_mul_lo_u32 v10, s48, v2
	v_mov_b32_e32 v2, s44
	v_mov_b32_e32 v3, s45
	v_mad_u64_u32 v[46:47], s[8:9], s48, v9, v[2:3]
	v_mul_lo_u32 v2, s49, v9
	v_mul_lo_u32 v0, s56, v27
	;; [unrolled: 1-line block ×4, first 2 shown]
	v_add3_u32 v47, v2, v47, v10
	v_add_co_u32_e64 v2, s[10:11], 16, v36
	v_addc_co_u32_e64 v3, s[10:11], 0, v37, s[10:11]
	buffer_store_dword v2, off, s[68:71], 0 ; 4-byte Folded Spill
	s_nop 0
	buffer_store_dword v3, off, s[68:71], 0 offset:4 ; 4-byte Folded Spill
	buffer_load_dword v54, off, s[68:71], 0 offset:24 ; 4-byte Folded Reload
	buffer_load_dword v55, off, s[68:71], 0 offset:28 ; 4-byte Folded Reload
	v_mul_lo_u32 v5, s38, v25
	v_mul_lo_u32 v8, s39, v24
	v_add_co_u32_e64 v48, s[8:9], 16, v34
	v_addc_co_u32_e64 v49, s[8:9], 0, v35, s[8:9]
	v_cmp_le_i64_e64 s[8:9], s[26:27], v[48:49]
	v_add_co_u32_e64 v52, s[10:11], -16, v36
	v_add3_u32 v39, v4, v39, v0
	v_add3_u32 v43, v7, v43, v6
	;; [unrolled: 1-line block ×3, first 2 shown]
	v_cmp_le_i32_e32 vcc, s30, v34
	v_addc_co_u32_e64 v53, s[10:11], -1, v37, s[10:11]
	v_mov_b32_e32 v0, 0
	s_mov_b64 s[42:43], 0
	v_mov_b32_e32 v14, 0
	v_mov_b32_e32 v16, 0
	;; [unrolled: 1-line block ×7, first 2 shown]
	s_branch .LBB91_7
.LBB91_6:                               ;   in Loop: Header=BB91_7 Depth=2
	s_or_b64 exec, exec, s[10:11]
	s_waitcnt lgkmcnt(0)
	s_barrier
	ds_read_b128 v[60:63], v56
	ds_read_b128 v[10:13], v56 offset:16
	ds_read_b128 v[6:9], v56 offset:32
	;; [unrolled: 1-line block ×3, first 2 shown]
	ds_read2_b64 v[28:31], v58 offset1:16
	v_add_co_u32_e64 v54, s[10:11], s52, v54
	s_add_u32 s42, s42, 32
	s_addc_u32 s43, s43, 0
	s_waitcnt lgkmcnt(0)
	v_mul_f32_e32 v21, v61, v29
	v_mul_f32_e32 v22, v60, v29
	v_fma_f32 v21, v60, v28, -v21
	v_fmac_f32_e32 v22, v61, v28
	v_add_f32_e32 v21, v19, v21
	v_add_f32_e32 v22, v20, v22
	v_mul_f32_e32 v19, v61, v31
	v_mul_f32_e32 v20, v60, v31
	v_fma_f32 v19, v60, v30, -v19
	v_fmac_f32_e32 v20, v61, v30
	v_add_f32_e32 v23, v17, v19
	v_add_f32_e32 v60, v18, v20
	ds_read_b128 v[17:20], v56 offset:4096
	s_cmp_ge_i32 s42, s65
	s_waitcnt lgkmcnt(0)
	v_mul_f32_e32 v61, v18, v29
	v_mul_f32_e32 v29, v17, v29
	v_fma_f32 v61, v17, v28, -v61
	v_fmac_f32_e32 v29, v18, v28
	v_add_f32_e32 v28, v15, v61
	v_add_f32_e32 v29, v16, v29
	v_mul_f32_e32 v15, v18, v31
	v_mul_f32_e32 v16, v17, v31
	v_fma_f32 v15, v17, v30, -v15
	v_fmac_f32_e32 v16, v18, v30
	v_add_f32_e32 v18, v14, v15
	v_add_f32_e32 v0, v0, v16
	ds_read2_b64 v[14:17], v58 offset0:32 offset1:48
	s_waitcnt lgkmcnt(0)
	v_mul_f32_e32 v30, v63, v15
	v_fma_f32 v30, v62, v14, -v30
	v_add_f32_e32 v21, v21, v30
	v_mul_f32_e32 v30, v63, v17
	v_mul_f32_e32 v31, v62, v15
	v_fma_f32 v30, v62, v16, -v30
	v_fmac_f32_e32 v31, v63, v14
	v_add_f32_e32 v23, v23, v30
	v_mul_f32_e32 v30, v20, v15
	v_mul_f32_e32 v15, v19, v15
	v_add_f32_e32 v22, v22, v31
	v_mul_f32_e32 v31, v62, v17
	v_fmac_f32_e32 v15, v20, v14
	v_fmac_f32_e32 v31, v63, v16
	v_fma_f32 v30, v19, v14, -v30
	v_add_f32_e32 v63, v29, v15
	v_mul_f32_e32 v14, v20, v17
	v_mul_f32_e32 v15, v19, v17
	v_fma_f32 v14, v19, v16, -v14
	v_fmac_f32_e32 v15, v20, v16
	v_add_f32_e32 v50, v60, v31
	v_add_f32_e32 v62, v28, v30
	;; [unrolled: 1-line block ×4, first 2 shown]
	ds_read2_b64 v[14:17], v58 offset0:64 offset1:80
	s_waitcnt lgkmcnt(0)
	v_mul_f32_e32 v0, v11, v15
	v_mul_f32_e32 v18, v10, v15
	v_fma_f32 v0, v10, v14, -v0
	v_fmac_f32_e32 v18, v11, v14
	v_add_f32_e32 v60, v21, v0
	v_add_f32_e32 v61, v22, v18
	ds_read_b128 v[18:21], v56 offset:4112
	v_mul_f32_e32 v0, v11, v17
	v_fma_f32 v0, v10, v16, -v0
	v_mul_f32_e32 v10, v10, v17
	v_fmac_f32_e32 v10, v11, v16
	s_waitcnt lgkmcnt(0)
	v_mul_f32_e32 v11, v19, v15
	v_mul_f32_e32 v15, v18, v15
	v_fmac_f32_e32 v15, v19, v14
	v_fma_f32 v11, v18, v14, -v11
	v_add_f32_e32 v22, v63, v15
	v_mul_f32_e32 v14, v19, v17
	v_mul_f32_e32 v15, v18, v17
	v_fma_f32 v14, v18, v16, -v14
	v_fmac_f32_e32 v15, v19, v16
	v_add_f32_e32 v18, v30, v14
	v_add_f32_e32 v19, v31, v15
	ds_read2_b64 v[14:17], v58 offset0:96 offset1:112
	v_add_f32_e32 v0, v23, v0
	v_add_f32_e32 v10, v50, v10
	;; [unrolled: 1-line block ×3, first 2 shown]
	s_waitcnt lgkmcnt(0)
	v_mul_f32_e32 v23, v13, v15
	v_mul_f32_e32 v29, v13, v17
	v_fma_f32 v23, v12, v14, -v23
	v_mul_f32_e32 v28, v12, v15
	v_fma_f32 v29, v12, v16, -v29
	v_mul_f32_e32 v12, v12, v17
	v_fmac_f32_e32 v12, v13, v16
	v_add_f32_e32 v0, v0, v29
	v_add_f32_e32 v29, v10, v12
	v_mul_f32_e32 v10, v21, v15
	v_fma_f32 v10, v20, v14, -v10
	v_mul_f32_e32 v12, v20, v15
	v_fmac_f32_e32 v28, v13, v14
	v_fmac_f32_e32 v12, v21, v14
	v_add_f32_e32 v14, v11, v10
	v_mul_f32_e32 v10, v21, v17
	v_mul_f32_e32 v11, v20, v17
	v_fma_f32 v10, v20, v16, -v10
	v_fmac_f32_e32 v11, v21, v16
	v_add_f32_e32 v15, v22, v12
	v_add_f32_e32 v20, v18, v10
	;; [unrolled: 1-line block ×3, first 2 shown]
	ds_read2_b64 v[10:13], v58 offset0:128 offset1:144
	v_add_f32_e32 v23, v60, v23
	v_add_f32_e32 v28, v61, v28
	s_waitcnt lgkmcnt(0)
	v_mul_f32_e32 v16, v7, v11
	v_fma_f32 v16, v6, v10, -v16
	v_mul_f32_e32 v17, v6, v11
	v_add_f32_e32 v22, v23, v16
	v_mul_f32_e32 v16, v7, v13
	v_fmac_f32_e32 v17, v7, v10
	v_fma_f32 v16, v6, v12, -v16
	v_add_f32_e32 v23, v28, v17
	v_add_f32_e32 v0, v0, v16
	ds_read_b128 v[16:19], v56 offset:4128
	v_mul_f32_e32 v6, v6, v13
	v_fmac_f32_e32 v6, v7, v12
	v_add_f32_e32 v6, v29, v6
	s_waitcnt lgkmcnt(0)
	v_mul_f32_e32 v7, v17, v11
	v_mul_f32_e32 v11, v16, v11
	v_fma_f32 v7, v16, v10, -v7
	v_fmac_f32_e32 v11, v17, v10
	v_add_f32_e32 v7, v14, v7
	v_add_f32_e32 v14, v15, v11
	v_mul_f32_e32 v10, v17, v13
	v_mul_f32_e32 v11, v16, v13
	v_fma_f32 v10, v16, v12, -v10
	v_fmac_f32_e32 v11, v17, v12
	v_add_f32_e32 v15, v20, v10
	v_add_f32_e32 v20, v21, v11
	ds_read2_b64 v[10:13], v58 offset0:160 offset1:176
	s_waitcnt lgkmcnt(0)
	v_mul_f32_e32 v16, v9, v11
	v_fma_f32 v16, v8, v10, -v16
	v_add_f32_e32 v21, v22, v16
	v_mul_f32_e32 v16, v9, v13
	v_mul_f32_e32 v17, v8, v11
	v_fma_f32 v16, v8, v12, -v16
	v_mul_f32_e32 v8, v8, v13
	v_fmac_f32_e32 v17, v9, v10
	v_fmac_f32_e32 v8, v9, v12
	v_add_f32_e32 v22, v23, v17
	v_add_f32_e32 v23, v6, v8
	v_mul_f32_e32 v6, v19, v11
	v_fma_f32 v6, v18, v10, -v6
	v_add_f32_e32 v0, v0, v16
	v_mul_f32_e32 v8, v18, v11
	v_add_f32_e32 v16, v7, v6
	v_mul_f32_e32 v6, v19, v13
	v_mul_f32_e32 v7, v18, v13
	v_fmac_f32_e32 v8, v19, v10
	v_fma_f32 v6, v18, v12, -v6
	v_fmac_f32_e32 v7, v19, v12
	v_add_f32_e32 v17, v14, v8
	v_add_f32_e32 v18, v15, v6
	;; [unrolled: 1-line block ×3, first 2 shown]
	ds_read2_b64 v[6:9], v58 offset0:192 offset1:208
	s_waitcnt lgkmcnt(0)
	v_mul_f32_e32 v10, v3, v7
	v_fma_f32 v10, v2, v6, -v10
	v_mul_f32_e32 v11, v2, v7
	v_add_f32_e32 v14, v21, v10
	v_mul_f32_e32 v10, v3, v9
	v_fmac_f32_e32 v11, v3, v6
	v_fma_f32 v10, v2, v8, -v10
	v_add_f32_e32 v15, v22, v11
	v_add_f32_e32 v0, v0, v10
	ds_read_b128 v[10:13], v56 offset:4144
	v_mul_f32_e32 v2, v2, v9
	v_fmac_f32_e32 v2, v3, v8
	v_add_f32_e32 v2, v23, v2
	s_waitcnt lgkmcnt(0)
	v_mul_f32_e32 v3, v11, v7
	v_mul_f32_e32 v7, v10, v7
	v_fma_f32 v3, v10, v6, -v3
	v_fmac_f32_e32 v7, v11, v6
	v_add_f32_e32 v3, v16, v3
	v_add_f32_e32 v16, v17, v7
	v_mul_f32_e32 v6, v11, v9
	v_mul_f32_e32 v7, v10, v9
	v_fma_f32 v6, v10, v8, -v6
	v_fmac_f32_e32 v7, v11, v8
	v_add_f32_e32 v10, v18, v6
	v_add_f32_e32 v11, v19, v7
	ds_read2_b64 v[6:9], v58 offset0:224 offset1:240
	s_waitcnt lgkmcnt(0)
	v_mul_f32_e32 v17, v5, v7
	v_fma_f32 v17, v4, v6, -v17
	v_add_f32_e32 v14, v14, v17
	v_mul_f32_e32 v17, v5, v9
	v_mul_f32_e32 v18, v4, v7
	v_fma_f32 v17, v4, v8, -v17
	v_mul_f32_e32 v4, v4, v9
	v_fmac_f32_e32 v18, v5, v6
	v_fmac_f32_e32 v4, v5, v8
	v_add_f32_e32 v17, v0, v17
	v_mul_f32_e32 v0, v13, v7
	v_add_f32_e32 v15, v15, v18
	v_add_f32_e32 v18, v2, v4
	v_fma_f32 v0, v12, v6, -v0
	v_mul_f32_e32 v2, v12, v7
	v_fmac_f32_e32 v2, v13, v6
	v_add_f32_e32 v19, v3, v0
	v_mul_f32_e32 v0, v13, v9
	v_add_f32_e32 v20, v16, v2
	v_fma_f32 v0, v12, v8, -v0
	v_mul_f32_e32 v2, v12, v9
	v_fmac_f32_e32 v2, v13, v8
	v_add_f32_e32 v10, v10, v0
	v_add_u32_e32 v0, 0x800, v58
	v_add_f32_e32 v11, v11, v2
	ds_read_b128 v[2:5], v56 offset:64
	ds_read2_b64 v[6:9], v0 offset1:16
	s_waitcnt lgkmcnt(0)
	v_mul_f32_e32 v12, v3, v7
	v_fma_f32 v12, v2, v6, -v12
	v_mul_f32_e32 v13, v2, v7
	v_add_f32_e32 v12, v14, v12
	v_mul_f32_e32 v14, v3, v9
	v_fmac_f32_e32 v13, v3, v6
	v_fma_f32 v14, v2, v8, -v14
	v_mul_f32_e32 v2, v2, v9
	v_add_f32_e32 v13, v15, v13
	v_fmac_f32_e32 v2, v3, v8
	v_add_f32_e32 v3, v17, v14
	ds_read_b128 v[14:17], v56 offset:4160
	v_add_f32_e32 v2, v18, v2
	s_waitcnt lgkmcnt(0)
	v_mul_f32_e32 v18, v15, v7
	v_mul_f32_e32 v7, v14, v7
	v_fma_f32 v18, v14, v6, -v18
	v_fmac_f32_e32 v7, v15, v6
	v_add_f32_e32 v18, v19, v18
	v_add_f32_e32 v19, v20, v7
	v_mul_f32_e32 v6, v15, v9
	v_mul_f32_e32 v7, v14, v9
	v_fma_f32 v6, v14, v8, -v6
	v_fmac_f32_e32 v7, v15, v8
	v_add_f32_e32 v20, v10, v6
	v_add_f32_e32 v21, v11, v7
	ds_read2_b64 v[6:9], v0 offset0:32 offset1:48
	s_waitcnt lgkmcnt(0)
	v_mul_f32_e32 v10, v5, v7
	v_fma_f32 v10, v4, v6, -v10
	v_add_f32_e32 v10, v12, v10
	v_mul_f32_e32 v12, v5, v9
	v_mul_f32_e32 v11, v4, v7
	v_fma_f32 v12, v4, v8, -v12
	v_mul_f32_e32 v4, v4, v9
	v_fmac_f32_e32 v11, v5, v6
	v_fmac_f32_e32 v4, v5, v8
	v_add_f32_e32 v11, v13, v11
	v_add_f32_e32 v12, v3, v12
	;; [unrolled: 1-line block ×3, first 2 shown]
	v_mul_f32_e32 v2, v17, v7
	v_mul_f32_e32 v3, v16, v7
	v_fma_f32 v2, v16, v6, -v2
	v_fmac_f32_e32 v3, v17, v6
	v_add_f32_e32 v14, v18, v2
	v_add_f32_e32 v15, v19, v3
	v_mul_f32_e32 v2, v17, v9
	v_mul_f32_e32 v3, v16, v9
	v_fma_f32 v2, v16, v8, -v2
	v_fmac_f32_e32 v3, v17, v8
	v_add_f32_e32 v16, v20, v2
	v_add_f32_e32 v17, v21, v3
	ds_read_b128 v[2:5], v56 offset:80
	ds_read2_b64 v[6:9], v0 offset0:64 offset1:80
	s_waitcnt lgkmcnt(0)
	v_mul_f32_e32 v18, v3, v7
	v_mul_f32_e32 v19, v2, v7
	v_fma_f32 v18, v2, v6, -v18
	v_fmac_f32_e32 v19, v3, v6
	v_add_f32_e32 v18, v10, v18
	v_add_f32_e32 v19, v11, v19
	v_mul_f32_e32 v10, v3, v9
	v_mul_f32_e32 v11, v2, v9
	v_fma_f32 v10, v2, v8, -v10
	v_fmac_f32_e32 v11, v3, v8
	v_add_f32_e32 v2, v12, v10
	v_add_f32_e32 v3, v13, v11
	ds_read_b128 v[10:13], v56 offset:4176
	s_waitcnt lgkmcnt(0)
	v_mul_f32_e32 v20, v11, v7
	v_mul_f32_e32 v7, v10, v7
	v_fmac_f32_e32 v7, v11, v6
	v_fma_f32 v20, v10, v6, -v20
	v_add_f32_e32 v15, v15, v7
	v_mul_f32_e32 v6, v11, v9
	v_mul_f32_e32 v7, v10, v9
	v_fma_f32 v6, v10, v8, -v6
	v_fmac_f32_e32 v7, v11, v8
	v_add_f32_e32 v10, v16, v6
	v_add_f32_e32 v11, v17, v7
	ds_read2_b64 v[6:9], v0 offset0:96 offset1:112
	v_add_f32_e32 v14, v14, v20
	s_waitcnt lgkmcnt(0)
	v_mul_f32_e32 v16, v5, v7
	v_fma_f32 v16, v4, v6, -v16
	v_add_f32_e32 v16, v18, v16
	v_mul_f32_e32 v18, v5, v9
	v_mul_f32_e32 v17, v4, v7
	v_fma_f32 v18, v4, v8, -v18
	v_mul_f32_e32 v4, v4, v9
	v_fmac_f32_e32 v17, v5, v6
	v_fmac_f32_e32 v4, v5, v8
	v_add_f32_e32 v17, v19, v17
	v_add_f32_e32 v18, v2, v18
	;; [unrolled: 1-line block ×3, first 2 shown]
	v_mul_f32_e32 v2, v13, v7
	v_mul_f32_e32 v3, v12, v7
	v_fma_f32 v2, v12, v6, -v2
	v_fmac_f32_e32 v3, v13, v6
	v_add_f32_e32 v20, v14, v2
	v_add_f32_e32 v21, v15, v3
	v_mul_f32_e32 v2, v13, v9
	v_mul_f32_e32 v3, v12, v9
	v_fma_f32 v2, v12, v8, -v2
	v_fmac_f32_e32 v3, v13, v8
	v_add_f32_e32 v10, v10, v2
	v_add_f32_e32 v11, v11, v3
	ds_read_b128 v[2:5], v56 offset:96
	ds_read2_b64 v[6:9], v0 offset0:128 offset1:144
	s_waitcnt lgkmcnt(0)
	v_mul_f32_e32 v12, v3, v7
	v_mul_f32_e32 v13, v2, v7
	;; [unrolled: 1-line block ×3, first 2 shown]
	v_fma_f32 v12, v2, v6, -v12
	v_fmac_f32_e32 v13, v3, v6
	v_fma_f32 v14, v2, v8, -v14
	v_mul_f32_e32 v2, v2, v9
	v_add_f32_e32 v12, v16, v12
	v_add_f32_e32 v13, v17, v13
	v_fmac_f32_e32 v2, v3, v8
	v_add_f32_e32 v3, v18, v14
	ds_read_b128 v[14:17], v56 offset:4192
	v_add_f32_e32 v2, v19, v2
	s_waitcnt lgkmcnt(0)
	v_mul_f32_e32 v18, v15, v7
	v_mul_f32_e32 v7, v14, v7
	v_fmac_f32_e32 v7, v15, v6
	v_fma_f32 v18, v14, v6, -v18
	v_add_f32_e32 v19, v21, v7
	v_mul_f32_e32 v6, v15, v9
	v_mul_f32_e32 v7, v14, v9
	v_fma_f32 v6, v14, v8, -v6
	v_fmac_f32_e32 v7, v15, v8
	v_add_f32_e32 v18, v20, v18
	v_add_f32_e32 v20, v10, v6
	;; [unrolled: 1-line block ×3, first 2 shown]
	ds_read2_b64 v[6:9], v0 offset0:160 offset1:176
	s_waitcnt lgkmcnt(0)
	v_mul_f32_e32 v10, v5, v7
	v_fma_f32 v10, v4, v6, -v10
	v_add_f32_e32 v10, v12, v10
	v_mul_f32_e32 v12, v5, v9
	v_mul_f32_e32 v11, v4, v7
	v_fma_f32 v12, v4, v8, -v12
	v_mul_f32_e32 v4, v4, v9
	v_fmac_f32_e32 v11, v5, v6
	v_fmac_f32_e32 v4, v5, v8
	v_add_f32_e32 v11, v13, v11
	v_add_f32_e32 v12, v3, v12
	v_add_f32_e32 v13, v2, v4
	v_mul_f32_e32 v2, v17, v7
	v_mul_f32_e32 v3, v16, v7
	v_fma_f32 v2, v16, v6, -v2
	v_fmac_f32_e32 v3, v17, v6
	v_add_f32_e32 v14, v18, v2
	v_add_f32_e32 v15, v19, v3
	v_mul_f32_e32 v2, v17, v9
	v_mul_f32_e32 v3, v16, v9
	v_fma_f32 v2, v16, v8, -v2
	v_fmac_f32_e32 v3, v17, v8
	v_add_f32_e32 v16, v20, v2
	v_add_f32_e32 v17, v21, v3
	ds_read_b128 v[2:5], v56 offset:112
	ds_read2_b64 v[6:9], v0 offset0:192 offset1:208
	s_waitcnt lgkmcnt(0)
	v_mul_f32_e32 v18, v3, v7
	v_mul_f32_e32 v19, v2, v7
	v_fma_f32 v18, v2, v6, -v18
	v_fmac_f32_e32 v19, v3, v6
	v_add_f32_e32 v18, v10, v18
	v_add_f32_e32 v19, v11, v19
	v_mul_f32_e32 v10, v3, v9
	v_mul_f32_e32 v11, v2, v9
	v_fma_f32 v10, v2, v8, -v10
	v_fmac_f32_e32 v11, v3, v8
	v_add_f32_e32 v2, v12, v10
	v_add_f32_e32 v3, v13, v11
	ds_read_b128 v[10:13], v56 offset:4208
	s_waitcnt lgkmcnt(0)
	v_mul_f32_e32 v20, v11, v7
	v_mul_f32_e32 v7, v10, v7
	v_fmac_f32_e32 v7, v11, v6
	v_fma_f32 v20, v10, v6, -v20
	v_add_f32_e32 v15, v15, v7
	v_mul_f32_e32 v6, v11, v9
	v_mul_f32_e32 v7, v10, v9
	v_fma_f32 v6, v10, v8, -v6
	v_fmac_f32_e32 v7, v11, v8
	v_add_f32_e32 v10, v16, v6
	v_add_f32_e32 v11, v17, v7
	ds_read2_b64 v[6:9], v0 offset0:224 offset1:240
	v_add_f32_e32 v14, v14, v20
	s_waitcnt lgkmcnt(0)
	v_mul_f32_e32 v0, v5, v7
	v_fma_f32 v0, v4, v6, -v0
	v_add_f32_e32 v17, v18, v0
	v_mul_f32_e32 v0, v5, v9
	v_fma_f32 v0, v4, v8, -v0
	v_add_f32_e32 v18, v2, v0
	v_mul_f32_e32 v0, v13, v7
	v_fma_f32 v0, v12, v6, -v0
	v_mul_f32_e32 v2, v12, v7
	v_fmac_f32_e32 v2, v13, v6
	v_add_f32_e32 v20, v14, v0
	v_mul_f32_e32 v0, v13, v9
	v_mul_f32_e32 v16, v4, v7
	;; [unrolled: 1-line block ×3, first 2 shown]
	v_add_f32_e32 v21, v15, v2
	v_fma_f32 v0, v12, v8, -v0
	v_mul_f32_e32 v2, v12, v9
	v_fmac_f32_e32 v16, v5, v6
	v_fmac_f32_e32 v4, v5, v8
	;; [unrolled: 1-line block ×3, first 2 shown]
	v_add_f32_e32 v10, v10, v0
	v_add_u32_e32 v0, 0x1000, v58
	v_add_f32_e32 v16, v19, v16
	v_add_f32_e32 v19, v3, v4
	;; [unrolled: 1-line block ×3, first 2 shown]
	ds_read_b128 v[2:5], v56 offset:128
	ds_read2_b64 v[6:9], v0 offset1:16
	s_waitcnt lgkmcnt(0)
	v_mul_f32_e32 v12, v3, v7
	v_mul_f32_e32 v13, v2, v7
	;; [unrolled: 1-line block ×3, first 2 shown]
	v_fma_f32 v12, v2, v6, -v12
	v_fmac_f32_e32 v13, v3, v6
	v_fma_f32 v14, v2, v8, -v14
	v_mul_f32_e32 v2, v2, v9
	v_add_f32_e32 v12, v17, v12
	v_add_f32_e32 v13, v16, v13
	v_fmac_f32_e32 v2, v3, v8
	v_add_f32_e32 v3, v18, v14
	ds_read_b128 v[14:17], v56 offset:4224
	v_add_f32_e32 v2, v19, v2
	s_waitcnt lgkmcnt(0)
	v_mul_f32_e32 v18, v15, v7
	v_mul_f32_e32 v7, v14, v7
	v_fmac_f32_e32 v7, v15, v6
	v_fma_f32 v18, v14, v6, -v18
	v_add_f32_e32 v19, v21, v7
	v_mul_f32_e32 v6, v15, v9
	v_mul_f32_e32 v7, v14, v9
	v_fma_f32 v6, v14, v8, -v6
	v_fmac_f32_e32 v7, v15, v8
	v_add_f32_e32 v18, v20, v18
	v_add_f32_e32 v20, v10, v6
	;; [unrolled: 1-line block ×3, first 2 shown]
	ds_read2_b64 v[6:9], v0 offset0:32 offset1:48
	s_waitcnt lgkmcnt(0)
	v_mul_f32_e32 v10, v5, v7
	v_fma_f32 v10, v4, v6, -v10
	v_add_f32_e32 v10, v12, v10
	v_mul_f32_e32 v12, v5, v9
	v_mul_f32_e32 v11, v4, v7
	v_fma_f32 v12, v4, v8, -v12
	v_mul_f32_e32 v4, v4, v9
	v_fmac_f32_e32 v11, v5, v6
	v_fmac_f32_e32 v4, v5, v8
	v_add_f32_e32 v11, v13, v11
	v_add_f32_e32 v12, v3, v12
	;; [unrolled: 1-line block ×3, first 2 shown]
	v_mul_f32_e32 v2, v17, v7
	v_mul_f32_e32 v3, v16, v7
	v_fma_f32 v2, v16, v6, -v2
	v_fmac_f32_e32 v3, v17, v6
	v_add_f32_e32 v14, v18, v2
	v_add_f32_e32 v15, v19, v3
	v_mul_f32_e32 v2, v17, v9
	v_mul_f32_e32 v3, v16, v9
	v_fma_f32 v2, v16, v8, -v2
	v_fmac_f32_e32 v3, v17, v8
	v_add_f32_e32 v16, v20, v2
	v_add_f32_e32 v17, v21, v3
	ds_read_b128 v[2:5], v56 offset:144
	ds_read2_b64 v[6:9], v0 offset0:64 offset1:80
	s_waitcnt lgkmcnt(0)
	v_mul_f32_e32 v18, v3, v7
	v_mul_f32_e32 v19, v2, v7
	v_fma_f32 v18, v2, v6, -v18
	v_fmac_f32_e32 v19, v3, v6
	v_add_f32_e32 v18, v10, v18
	v_add_f32_e32 v19, v11, v19
	v_mul_f32_e32 v10, v3, v9
	v_mul_f32_e32 v11, v2, v9
	v_fma_f32 v10, v2, v8, -v10
	v_fmac_f32_e32 v11, v3, v8
	v_add_f32_e32 v2, v12, v10
	v_add_f32_e32 v3, v13, v11
	ds_read_b128 v[10:13], v56 offset:4240
	s_waitcnt lgkmcnt(0)
	v_mul_f32_e32 v20, v11, v7
	v_mul_f32_e32 v7, v10, v7
	v_fmac_f32_e32 v7, v11, v6
	v_fma_f32 v20, v10, v6, -v20
	v_add_f32_e32 v15, v15, v7
	v_mul_f32_e32 v6, v11, v9
	v_mul_f32_e32 v7, v10, v9
	v_fma_f32 v6, v10, v8, -v6
	v_fmac_f32_e32 v7, v11, v8
	v_add_f32_e32 v10, v16, v6
	v_add_f32_e32 v11, v17, v7
	ds_read2_b64 v[6:9], v0 offset0:96 offset1:112
	v_add_f32_e32 v14, v14, v20
	s_waitcnt lgkmcnt(0)
	v_mul_f32_e32 v16, v5, v7
	v_fma_f32 v16, v4, v6, -v16
	v_add_f32_e32 v16, v18, v16
	v_mul_f32_e32 v18, v5, v9
	v_mul_f32_e32 v17, v4, v7
	v_fma_f32 v18, v4, v8, -v18
	v_mul_f32_e32 v4, v4, v9
	v_fmac_f32_e32 v17, v5, v6
	v_fmac_f32_e32 v4, v5, v8
	v_add_f32_e32 v17, v19, v17
	v_add_f32_e32 v18, v2, v18
	;; [unrolled: 1-line block ×3, first 2 shown]
	v_mul_f32_e32 v2, v13, v7
	v_mul_f32_e32 v3, v12, v7
	v_fma_f32 v2, v12, v6, -v2
	v_fmac_f32_e32 v3, v13, v6
	v_add_f32_e32 v20, v14, v2
	v_add_f32_e32 v21, v15, v3
	v_mul_f32_e32 v2, v13, v9
	v_mul_f32_e32 v3, v12, v9
	v_fma_f32 v2, v12, v8, -v2
	v_fmac_f32_e32 v3, v13, v8
	v_add_f32_e32 v10, v10, v2
	v_add_f32_e32 v11, v11, v3
	ds_read_b128 v[2:5], v56 offset:160
	ds_read2_b64 v[6:9], v0 offset0:128 offset1:144
	s_waitcnt lgkmcnt(0)
	v_mul_f32_e32 v12, v3, v7
	v_mul_f32_e32 v13, v2, v7
	;; [unrolled: 1-line block ×3, first 2 shown]
	v_fma_f32 v12, v2, v6, -v12
	v_fmac_f32_e32 v13, v3, v6
	v_fma_f32 v14, v2, v8, -v14
	v_mul_f32_e32 v2, v2, v9
	v_add_f32_e32 v12, v16, v12
	v_add_f32_e32 v13, v17, v13
	v_fmac_f32_e32 v2, v3, v8
	v_add_f32_e32 v3, v18, v14
	ds_read_b128 v[14:17], v56 offset:4256
	v_add_f32_e32 v2, v19, v2
	s_waitcnt lgkmcnt(0)
	v_mul_f32_e32 v18, v15, v7
	v_mul_f32_e32 v7, v14, v7
	v_fmac_f32_e32 v7, v15, v6
	v_fma_f32 v18, v14, v6, -v18
	v_add_f32_e32 v19, v21, v7
	v_mul_f32_e32 v6, v15, v9
	v_mul_f32_e32 v7, v14, v9
	v_fma_f32 v6, v14, v8, -v6
	v_fmac_f32_e32 v7, v15, v8
	v_add_f32_e32 v18, v20, v18
	v_add_f32_e32 v20, v10, v6
	;; [unrolled: 1-line block ×3, first 2 shown]
	ds_read2_b64 v[6:9], v0 offset0:160 offset1:176
	s_waitcnt lgkmcnt(0)
	v_mul_f32_e32 v10, v5, v7
	v_fma_f32 v10, v4, v6, -v10
	v_add_f32_e32 v10, v12, v10
	v_mul_f32_e32 v12, v5, v9
	v_mul_f32_e32 v11, v4, v7
	v_fma_f32 v12, v4, v8, -v12
	v_mul_f32_e32 v4, v4, v9
	v_fmac_f32_e32 v11, v5, v6
	v_fmac_f32_e32 v4, v5, v8
	v_add_f32_e32 v11, v13, v11
	v_add_f32_e32 v12, v3, v12
	v_add_f32_e32 v13, v2, v4
	v_mul_f32_e32 v2, v17, v7
	v_mul_f32_e32 v3, v16, v7
	v_fma_f32 v2, v16, v6, -v2
	v_fmac_f32_e32 v3, v17, v6
	v_add_f32_e32 v14, v18, v2
	v_add_f32_e32 v15, v19, v3
	v_mul_f32_e32 v2, v17, v9
	v_mul_f32_e32 v3, v16, v9
	v_fma_f32 v2, v16, v8, -v2
	v_fmac_f32_e32 v3, v17, v8
	v_add_f32_e32 v16, v20, v2
	v_add_f32_e32 v17, v21, v3
	ds_read_b128 v[2:5], v56 offset:176
	ds_read2_b64 v[6:9], v0 offset0:192 offset1:208
	s_waitcnt lgkmcnt(0)
	v_mul_f32_e32 v18, v3, v7
	v_mul_f32_e32 v19, v2, v7
	v_fma_f32 v18, v2, v6, -v18
	v_fmac_f32_e32 v19, v3, v6
	v_add_f32_e32 v18, v10, v18
	v_add_f32_e32 v19, v11, v19
	v_mul_f32_e32 v10, v3, v9
	v_mul_f32_e32 v11, v2, v9
	v_fma_f32 v10, v2, v8, -v10
	v_fmac_f32_e32 v11, v3, v8
	v_add_f32_e32 v2, v12, v10
	v_add_f32_e32 v3, v13, v11
	ds_read_b128 v[10:13], v56 offset:4272
	s_waitcnt lgkmcnt(0)
	v_mul_f32_e32 v20, v11, v7
	v_mul_f32_e32 v7, v10, v7
	v_fmac_f32_e32 v7, v11, v6
	v_fma_f32 v20, v10, v6, -v20
	v_add_f32_e32 v15, v15, v7
	v_mul_f32_e32 v6, v11, v9
	v_mul_f32_e32 v7, v10, v9
	v_fma_f32 v6, v10, v8, -v6
	v_fmac_f32_e32 v7, v11, v8
	v_add_f32_e32 v10, v16, v6
	v_add_f32_e32 v11, v17, v7
	ds_read2_b64 v[6:9], v0 offset0:224 offset1:240
	v_add_f32_e32 v14, v14, v20
	s_waitcnt lgkmcnt(0)
	v_mul_f32_e32 v0, v5, v7
	v_fma_f32 v0, v4, v6, -v0
	v_add_f32_e32 v17, v18, v0
	v_mul_f32_e32 v0, v5, v9
	v_fma_f32 v0, v4, v8, -v0
	v_add_f32_e32 v18, v2, v0
	v_mul_f32_e32 v0, v13, v7
	v_fma_f32 v0, v12, v6, -v0
	v_mul_f32_e32 v2, v12, v7
	v_fmac_f32_e32 v2, v13, v6
	v_add_f32_e32 v20, v14, v0
	v_mul_f32_e32 v0, v13, v9
	v_mul_f32_e32 v16, v4, v7
	;; [unrolled: 1-line block ×3, first 2 shown]
	v_add_f32_e32 v21, v15, v2
	v_fma_f32 v0, v12, v8, -v0
	v_mul_f32_e32 v2, v12, v9
	v_fmac_f32_e32 v16, v5, v6
	v_fmac_f32_e32 v4, v5, v8
	;; [unrolled: 1-line block ×3, first 2 shown]
	v_add_f32_e32 v10, v10, v0
	v_add_u32_e32 v0, 0x1800, v58
	v_add_f32_e32 v16, v19, v16
	v_add_f32_e32 v19, v3, v4
	;; [unrolled: 1-line block ×3, first 2 shown]
	ds_read_b128 v[2:5], v56 offset:192
	ds_read2_b64 v[6:9], v0 offset1:16
	s_waitcnt lgkmcnt(0)
	v_mul_f32_e32 v12, v3, v7
	v_mul_f32_e32 v13, v2, v7
	v_mul_f32_e32 v14, v3, v9
	v_fma_f32 v12, v2, v6, -v12
	v_fmac_f32_e32 v13, v3, v6
	v_fma_f32 v14, v2, v8, -v14
	v_mul_f32_e32 v2, v2, v9
	v_add_f32_e32 v12, v17, v12
	v_add_f32_e32 v13, v16, v13
	v_fmac_f32_e32 v2, v3, v8
	v_add_f32_e32 v3, v18, v14
	ds_read_b128 v[14:17], v56 offset:4288
	v_add_f32_e32 v2, v19, v2
	s_waitcnt lgkmcnt(0)
	v_mul_f32_e32 v18, v15, v7
	v_mul_f32_e32 v7, v14, v7
	v_fmac_f32_e32 v7, v15, v6
	v_fma_f32 v18, v14, v6, -v18
	v_add_f32_e32 v19, v21, v7
	v_mul_f32_e32 v6, v15, v9
	v_mul_f32_e32 v7, v14, v9
	v_fma_f32 v6, v14, v8, -v6
	v_fmac_f32_e32 v7, v15, v8
	v_add_f32_e32 v18, v20, v18
	v_add_f32_e32 v20, v10, v6
	;; [unrolled: 1-line block ×3, first 2 shown]
	ds_read2_b64 v[6:9], v0 offset0:32 offset1:48
	s_waitcnt lgkmcnt(0)
	v_mul_f32_e32 v10, v5, v7
	v_fma_f32 v10, v4, v6, -v10
	v_add_f32_e32 v10, v12, v10
	v_mul_f32_e32 v12, v5, v9
	v_mul_f32_e32 v11, v4, v7
	v_fma_f32 v12, v4, v8, -v12
	v_mul_f32_e32 v4, v4, v9
	v_fmac_f32_e32 v11, v5, v6
	v_fmac_f32_e32 v4, v5, v8
	v_add_f32_e32 v11, v13, v11
	v_add_f32_e32 v12, v3, v12
	;; [unrolled: 1-line block ×3, first 2 shown]
	v_mul_f32_e32 v2, v17, v7
	v_mul_f32_e32 v3, v16, v7
	v_fma_f32 v2, v16, v6, -v2
	v_fmac_f32_e32 v3, v17, v6
	v_add_f32_e32 v14, v18, v2
	v_add_f32_e32 v15, v19, v3
	v_mul_f32_e32 v2, v17, v9
	v_mul_f32_e32 v3, v16, v9
	v_fma_f32 v2, v16, v8, -v2
	v_fmac_f32_e32 v3, v17, v8
	v_add_f32_e32 v16, v20, v2
	v_add_f32_e32 v17, v21, v3
	ds_read_b128 v[2:5], v56 offset:208
	ds_read2_b64 v[6:9], v0 offset0:64 offset1:80
	s_waitcnt lgkmcnt(0)
	v_mul_f32_e32 v18, v3, v7
	v_mul_f32_e32 v19, v2, v7
	v_fma_f32 v18, v2, v6, -v18
	v_fmac_f32_e32 v19, v3, v6
	v_add_f32_e32 v18, v10, v18
	v_add_f32_e32 v19, v11, v19
	v_mul_f32_e32 v10, v3, v9
	v_mul_f32_e32 v11, v2, v9
	v_fma_f32 v10, v2, v8, -v10
	v_fmac_f32_e32 v11, v3, v8
	v_add_f32_e32 v2, v12, v10
	v_add_f32_e32 v3, v13, v11
	ds_read_b128 v[10:13], v56 offset:4304
	s_waitcnt lgkmcnt(0)
	v_mul_f32_e32 v20, v11, v7
	v_mul_f32_e32 v7, v10, v7
	v_fmac_f32_e32 v7, v11, v6
	v_fma_f32 v20, v10, v6, -v20
	v_add_f32_e32 v15, v15, v7
	v_mul_f32_e32 v6, v11, v9
	v_mul_f32_e32 v7, v10, v9
	v_fma_f32 v6, v10, v8, -v6
	v_fmac_f32_e32 v7, v11, v8
	v_add_f32_e32 v10, v16, v6
	v_add_f32_e32 v11, v17, v7
	ds_read2_b64 v[6:9], v0 offset0:96 offset1:112
	v_add_f32_e32 v14, v14, v20
	s_waitcnt lgkmcnt(0)
	v_mul_f32_e32 v16, v5, v7
	v_fma_f32 v16, v4, v6, -v16
	v_add_f32_e32 v16, v18, v16
	v_mul_f32_e32 v18, v5, v9
	v_mul_f32_e32 v17, v4, v7
	v_fma_f32 v18, v4, v8, -v18
	v_mul_f32_e32 v4, v4, v9
	v_fmac_f32_e32 v17, v5, v6
	v_fmac_f32_e32 v4, v5, v8
	v_add_f32_e32 v17, v19, v17
	v_add_f32_e32 v18, v2, v18
	;; [unrolled: 1-line block ×3, first 2 shown]
	v_mul_f32_e32 v2, v13, v7
	v_mul_f32_e32 v3, v12, v7
	v_fma_f32 v2, v12, v6, -v2
	v_fmac_f32_e32 v3, v13, v6
	v_add_f32_e32 v20, v14, v2
	v_add_f32_e32 v21, v15, v3
	v_mul_f32_e32 v2, v13, v9
	v_mul_f32_e32 v3, v12, v9
	v_fma_f32 v2, v12, v8, -v2
	v_fmac_f32_e32 v3, v13, v8
	v_add_f32_e32 v10, v10, v2
	v_add_f32_e32 v11, v11, v3
	ds_read_b128 v[2:5], v56 offset:224
	ds_read2_b64 v[6:9], v0 offset0:128 offset1:144
	s_waitcnt lgkmcnt(0)
	v_mul_f32_e32 v12, v3, v7
	v_mul_f32_e32 v13, v2, v7
	;; [unrolled: 1-line block ×3, first 2 shown]
	v_fma_f32 v12, v2, v6, -v12
	v_fmac_f32_e32 v13, v3, v6
	v_fma_f32 v14, v2, v8, -v14
	v_mul_f32_e32 v2, v2, v9
	v_add_f32_e32 v12, v16, v12
	v_add_f32_e32 v13, v17, v13
	v_fmac_f32_e32 v2, v3, v8
	v_add_f32_e32 v3, v18, v14
	ds_read_b128 v[14:17], v56 offset:4320
	v_add_f32_e32 v2, v19, v2
	s_waitcnt lgkmcnt(0)
	v_mul_f32_e32 v18, v15, v7
	v_mul_f32_e32 v7, v14, v7
	v_fmac_f32_e32 v7, v15, v6
	v_fma_f32 v18, v14, v6, -v18
	v_add_f32_e32 v19, v21, v7
	v_mul_f32_e32 v6, v15, v9
	v_mul_f32_e32 v7, v14, v9
	v_fma_f32 v6, v14, v8, -v6
	v_fmac_f32_e32 v7, v15, v8
	v_add_f32_e32 v18, v20, v18
	v_add_f32_e32 v20, v10, v6
	;; [unrolled: 1-line block ×3, first 2 shown]
	ds_read2_b64 v[6:9], v0 offset0:160 offset1:176
	s_waitcnt lgkmcnt(0)
	v_mul_f32_e32 v10, v5, v7
	v_fma_f32 v10, v4, v6, -v10
	v_add_f32_e32 v10, v12, v10
	v_mul_f32_e32 v12, v5, v9
	v_mul_f32_e32 v11, v4, v7
	v_fma_f32 v12, v4, v8, -v12
	v_mul_f32_e32 v4, v4, v9
	v_fmac_f32_e32 v11, v5, v6
	v_fmac_f32_e32 v4, v5, v8
	v_add_f32_e32 v11, v13, v11
	v_add_f32_e32 v12, v3, v12
	;; [unrolled: 1-line block ×3, first 2 shown]
	v_mul_f32_e32 v2, v17, v7
	v_mul_f32_e32 v3, v16, v7
	v_fma_f32 v2, v16, v6, -v2
	v_fmac_f32_e32 v3, v17, v6
	v_add_f32_e32 v14, v18, v2
	v_add_f32_e32 v15, v19, v3
	v_mul_f32_e32 v2, v17, v9
	v_mul_f32_e32 v3, v16, v9
	v_fma_f32 v2, v16, v8, -v2
	v_fmac_f32_e32 v3, v17, v8
	v_add_f32_e32 v16, v20, v2
	v_add_f32_e32 v17, v21, v3
	ds_read_b128 v[2:5], v56 offset:240
	ds_read2_b64 v[6:9], v0 offset0:192 offset1:208
	s_waitcnt lgkmcnt(0)
	v_mul_f32_e32 v18, v3, v7
	v_mul_f32_e32 v19, v2, v7
	v_fma_f32 v18, v2, v6, -v18
	v_fmac_f32_e32 v19, v3, v6
	v_add_f32_e32 v18, v10, v18
	v_add_f32_e32 v20, v11, v19
	v_mul_f32_e32 v10, v3, v9
	v_mul_f32_e32 v11, v2, v9
	v_fma_f32 v10, v2, v8, -v10
	v_fmac_f32_e32 v11, v3, v8
	v_add_f32_e32 v2, v12, v10
	v_add_f32_e32 v3, v13, v11
	ds_read_b128 v[10:13], v56 offset:4336
	s_waitcnt lgkmcnt(0)
	v_mul_f32_e32 v19, v11, v7
	v_mul_f32_e32 v7, v10, v7
	v_fmac_f32_e32 v7, v11, v6
	v_fma_f32 v19, v10, v6, -v19
	v_add_f32_e32 v21, v15, v7
	v_mul_f32_e32 v6, v11, v9
	v_mul_f32_e32 v7, v10, v9
	v_fma_f32 v6, v10, v8, -v6
	v_fmac_f32_e32 v7, v11, v8
	v_add_f32_e32 v10, v16, v6
	v_add_f32_e32 v11, v17, v7
	ds_read2_b64 v[6:9], v0 offset0:224 offset1:240
	v_add_f32_e32 v14, v14, v19
	s_waitcnt lgkmcnt(0)
	s_barrier
	v_mul_f32_e32 v0, v5, v7
	v_fma_f32 v0, v4, v6, -v0
	v_add_f32_e32 v19, v18, v0
	v_mul_f32_e32 v0, v5, v9
	v_fma_f32 v0, v4, v8, -v0
	v_mul_f32_e32 v15, v4, v7
	v_add_f32_e32 v17, v2, v0
	v_mul_f32_e32 v0, v13, v7
	v_mul_f32_e32 v2, v12, v7
	v_fmac_f32_e32 v15, v5, v6
	v_fma_f32 v0, v12, v6, -v0
	v_fmac_f32_e32 v2, v13, v6
	v_add_f32_e32 v20, v20, v15
	v_add_f32_e32 v15, v14, v0
	;; [unrolled: 1-line block ×3, first 2 shown]
	v_mul_f32_e32 v0, v13, v9
	v_mul_f32_e32 v2, v12, v9
	v_fma_f32 v0, v12, v8, -v0
	v_fmac_f32_e32 v2, v13, v8
	v_add_f32_e32 v14, v10, v0
	v_add_f32_e32 v0, v11, v2
	v_mov_b32_e32 v2, s53
	v_addc_co_u32_e64 v55, s[10:11], v55, v2, s[10:11]
	v_add_co_u32_e64 v42, s[10:11], s34, v42
	v_mov_b32_e32 v2, s35
	v_mul_f32_e32 v4, v4, v9
	v_addc_co_u32_e64 v43, s[10:11], v43, v2, s[10:11]
	v_fmac_f32_e32 v4, v5, v8
	v_add_co_u32_e64 v44, s[10:11], s34, v44
	v_add_f32_e32 v18, v3, v4
	v_addc_co_u32_e64 v45, s[10:11], v45, v2, s[10:11]
	s_cbranch_scc1 .LBB91_56
.LBB91_7:                               ;   Parent Loop BB91_4 Depth=1
                                        ; =>  This Inner Loop Header: Depth=2
	v_mov_b32_e32 v2, s43
	v_add_co_u32_e64 v4, s[10:11], s42, v24
	v_addc_co_u32_e64 v5, s[10:11], v25, v2, s[10:11]
	v_cmp_eq_u64_e64 s[10:11], s[42:43], v[36:37]
	v_add_co_u32_e64 v2, s[12:13], v44, v40
	v_addc_co_u32_e64 v3, s[12:13], v45, v41, s[12:13]
	s_and_b64 s[50:51], s[22:23], s[10:11]
	v_cmp_lt_i64_e64 s[10:11], v[4:5], v[34:35]
	v_cmp_le_i64_e64 s[12:13], s[26:27], v[4:5]
	s_or_b64 s[14:15], vcc, s[10:11]
	s_or_b64 s[14:15], s[12:13], s[14:15]
	s_nor_b64 s[14:15], s[14:15], s[50:51]
	s_and_saveexec_b64 s[18:19], s[14:15]
	s_xor_b64 s[14:15], exec, s[18:19]
	s_cbranch_execz .LBB91_9
; %bb.8:                                ;   in Loop: Header=BB91_7 Depth=2
	global_load_dwordx2 v[6:7], v[2:3], off
	s_waitcnt vmcnt(0)
	ds_write_b64 v57, v[6:7]
.LBB91_9:                               ;   in Loop: Header=BB91_7 Depth=2
	s_or_saveexec_b64 s[14:15], s[14:15]
	s_xor_b64 s[46:47], s[50:51], -1
	s_xor_b64 exec, exec, s[14:15]
	s_cbranch_execz .LBB91_15
; %bb.10:                               ;   in Loop: Header=BB91_7 Depth=2
	s_and_saveexec_b64 s[18:19], s[46:47]
	s_xor_b64 s[18:19], exec, s[18:19]
; %bb.11:                               ;   in Loop: Header=BB91_7 Depth=2
	v_mov_b32_e32 v6, v33
	v_mov_b32_e32 v7, v33
	ds_write_b64 v57, v[6:7]
; %bb.12:                               ;   in Loop: Header=BB91_7 Depth=2
	s_andn2_saveexec_b64 s[18:19], s[18:19]
; %bb.13:                               ;   in Loop: Header=BB91_7 Depth=2
	ds_write_b64 v57, v[32:33]
; %bb.14:                               ;   in Loop: Header=BB91_7 Depth=2
	s_or_b64 exec, exec, s[18:19]
.LBB91_15:                              ;   in Loop: Header=BB91_7 Depth=2
	s_or_b64 exec, exec, s[14:15]
	v_add_co_u32_e64 v6, s[18:19], 16, v4
	v_cmp_eq_u64_e64 s[14:15], s[42:43], v[52:53]
	v_addc_co_u32_e64 v7, s[18:19], 0, v5, s[18:19]
	v_cmp_lt_i64_e64 s[18:19], v[6:7], v[34:35]
	s_and_b64 s[20:21], s[22:23], s[14:15]
	v_cmp_le_i64_e64 s[14:15], s[26:27], v[6:7]
	s_or_b64 s[18:19], vcc, s[18:19]
	s_or_b64 s[18:19], s[14:15], s[18:19]
	s_nor_b64 s[18:19], s[18:19], s[20:21]
	s_and_saveexec_b64 s[58:59], s[18:19]
	s_xor_b64 s[58:59], exec, s[58:59]
	s_cbranch_execz .LBB91_17
; %bb.16:                               ;   in Loop: Header=BB91_7 Depth=2
	v_add_co_u32_e64 v6, s[18:19], v42, v40
	v_addc_co_u32_e64 v7, s[18:19], v43, v41, s[18:19]
	global_load_dwordx2 v[6:7], v[6:7], off
	s_waitcnt vmcnt(0)
	ds_write_b64 v57, v[6:7] offset:128
.LBB91_17:                              ;   in Loop: Header=BB91_7 Depth=2
	s_andn2_saveexec_b64 s[18:19], s[58:59]
	s_cbranch_execz .LBB91_23
; %bb.18:                               ;   in Loop: Header=BB91_7 Depth=2
	s_xor_b64 s[20:21], s[20:21], -1
	s_and_saveexec_b64 s[58:59], s[20:21]
	s_xor_b64 s[20:21], exec, s[58:59]
; %bb.19:                               ;   in Loop: Header=BB91_7 Depth=2
	v_mov_b32_e32 v6, v33
	v_mov_b32_e32 v7, v33
	ds_write_b64 v57, v[6:7] offset:128
; %bb.20:                               ;   in Loop: Header=BB91_7 Depth=2
	s_andn2_saveexec_b64 s[20:21], s[20:21]
; %bb.21:                               ;   in Loop: Header=BB91_7 Depth=2
	ds_write_b64 v57, v[32:33] offset:128
; %bb.22:                               ;   in Loop: Header=BB91_7 Depth=2
	s_or_b64 exec, exec, s[20:21]
.LBB91_23:                              ;   in Loop: Header=BB91_7 Depth=2
	s_or_b64 exec, exec, s[18:19]
	buffer_load_dword v6, off, s[68:71], 0  ; 4-byte Folded Reload
	buffer_load_dword v7, off, s[68:71], 0 offset:4 ; 4-byte Folded Reload
	v_cmp_lt_i64_e64 s[20:21], v[4:5], v[48:49]
	s_or_b64 s[20:21], s[8:9], s[20:21]
	s_waitcnt vmcnt(0)
	v_cmp_eq_u64_e64 s[18:19], s[42:43], v[6:7]
	s_and_b64 s[18:19], s[22:23], s[18:19]
	s_or_b64 s[20:21], s[20:21], s[18:19]
	s_nor_b64 s[12:13], s[12:13], s[20:21]
	s_and_saveexec_b64 s[20:21], s[12:13]
	s_xor_b64 s[12:13], exec, s[20:21]
	s_cbranch_execz .LBB91_25
; %bb.24:                               ;   in Loop: Header=BB91_7 Depth=2
	global_load_dwordx2 v[2:3], v[2:3], off offset:128
	s_waitcnt vmcnt(0)
	ds_write_b64 v57, v[2:3] offset:4096
.LBB91_25:                              ;   in Loop: Header=BB91_7 Depth=2
	s_andn2_saveexec_b64 s[12:13], s[12:13]
	s_cbranch_execz .LBB91_31
; %bb.26:                               ;   in Loop: Header=BB91_7 Depth=2
	s_xor_b64 s[18:19], s[18:19], -1
	s_and_saveexec_b64 s[20:21], s[18:19]
	s_xor_b64 s[18:19], exec, s[20:21]
; %bb.27:                               ;   in Loop: Header=BB91_7 Depth=2
	v_mov_b32_e32 v2, v33
	v_mov_b32_e32 v3, v33
	ds_write_b64 v57, v[2:3] offset:4096
; %bb.28:                               ;   in Loop: Header=BB91_7 Depth=2
	s_andn2_saveexec_b64 s[18:19], s[18:19]
; %bb.29:                               ;   in Loop: Header=BB91_7 Depth=2
	ds_write_b64 v57, v[32:33] offset:4096
; %bb.30:                               ;   in Loop: Header=BB91_7 Depth=2
	s_or_b64 exec, exec, s[18:19]
.LBB91_31:                              ;   in Loop: Header=BB91_7 Depth=2
	s_or_b64 exec, exec, s[12:13]
	s_or_b64 s[10:11], s[8:9], s[10:11]
	s_or_b64 s[10:11], s[14:15], s[10:11]
	s_nor_b64 s[10:11], s[10:11], s[50:51]
	s_and_saveexec_b64 s[12:13], s[10:11]
	s_xor_b64 s[12:13], exec, s[12:13]
	s_cbranch_execz .LBB91_33
; %bb.32:                               ;   in Loop: Header=BB91_7 Depth=2
	v_add_co_u32_e64 v2, s[10:11], v42, v40
	v_addc_co_u32_e64 v3, s[10:11], v43, v41, s[10:11]
	global_load_dwordx2 v[2:3], v[2:3], off offset:128
	s_waitcnt vmcnt(0)
	ds_write_b64 v57, v[2:3] offset:4224
.LBB91_33:                              ;   in Loop: Header=BB91_7 Depth=2
	s_andn2_saveexec_b64 s[10:11], s[12:13]
	s_cbranch_execz .LBB91_39
; %bb.34:                               ;   in Loop: Header=BB91_7 Depth=2
	s_and_saveexec_b64 s[12:13], s[46:47]
	s_xor_b64 s[12:13], exec, s[12:13]
; %bb.35:                               ;   in Loop: Header=BB91_7 Depth=2
	v_mov_b32_e32 v2, v33
	v_mov_b32_e32 v3, v33
	ds_write_b64 v57, v[2:3] offset:4224
; %bb.36:                               ;   in Loop: Header=BB91_7 Depth=2
	s_andn2_saveexec_b64 s[12:13], s[12:13]
; %bb.37:                               ;   in Loop: Header=BB91_7 Depth=2
	ds_write_b64 v57, v[32:33] offset:4224
; %bb.38:                               ;   in Loop: Header=BB91_7 Depth=2
	s_or_b64 exec, exec, s[12:13]
.LBB91_39:                              ;   in Loop: Header=BB91_7 Depth=2
	s_or_b64 exec, exec, s[10:11]
	v_mov_b32_e32 v3, s43
	v_add_co_u32_e64 v2, s[10:11], s42, v26
	v_addc_co_u32_e64 v3, s[10:11], v27, v3, s[10:11]
	v_cmp_le_i64_e64 s[10:11], s[26:27], v[2:3]
	v_add_co_u32_e64 v4, s[12:13], v38, v54
	v_addc_co_u32_e64 v5, s[12:13], v39, v55, s[12:13]
	s_nor_b64 s[12:13], s[10:11], s[0:1]
	s_and_saveexec_b64 s[14:15], s[12:13]
	s_xor_b64 s[12:13], exec, s[14:15]
	s_cbranch_execz .LBB91_41
; %bb.40:                               ;   in Loop: Header=BB91_7 Depth=2
	global_load_dwordx2 v[6:7], v[4:5], off offset:-128
	s_waitcnt vmcnt(0)
	ds_write_b64 v59, v[6:7]
.LBB91_41:                              ;   in Loop: Header=BB91_7 Depth=2
	s_andn2_saveexec_b64 s[12:13], s[12:13]
; %bb.42:                               ;   in Loop: Header=BB91_7 Depth=2
	v_mov_b32_e32 v6, v33
	v_mov_b32_e32 v7, v33
	ds_write_b64 v59, v[6:7]
; %bb.43:                               ;   in Loop: Header=BB91_7 Depth=2
	s_or_b64 exec, exec, s[12:13]
	s_nor_b64 s[10:11], s[10:11], s[2:3]
	s_and_saveexec_b64 s[12:13], s[10:11]
	s_xor_b64 s[10:11], exec, s[12:13]
	s_cbranch_execz .LBB91_45
; %bb.44:                               ;   in Loop: Header=BB91_7 Depth=2
	global_load_dwordx2 v[4:5], v[4:5], off
	s_waitcnt vmcnt(0)
	ds_write_b64 v59, v[4:5] offset:128
.LBB91_45:                              ;   in Loop: Header=BB91_7 Depth=2
	s_andn2_saveexec_b64 s[10:11], s[10:11]
; %bb.46:                               ;   in Loop: Header=BB91_7 Depth=2
	v_mov_b32_e32 v4, v33
	v_mov_b32_e32 v5, v33
	ds_write_b64 v59, v[4:5] offset:128
; %bb.47:                               ;   in Loop: Header=BB91_7 Depth=2
	s_or_b64 exec, exec, s[10:11]
	v_cmp_le_i64_e64 s[10:11], s[54:55], v[2:3]
	v_add_co_u32_e64 v2, s[12:13], v46, v54
	v_addc_co_u32_e64 v3, s[12:13], v47, v55, s[12:13]
	s_nor_b64 s[12:13], s[10:11], s[0:1]
	s_and_saveexec_b64 s[14:15], s[12:13]
	s_xor_b64 s[12:13], exec, s[14:15]
	s_cbranch_execz .LBB91_49
; %bb.48:                               ;   in Loop: Header=BB91_7 Depth=2
	global_load_dwordx2 v[4:5], v[2:3], off
	s_waitcnt vmcnt(0)
	ds_write_b64 v59, v[4:5] offset:4096
.LBB91_49:                              ;   in Loop: Header=BB91_7 Depth=2
	s_andn2_saveexec_b64 s[12:13], s[12:13]
; %bb.50:                               ;   in Loop: Header=BB91_7 Depth=2
	v_mov_b32_e32 v4, v33
	v_mov_b32_e32 v5, v33
	ds_write_b64 v59, v[4:5] offset:4096
; %bb.51:                               ;   in Loop: Header=BB91_7 Depth=2
	s_or_b64 exec, exec, s[12:13]
	s_nor_b64 s[10:11], s[10:11], s[2:3]
	s_and_saveexec_b64 s[12:13], s[10:11]
	s_xor_b64 s[10:11], exec, s[12:13]
	s_cbranch_execz .LBB91_53
; %bb.52:                               ;   in Loop: Header=BB91_7 Depth=2
	global_load_dwordx2 v[2:3], v[2:3], off offset:128
	s_waitcnt vmcnt(0)
	ds_write_b64 v59, v[2:3] offset:4224
.LBB91_53:                              ;   in Loop: Header=BB91_7 Depth=2
	s_andn2_saveexec_b64 s[10:11], s[10:11]
	s_cbranch_execz .LBB91_6
; %bb.54:                               ;   in Loop: Header=BB91_7 Depth=2
	v_mov_b32_e32 v2, v33
	v_mov_b32_e32 v3, v33
	ds_write_b64 v59, v[2:3] offset:4224
	s_branch .LBB91_6
.LBB91_55:                              ;   in Loop: Header=BB91_4 Depth=1
	v_mov_b32_e32 v19, 0
	v_mov_b32_e32 v20, 0
	;; [unrolled: 1-line block ×8, first 2 shown]
.LBB91_56:                              ;   in Loop: Header=BB91_4 Depth=1
	v_mul_lo_u32 v4, s25, v34
	v_mul_lo_u32 v5, s24, v35
	v_mad_u64_u32 v[2:3], s[8:9], s24, v34, 0
	v_cmp_gt_i32_e32 vcc, s30, v34
	v_add3_u32 v3, v3, v5, v4
	v_lshlrev_b64 v[2:3], 3, v[2:3]
	v_mov_b32_e32 v4, s62
	v_add_co_u32_e64 v2, s[8:9], s61, v2
	v_addc_co_u32_e64 v3, s[8:9], v4, v3, s[8:9]
	s_and_b64 s[8:9], s[4:5], vcc
	s_and_saveexec_b64 s[10:11], s[8:9]
	s_cbranch_execz .LBB91_58
; %bb.57:                               ;   in Loop: Header=BB91_4 Depth=1
	buffer_load_dword v4, off, s[68:71], 0 offset:16 ; 4-byte Folded Reload
	buffer_load_dword v5, off, s[68:71], 0 offset:20 ; 4-byte Folded Reload
	v_mul_f32_e32 v8, s33, v20
	v_mul_f32_e32 v9, s31, v20
	v_fma_f32 v8, v19, s31, -v8
	v_fmac_f32_e32 v9, s33, v19
	s_waitcnt vmcnt(1)
	v_add_co_u32_e64 v4, s[8:9], v2, v4
	s_waitcnt vmcnt(0)
	v_addc_co_u32_e64 v5, s[8:9], v3, v5, s[8:9]
	global_load_dwordx2 v[6:7], v[4:5], off
	s_waitcnt vmcnt(0)
	v_add_f32_e32 v6, v6, v8
	v_add_f32_e32 v7, v9, v7
	global_store_dwordx2 v[4:5], v[6:7], off
.LBB91_58:                              ;   in Loop: Header=BB91_4 Depth=1
	s_or_b64 exec, exec, s[10:11]
	s_and_b64 s[10:11], s[16:17], vcc
	s_and_saveexec_b64 s[8:9], s[10:11]
	s_cbranch_execz .LBB91_60
; %bb.59:                               ;   in Loop: Header=BB91_4 Depth=1
	buffer_load_dword v4, off, s[68:71], 0 offset:8 ; 4-byte Folded Reload
	buffer_load_dword v5, off, s[68:71], 0 offset:12 ; 4-byte Folded Reload
	v_mul_f32_e32 v6, s33, v18
	v_mul_f32_e32 v7, s31, v18
	v_fma_f32 v6, v17, s31, -v6
	v_fmac_f32_e32 v7, s33, v17
	s_waitcnt vmcnt(0)
	v_lshlrev_b64 v[4:5], 3, v[4:5]
	v_add_co_u32_e32 v2, vcc, v2, v4
	v_addc_co_u32_e32 v3, vcc, v3, v5, vcc
	global_load_dwordx2 v[4:5], v[2:3], off
	s_waitcnt vmcnt(0)
	v_add_f32_e32 v4, v4, v6
	v_add_f32_e32 v5, v7, v5
	global_store_dwordx2 v[2:3], v[4:5], off
.LBB91_60:                              ;   in Loop: Header=BB91_4 Depth=1
	s_or_b64 exec, exec, s[8:9]
	v_add_u32_e32 v4, 16, v34
	v_ashrrev_i32_e32 v2, 31, v4
	v_mul_lo_u32 v5, s24, v2
	v_mul_lo_u32 v6, s25, v4
	v_mad_u64_u32 v[2:3], s[8:9], s24, v4, 0
	v_cmp_gt_i32_e32 vcc, s30, v4
	v_mov_b32_e32 v4, s62
	v_add3_u32 v3, v3, v5, v6
	v_lshlrev_b64 v[2:3], 3, v[2:3]
	v_add_co_u32_e64 v2, s[8:9], s61, v2
	v_addc_co_u32_e64 v3, s[8:9], v4, v3, s[8:9]
	s_and_b64 s[8:9], s[4:5], vcc
	s_and_saveexec_b64 s[10:11], s[8:9]
	s_cbranch_execz .LBB91_62
; %bb.61:                               ;   in Loop: Header=BB91_4 Depth=1
	buffer_load_dword v4, off, s[68:71], 0 offset:16 ; 4-byte Folded Reload
	buffer_load_dword v5, off, s[68:71], 0 offset:20 ; 4-byte Folded Reload
	v_mul_f32_e32 v8, s33, v16
	v_mul_f32_e32 v9, s31, v16
	v_fma_f32 v8, v15, s31, -v8
	v_fmac_f32_e32 v9, s33, v15
	s_waitcnt vmcnt(1)
	v_add_co_u32_e64 v4, s[8:9], v2, v4
	s_waitcnt vmcnt(0)
	v_addc_co_u32_e64 v5, s[8:9], v3, v5, s[8:9]
	global_load_dwordx2 v[6:7], v[4:5], off
	s_waitcnt vmcnt(0)
	v_add_f32_e32 v6, v6, v8
	v_add_f32_e32 v7, v9, v7
	global_store_dwordx2 v[4:5], v[6:7], off
.LBB91_62:                              ;   in Loop: Header=BB91_4 Depth=1
	s_or_b64 exec, exec, s[10:11]
	s_and_b64 s[10:11], s[16:17], vcc
	s_and_saveexec_b64 s[8:9], s[10:11]
	s_cbranch_execz .LBB91_3
; %bb.63:                               ;   in Loop: Header=BB91_4 Depth=1
	buffer_load_dword v4, off, s[68:71], 0 offset:8 ; 4-byte Folded Reload
	buffer_load_dword v5, off, s[68:71], 0 offset:12 ; 4-byte Folded Reload
	v_mul_f32_e32 v6, s33, v0
	v_mul_f32_e32 v0, s31, v0
	v_fma_f32 v6, v14, s31, -v6
	v_fmac_f32_e32 v0, s33, v14
	s_waitcnt vmcnt(0)
	v_lshlrev_b64 v[4:5], 3, v[4:5]
	v_add_co_u32_e32 v2, vcc, v2, v4
	v_addc_co_u32_e32 v3, vcc, v3, v5, vcc
	global_load_dwordx2 v[4:5], v[2:3], off
	s_waitcnt vmcnt(0)
	v_add_f32_e32 v4, v4, v6
	v_add_f32_e32 v5, v0, v5
	global_store_dwordx2 v[2:3], v[4:5], off
	s_branch .LBB91_3
.LBB91_64:
	s_endpgm
	.section	.rodata,"a",@progbits
	.p2align	6, 0x0
	.amdhsa_kernel _ZL30rocblas_trmm_outofplace_kernelI19rocblas_complex_numIfELi32ELi2ELb0ELb1ELb1ELb0ES1_KS1_S1_Ev17rocblas_diagonal_iiT6_lPT7_lllS6_lllPT8_llli
		.amdhsa_group_segment_fixed_size 16384
		.amdhsa_private_segment_fixed_size 36
		.amdhsa_kernarg_size 392
		.amdhsa_user_sgpr_count 6
		.amdhsa_user_sgpr_private_segment_buffer 1
		.amdhsa_user_sgpr_dispatch_ptr 0
		.amdhsa_user_sgpr_queue_ptr 0
		.amdhsa_user_sgpr_kernarg_segment_ptr 1
		.amdhsa_user_sgpr_dispatch_id 0
		.amdhsa_user_sgpr_flat_scratch_init 0
		.amdhsa_user_sgpr_private_segment_size 0
		.amdhsa_uses_dynamic_stack 0
		.amdhsa_system_sgpr_private_segment_wavefront_offset 1
		.amdhsa_system_sgpr_workgroup_id_x 1
		.amdhsa_system_sgpr_workgroup_id_y 1
		.amdhsa_system_sgpr_workgroup_id_z 1
		.amdhsa_system_sgpr_workgroup_info 0
		.amdhsa_system_vgpr_workitem_id 1
		.amdhsa_next_free_vgpr 64
		.amdhsa_next_free_sgpr 72
		.amdhsa_reserve_vcc 1
		.amdhsa_reserve_flat_scratch 0
		.amdhsa_float_round_mode_32 0
		.amdhsa_float_round_mode_16_64 0
		.amdhsa_float_denorm_mode_32 3
		.amdhsa_float_denorm_mode_16_64 3
		.amdhsa_dx10_clamp 1
		.amdhsa_ieee_mode 1
		.amdhsa_fp16_overflow 0
		.amdhsa_exception_fp_ieee_invalid_op 0
		.amdhsa_exception_fp_denorm_src 0
		.amdhsa_exception_fp_ieee_div_zero 0
		.amdhsa_exception_fp_ieee_overflow 0
		.amdhsa_exception_fp_ieee_underflow 0
		.amdhsa_exception_fp_ieee_inexact 0
		.amdhsa_exception_int_div_zero 0
	.end_amdhsa_kernel
	.section	.text._ZL30rocblas_trmm_outofplace_kernelI19rocblas_complex_numIfELi32ELi2ELb0ELb1ELb1ELb0ES1_KS1_S1_Ev17rocblas_diagonal_iiT6_lPT7_lllS6_lllPT8_llli,"axG",@progbits,_ZL30rocblas_trmm_outofplace_kernelI19rocblas_complex_numIfELi32ELi2ELb0ELb1ELb1ELb0ES1_KS1_S1_Ev17rocblas_diagonal_iiT6_lPT7_lllS6_lllPT8_llli,comdat
.Lfunc_end91:
	.size	_ZL30rocblas_trmm_outofplace_kernelI19rocblas_complex_numIfELi32ELi2ELb0ELb1ELb1ELb0ES1_KS1_S1_Ev17rocblas_diagonal_iiT6_lPT7_lllS6_lllPT8_llli, .Lfunc_end91-_ZL30rocblas_trmm_outofplace_kernelI19rocblas_complex_numIfELi32ELi2ELb0ELb1ELb1ELb0ES1_KS1_S1_Ev17rocblas_diagonal_iiT6_lPT7_lllS6_lllPT8_llli
                                        ; -- End function
	.set _ZL30rocblas_trmm_outofplace_kernelI19rocblas_complex_numIfELi32ELi2ELb0ELb1ELb1ELb0ES1_KS1_S1_Ev17rocblas_diagonal_iiT6_lPT7_lllS6_lllPT8_llli.num_vgpr, 64
	.set _ZL30rocblas_trmm_outofplace_kernelI19rocblas_complex_numIfELi32ELi2ELb0ELb1ELb1ELb0ES1_KS1_S1_Ev17rocblas_diagonal_iiT6_lPT7_lllS6_lllPT8_llli.num_agpr, 0
	.set _ZL30rocblas_trmm_outofplace_kernelI19rocblas_complex_numIfELi32ELi2ELb0ELb1ELb1ELb0ES1_KS1_S1_Ev17rocblas_diagonal_iiT6_lPT7_lllS6_lllPT8_llli.numbered_sgpr, 72
	.set _ZL30rocblas_trmm_outofplace_kernelI19rocblas_complex_numIfELi32ELi2ELb0ELb1ELb1ELb0ES1_KS1_S1_Ev17rocblas_diagonal_iiT6_lPT7_lllS6_lllPT8_llli.num_named_barrier, 0
	.set _ZL30rocblas_trmm_outofplace_kernelI19rocblas_complex_numIfELi32ELi2ELb0ELb1ELb1ELb0ES1_KS1_S1_Ev17rocblas_diagonal_iiT6_lPT7_lllS6_lllPT8_llli.private_seg_size, 36
	.set _ZL30rocblas_trmm_outofplace_kernelI19rocblas_complex_numIfELi32ELi2ELb0ELb1ELb1ELb0ES1_KS1_S1_Ev17rocblas_diagonal_iiT6_lPT7_lllS6_lllPT8_llli.uses_vcc, 1
	.set _ZL30rocblas_trmm_outofplace_kernelI19rocblas_complex_numIfELi32ELi2ELb0ELb1ELb1ELb0ES1_KS1_S1_Ev17rocblas_diagonal_iiT6_lPT7_lllS6_lllPT8_llli.uses_flat_scratch, 0
	.set _ZL30rocblas_trmm_outofplace_kernelI19rocblas_complex_numIfELi32ELi2ELb0ELb1ELb1ELb0ES1_KS1_S1_Ev17rocblas_diagonal_iiT6_lPT7_lllS6_lllPT8_llli.has_dyn_sized_stack, 0
	.set _ZL30rocblas_trmm_outofplace_kernelI19rocblas_complex_numIfELi32ELi2ELb0ELb1ELb1ELb0ES1_KS1_S1_Ev17rocblas_diagonal_iiT6_lPT7_lllS6_lllPT8_llli.has_recursion, 0
	.set _ZL30rocblas_trmm_outofplace_kernelI19rocblas_complex_numIfELi32ELi2ELb0ELb1ELb1ELb0ES1_KS1_S1_Ev17rocblas_diagonal_iiT6_lPT7_lllS6_lllPT8_llli.has_indirect_call, 0
	.section	.AMDGPU.csdata,"",@progbits
; Kernel info:
; codeLenInByte = 6736
; TotalNumSgprs: 76
; NumVgprs: 64
; ScratchSize: 36
; MemoryBound: 1
; FloatMode: 240
; IeeeMode: 1
; LDSByteSize: 16384 bytes/workgroup (compile time only)
; SGPRBlocks: 9
; VGPRBlocks: 15
; NumSGPRsForWavesPerEU: 76
; NumVGPRsForWavesPerEU: 64
; Occupancy: 4
; WaveLimiterHint : 0
; COMPUTE_PGM_RSRC2:SCRATCH_EN: 1
; COMPUTE_PGM_RSRC2:USER_SGPR: 6
; COMPUTE_PGM_RSRC2:TRAP_HANDLER: 0
; COMPUTE_PGM_RSRC2:TGID_X_EN: 1
; COMPUTE_PGM_RSRC2:TGID_Y_EN: 1
; COMPUTE_PGM_RSRC2:TGID_Z_EN: 1
; COMPUTE_PGM_RSRC2:TIDIG_COMP_CNT: 1
	.section	.text._ZL30rocblas_trmm_outofplace_kernelI19rocblas_complex_numIfELi32ELi2ELb0ELb0ELb1ELb1EPKS1_S2_S1_Ev17rocblas_diagonal_iiT6_lPT7_lllS7_lllPT8_llli,"axG",@progbits,_ZL30rocblas_trmm_outofplace_kernelI19rocblas_complex_numIfELi32ELi2ELb0ELb0ELb1ELb1EPKS1_S2_S1_Ev17rocblas_diagonal_iiT6_lPT7_lllS7_lllPT8_llli,comdat
	.globl	_ZL30rocblas_trmm_outofplace_kernelI19rocblas_complex_numIfELi32ELi2ELb0ELb0ELb1ELb1EPKS1_S2_S1_Ev17rocblas_diagonal_iiT6_lPT7_lllS7_lllPT8_llli ; -- Begin function _ZL30rocblas_trmm_outofplace_kernelI19rocblas_complex_numIfELi32ELi2ELb0ELb0ELb1ELb1EPKS1_S2_S1_Ev17rocblas_diagonal_iiT6_lPT7_lllS7_lllPT8_llli
	.p2align	8
	.type	_ZL30rocblas_trmm_outofplace_kernelI19rocblas_complex_numIfELi32ELi2ELb0ELb0ELb1ELb1EPKS1_S2_S1_Ev17rocblas_diagonal_iiT6_lPT7_lllS7_lllPT8_llli,@function
_ZL30rocblas_trmm_outofplace_kernelI19rocblas_complex_numIfELi32ELi2ELb0ELb0ELb1ELb1EPKS1_S2_S1_Ev17rocblas_diagonal_iiT6_lPT7_lllS7_lllPT8_llli: ; @_ZL30rocblas_trmm_outofplace_kernelI19rocblas_complex_numIfELi32ELi2ELb0ELb0ELb1ELb1EPKS1_S2_S1_Ev17rocblas_diagonal_iiT6_lPT7_lllS7_lllPT8_llli
; %bb.0:
	s_load_dwordx16 s[12:27], s[4:5], 0x10
	s_mov_b64 s[54:55], s[2:3]
	s_mov_b64 s[52:53], s[0:1]
	s_add_u32 s52, s52, s9
	s_addc_u32 s53, s53, 0
	s_waitcnt lgkmcnt(0)
	s_mul_i32 s0, s15, s8
	s_mul_hi_u32 s1, s14, s8
	s_add_i32 s1, s1, s0
	s_mul_i32 s0, s14, s8
	s_lshl_b64 s[0:1], s[0:1], 3
	s_add_u32 s0, s12, s0
	s_addc_u32 s1, s13, s1
	s_load_dwordx2 s[34:35], s[0:1], 0x0
	s_waitcnt lgkmcnt(0)
	s_or_b32 s0, s34, s35
	s_bitset0_b32 s0, 31
	s_cmp_eq_u32 s0, 0
	s_cbranch_scc1 .LBB92_63
; %bb.1:
	s_load_dwordx4 s[28:31], s[4:5], 0x0
	s_waitcnt lgkmcnt(0)
	s_add_i32 s0, s30, -1
	s_ashr_i32 s1, s0, 31
	s_lshr_b32 s1, s1, 27
	s_add_i32 s0, s0, s1
	s_ashr_i32 s33, s0, 5
	s_cmp_gt_i32 s7, s33
	s_cbranch_scc1 .LBB92_63
; %bb.2:
	s_mul_i32 s0, s23, s8
	s_mul_hi_u32 s1, s22, s8
	s_add_i32 s1, s1, s0
	s_mul_i32 s0, s22, s8
	s_load_dwordx8 s[36:43], s[4:5], 0x50
	s_load_dwordx4 s[44:47], s[4:5], 0x70
	s_lshl_b64 s[10:11], s[0:1], 3
	s_add_u32 s0, s16, s10
	s_addc_u32 s1, s17, s11
	s_lshl_b64 s[12:13], s[18:19], 3
	s_add_u32 s2, s0, s12
	s_addc_u32 s3, s1, s13
	s_waitcnt lgkmcnt(0)
	s_mul_i32 s0, s39, s8
	s_mul_hi_u32 s1, s38, s8
	s_add_i32 s1, s1, s0
	s_mul_i32 s0, s38, s8
	s_lshl_b64 s[0:1], s[0:1], 3
	s_add_u32 s9, s24, s0
	s_addc_u32 s14, s25, s1
	s_lshl_b64 s[0:1], s[26:27], 3
	s_add_u32 s9, s9, s0
	s_addc_u32 s14, s14, s1
	s_mul_i32 s0, s47, s8
	s_mul_hi_u32 s1, s46, s8
	s_add_i32 s1, s1, s0
	s_mul_i32 s0, s46, s8
	s_lshl_b64 s[0:1], s[0:1], 3
	s_load_dword s48, s[4:5], 0x8c
	s_add_u32 s4, s40, s0
	s_addc_u32 s5, s41, s1
	v_mad_u64_u32 v[2:3], s[0:1], s20, v0, 0
	s_lshl_b64 s[0:1], s[42:43], 3
	s_add_u32 s46, s4, s0
	s_addc_u32 s47, s5, s1
	v_mad_u64_u32 v[3:4], s[0:1], s21, v0, v[3:4]
	v_lshl_add_u32 v4, s6, 5, v0
	v_ashrrev_i32_e32 v5, 31, v4
	v_lshlrev_b64 v[2:3], 3, v[2:3]
	v_mov_b32_e32 v6, s3
	v_add_co_u32_e32 v2, vcc, s2, v2
	s_cmpk_eq_i32 s28, 0x84
	v_addc_co_u32_e32 v3, vcc, v6, v3, vcc
	v_lshlrev_b64 v[35:36], 3, v[4:5]
	s_cselect_b64 s[22:23], -1, 0
	s_ashr_i32 s31, s30, 31
	s_ashr_i32 s0, s29, 31
	s_lshl_b64 s[24:25], s[20:21], 8
	s_lshl_b64 s[26:27], s[36:37], 8
	buffer_store_dword v2, off, s[52:55], 0 offset:8 ; 4-byte Folded Spill
	s_nop 0
	buffer_store_dword v3, off, s[52:55], 0 offset:12 ; 4-byte Folded Spill
	s_add_u32 s38, s30, -16
	v_mov_b32_e32 v2, s14
	v_add_co_u32_e32 v6, vcc, s9, v35
	s_addc_u32 s39, s31, -1
	s_waitcnt lgkmcnt(0)
	s_lshl_b32 s6, s48, 5
	v_addc_co_u32_e32 v7, vcc, v2, v36, vcc
	s_add_u32 s4, s16, s12
	v_mov_b32_e32 v3, s0
	v_sub_co_u32_e32 v2, vcc, s29, v4
	s_addc_u32 s5, s17, s13
	buffer_store_dword v6, off, s[52:55], 0 offset:16 ; 4-byte Folded Spill
	s_nop 0
	buffer_store_dword v7, off, s[52:55], 0 offset:20 ; 4-byte Folded Spill
	v_subb_co_u32_e32 v3, vcc, v3, v5, vcc
	s_add_u32 s4, s4, s10
	v_lshlrev_b32_e32 v6, 3, v0
	v_cmp_gt_i64_e32 vcc, 1, v[2:3]
	v_cmp_gt_i64_e64 s[0:1], 17, v[2:3]
	s_addc_u32 s5, s5, s11
	v_mov_b32_e32 v2, s4
	v_add_u32_e32 v5, 0x80, v6
	v_mov_b32_e32 v3, s5
	v_mad_u64_u32 v[7:8], s[4:5], s20, v5, v[2:3]
	v_cmp_gt_i32_e64 s[2:3], s29, v4
	v_add_u32_e32 v2, 16, v4
	v_mov_b32_e32 v4, v8
	v_lshlrev_b32_e32 v55, 8, v1
	v_mad_u64_u32 v[4:5], s[8:9], s21, v5, v[4:5]
	v_add_u32_e32 v56, v55, v6
	v_or_b32_e32 v57, 0x2000, v6
	v_mad_u64_u32 v[5:6], s[8:9], s36, v1, 0
	v_sub_co_u32_e64 v8, s[8:9], 0, v0
	buffer_store_dword v8, off, s[52:55], 0 offset:32 ; 4-byte Folded Spill
	v_subb_co_u32_e64 v8, s[8:9], 0, 0, s[8:9]
	buffer_store_dword v8, off, s[52:55], 0 offset:36 ; 4-byte Folded Spill
	v_mov_b32_e32 v8, v4
	buffer_store_dword v7, off, s[52:55], 0 offset:24 ; 4-byte Folded Spill
	s_nop 0
	buffer_store_dword v8, off, s[52:55], 0 offset:28 ; 4-byte Folded Spill
	v_mov_b32_e32 v4, v6
	v_mad_u64_u32 v[6:7], s[8:9], s37, v1, v[4:5]
	v_mov_b32_e32 v4, 0x80
	v_lshl_add_u32 v7, v1, 3, v4
	v_mad_u64_u32 v[32:33], s[8:9], s36, v7, 0
	v_lshlrev_b64 v[4:5], 3, v[5:6]
	v_ashrrev_i32_e32 v3, 31, v2
	v_mov_b32_e32 v6, v33
	v_mad_u64_u32 v[6:7], s[8:9], s37, v7, v[6:7]
	s_movk_i32 s10, 0x80
	v_cmp_gt_i32_e64 s[4:5], s29, v2
	v_add_co_u32_e64 v61, s[8:9], s10, v4
	v_lshlrev_b64 v[2:3], 3, v[2:3]
	v_mov_b32_e32 v23, 0
	v_add_u32_e32 v58, v57, v55
	v_addc_co_u32_e64 v62, s[8:9], 0, v5, s[8:9]
	v_lshl_add_u32 v33, s7, 5, v1
	v_mov_b32_e32 v63, v6
	v_mov_b32_e32 v22, 1.0
	buffer_store_dword v2, off, s[52:55], 0 ; 4-byte Folded Spill
	s_nop 0
	buffer_store_dword v3, off, s[52:55], 0 offset:4 ; 4-byte Folded Spill
	s_branch .LBB92_4
.LBB92_3:                               ;   in Loop: Header=BB92_4 Depth=1
	s_or_b64 exec, exec, s[10:11]
	s_add_i32 s7, s48, s7
	s_cmp_le_i32 s7, s33
	v_add_u32_e32 v33, s6, v33
	s_cbranch_scc0 .LBB92_63
.LBB92_4:                               ; =>This Loop Header: Depth=1
                                        ;     Child Loop BB92_7 Depth 2
	s_lshl_b32 s49, s7, 5
	v_add_u32_e32 v37, s49, v1
	v_ashrrev_i32_e32 v38, 31, v37
	s_cmp_lt_i32 s7, 0
	v_mov_b32_e32 v20, v23
	v_mov_b32_e32 v21, v23
	v_mov_b32_e32 v18, v23
	v_mov_b32_e32 v19, v23
	v_mov_b32_e32 v16, v23
	v_mov_b32_e32 v17, v23
	v_mov_b32_e32 v15, v23
	v_mov_b32_e32 v14, v23
	s_cbranch_scc1 .LBB92_55
; %bb.5:                                ;   in Loop: Header=BB92_4 Depth=1
	buffer_load_dword v2, off, s[52:55], 0 offset:32 ; 4-byte Folded Reload
	v_ashrrev_i32_e32 v34, 31, v33
	v_lshlrev_b64 v[41:42], 3, v[33:34]
	v_cmp_le_i32_e64 s[16:17], s30, v37
	v_mov_b32_e32 v14, 0
	s_mov_b64 s[28:29], 0
	v_mov_b32_e32 v15, 0
	v_mov_b32_e32 v17, 0
	;; [unrolled: 1-line block ×7, first 2 shown]
	s_waitcnt vmcnt(0)
	v_add_co_u32_e64 v39, s[8:9], v2, v33
	buffer_load_dword v2, off, s[52:55], 0 offset:36 ; 4-byte Folded Reload
	buffer_load_dword v49, off, s[52:55], 0 offset:16 ; 4-byte Folded Reload
	;; [unrolled: 1-line block ×7, first 2 shown]
	v_add_co_u32_e64 v45, s[10:11], 16, v39
	s_waitcnt vmcnt(6)
	v_addc_co_u32_e64 v40, s[8:9], v2, v34, s[8:9]
	v_add_co_u32_e64 v43, s[8:9], 16, v37
	v_addc_co_u32_e64 v44, s[8:9], 0, v38, s[8:9]
	v_addc_co_u32_e64 v46, s[10:11], 0, v40, s[10:11]
	v_cmp_le_i64_e64 s[8:9], s[30:31], v[43:44]
	v_add_co_u32_e64 v47, s[10:11], -16, v39
	v_addc_co_u32_e64 v48, s[10:11], -1, v40, s[10:11]
	s_branch .LBB92_7
.LBB92_6:                               ;   in Loop: Header=BB92_7 Depth=2
	s_or_b64 exec, exec, s[10:11]
	s_waitcnt vmcnt(0) lgkmcnt(0)
	s_barrier
	ds_read_b128 v[28:31], v55
	ds_read_b128 v[10:13], v55 offset:16
	ds_read_b128 v[6:9], v55 offset:32
	;; [unrolled: 1-line block ×3, first 2 shown]
	ds_read2_b64 v[24:27], v57 offset1:16
	v_add_co_u32_e64 v53, s[10:11], s24, v53
	s_add_u32 s28, s28, 32
	s_addc_u32 s29, s29, 0
	s_waitcnt lgkmcnt(0)
	v_mul_f32_e32 v34, v29, v25
	v_mul_f32_e32 v59, v28, v25
	v_fma_f32 v34, v28, v24, -v34
	v_fmac_f32_e32 v59, v29, v24
	v_add_f32_e32 v34, v20, v34
	v_add_f32_e32 v59, v21, v59
	v_mul_f32_e32 v20, v29, v27
	v_mul_f32_e32 v21, v28, v27
	v_fma_f32 v20, v28, v26, -v20
	v_fmac_f32_e32 v21, v29, v26
	v_add_f32_e32 v28, v18, v20
	v_add_f32_e32 v29, v19, v21
	ds_read_b128 v[18:21], v55 offset:4096
	s_sub_i32 s12, s28, 32
	s_cmp_ge_i32 s12, s49
	s_waitcnt lgkmcnt(0)
	v_mul_f32_e32 v60, v19, v25
	v_mul_f32_e32 v25, v18, v25
	v_fma_f32 v60, v18, v24, -v60
	v_fmac_f32_e32 v25, v19, v24
	v_add_f32_e32 v24, v16, v60
	v_add_f32_e32 v25, v17, v25
	v_mul_f32_e32 v16, v19, v27
	v_mul_f32_e32 v17, v18, v27
	v_fma_f32 v16, v18, v26, -v16
	v_fmac_f32_e32 v17, v19, v26
	v_add_f32_e32 v18, v15, v16
	v_add_f32_e32 v19, v14, v17
	ds_read2_b64 v[14:17], v57 offset0:32 offset1:48
	s_waitcnt lgkmcnt(0)
	v_mul_f32_e32 v26, v31, v15
	v_fma_f32 v26, v30, v14, -v26
	v_add_f32_e32 v26, v34, v26
	v_mul_f32_e32 v34, v31, v17
	v_mul_f32_e32 v27, v30, v15
	v_fma_f32 v34, v30, v16, -v34
	v_mul_f32_e32 v30, v30, v17
	v_fmac_f32_e32 v27, v31, v14
	v_fmac_f32_e32 v30, v31, v16
	v_add_f32_e32 v31, v28, v34
	v_mul_f32_e32 v28, v21, v15
	v_mul_f32_e32 v15, v20, v15
	v_fma_f32 v28, v20, v14, -v28
	v_fmac_f32_e32 v15, v21, v14
	v_add_f32_e32 v60, v24, v28
	v_add_f32_e32 v24, v25, v15
	v_mul_f32_e32 v14, v21, v17
	v_mul_f32_e32 v15, v20, v17
	v_fma_f32 v14, v20, v16, -v14
	v_fmac_f32_e32 v15, v21, v16
	v_add_f32_e32 v25, v18, v14
	v_add_f32_e32 v28, v19, v15
	ds_read2_b64 v[14:17], v57 offset0:64 offset1:80
	v_add_f32_e32 v27, v59, v27
	v_add_f32_e32 v29, v29, v30
	s_waitcnt lgkmcnt(0)
	v_mul_f32_e32 v18, v11, v15
	v_mul_f32_e32 v19, v10, v15
	v_fma_f32 v18, v10, v14, -v18
	v_fmac_f32_e32 v19, v11, v14
	v_add_f32_e32 v34, v26, v18
	v_add_f32_e32 v59, v27, v19
	v_mul_f32_e32 v18, v11, v17
	v_mul_f32_e32 v19, v10, v17
	v_fma_f32 v18, v10, v16, -v18
	v_fmac_f32_e32 v19, v11, v16
	v_add_f32_e32 v10, v31, v18
	v_add_f32_e32 v11, v29, v19
	ds_read_b128 v[18:21], v55 offset:4112
	s_waitcnt lgkmcnt(0)
	v_mul_f32_e32 v26, v19, v15
	v_mul_f32_e32 v15, v18, v15
	v_fmac_f32_e32 v15, v19, v14
	v_fma_f32 v26, v18, v14, -v26
	v_add_f32_e32 v24, v24, v15
	v_mul_f32_e32 v14, v19, v17
	v_mul_f32_e32 v15, v18, v17
	v_fma_f32 v14, v18, v16, -v14
	v_fmac_f32_e32 v15, v19, v16
	v_add_f32_e32 v18, v25, v14
	v_add_f32_e32 v19, v28, v15
	ds_read2_b64 v[14:17], v57 offset0:96 offset1:112
	v_add_f32_e32 v26, v60, v26
	s_waitcnt lgkmcnt(0)
	v_mul_f32_e32 v25, v13, v15
	v_mul_f32_e32 v28, v13, v17
	v_fma_f32 v25, v12, v14, -v25
	v_mul_f32_e32 v27, v12, v15
	v_fma_f32 v28, v12, v16, -v28
	v_mul_f32_e32 v12, v12, v17
	v_fmac_f32_e32 v12, v13, v16
	v_add_f32_e32 v28, v10, v28
	v_add_f32_e32 v29, v11, v12
	v_mul_f32_e32 v10, v21, v15
	v_mul_f32_e32 v11, v20, v15
	v_fma_f32 v10, v20, v14, -v10
	v_fmac_f32_e32 v11, v21, v14
	v_fmac_f32_e32 v27, v13, v14
	v_add_f32_e32 v14, v26, v10
	v_add_f32_e32 v15, v24, v11
	v_mul_f32_e32 v10, v21, v17
	v_mul_f32_e32 v11, v20, v17
	v_fma_f32 v10, v20, v16, -v10
	v_fmac_f32_e32 v11, v21, v16
	v_add_f32_e32 v20, v18, v10
	v_add_f32_e32 v21, v19, v11
	ds_read2_b64 v[10:13], v57 offset0:128 offset1:144
	v_add_f32_e32 v25, v34, v25
	v_add_f32_e32 v27, v59, v27
	s_waitcnt lgkmcnt(0)
	v_mul_f32_e32 v16, v7, v11
	v_fma_f32 v16, v6, v10, -v16
	v_mul_f32_e32 v17, v6, v11
	v_add_f32_e32 v24, v25, v16
	v_mul_f32_e32 v16, v7, v13
	v_fmac_f32_e32 v17, v7, v10
	v_fma_f32 v16, v6, v12, -v16
	v_mul_f32_e32 v6, v6, v13
	v_add_f32_e32 v25, v27, v17
	v_fmac_f32_e32 v6, v7, v12
	v_add_f32_e32 v7, v28, v16
	ds_read_b128 v[16:19], v55 offset:4128
	v_add_f32_e32 v6, v29, v6
	s_waitcnt lgkmcnt(0)
	v_mul_f32_e32 v26, v17, v11
	v_mul_f32_e32 v11, v16, v11
	v_fmac_f32_e32 v11, v17, v10
	v_fma_f32 v26, v16, v10, -v26
	v_add_f32_e32 v15, v15, v11
	v_mul_f32_e32 v10, v17, v13
	v_mul_f32_e32 v11, v16, v13
	v_fma_f32 v10, v16, v12, -v10
	v_fmac_f32_e32 v11, v17, v12
	v_add_f32_e32 v20, v20, v10
	v_add_f32_e32 v21, v21, v11
	ds_read2_b64 v[10:13], v57 offset0:160 offset1:176
	v_add_f32_e32 v14, v14, v26
	s_waitcnt lgkmcnt(0)
	v_mul_f32_e32 v16, v9, v11
	v_fma_f32 v16, v8, v10, -v16
	v_add_f32_e32 v24, v24, v16
	v_mul_f32_e32 v16, v9, v13
	v_mul_f32_e32 v17, v8, v11
	v_fma_f32 v16, v8, v12, -v16
	v_mul_f32_e32 v8, v8, v13
	v_fmac_f32_e32 v8, v9, v12
	v_add_f32_e32 v26, v7, v16
	v_add_f32_e32 v27, v6, v8
	v_mul_f32_e32 v6, v19, v11
	v_mul_f32_e32 v7, v18, v11
	v_fmac_f32_e32 v17, v9, v10
	v_fma_f32 v6, v18, v10, -v6
	v_fmac_f32_e32 v7, v19, v10
	v_add_f32_e32 v25, v25, v17
	v_add_f32_e32 v16, v14, v6
	;; [unrolled: 1-line block ×3, first 2 shown]
	v_mul_f32_e32 v6, v19, v13
	v_mul_f32_e32 v7, v18, v13
	v_fma_f32 v6, v18, v12, -v6
	v_fmac_f32_e32 v7, v19, v12
	v_add_f32_e32 v18, v20, v6
	v_add_f32_e32 v19, v21, v7
	ds_read2_b64 v[6:9], v57 offset0:192 offset1:208
	s_waitcnt lgkmcnt(0)
	v_mul_f32_e32 v10, v3, v7
	v_mul_f32_e32 v11, v2, v7
	v_fma_f32 v10, v2, v6, -v10
	v_fmac_f32_e32 v11, v3, v6
	v_add_f32_e32 v14, v24, v10
	v_add_f32_e32 v15, v25, v11
	v_mul_f32_e32 v10, v3, v9
	v_mul_f32_e32 v11, v2, v9
	v_fma_f32 v10, v2, v8, -v10
	v_fmac_f32_e32 v11, v3, v8
	v_add_f32_e32 v2, v26, v10
	v_add_f32_e32 v3, v27, v11
	ds_read_b128 v[10:13], v55 offset:4144
	s_waitcnt lgkmcnt(0)
	v_mul_f32_e32 v20, v11, v7
	v_mul_f32_e32 v7, v10, v7
	v_fmac_f32_e32 v7, v11, v6
	v_fma_f32 v20, v10, v6, -v20
	v_add_f32_e32 v17, v17, v7
	v_mul_f32_e32 v6, v11, v9
	v_mul_f32_e32 v7, v10, v9
	v_fma_f32 v6, v10, v8, -v6
	v_fmac_f32_e32 v7, v11, v8
	v_add_f32_e32 v10, v18, v6
	v_add_f32_e32 v11, v19, v7
	ds_read2_b64 v[6:9], v57 offset0:224 offset1:240
	v_add_f32_e32 v16, v16, v20
	s_waitcnt lgkmcnt(0)
	v_mul_f32_e32 v18, v5, v7
	v_fma_f32 v18, v4, v6, -v18
	v_add_f32_e32 v18, v14, v18
	v_mul_f32_e32 v14, v5, v9
	v_mul_f32_e32 v19, v4, v7
	v_fma_f32 v14, v4, v8, -v14
	v_mul_f32_e32 v4, v4, v9
	v_fmac_f32_e32 v19, v5, v6
	v_fmac_f32_e32 v4, v5, v8
	v_add_f32_e32 v15, v15, v19
	v_add_f32_e32 v19, v2, v14
	;; [unrolled: 1-line block ×3, first 2 shown]
	v_mul_f32_e32 v2, v13, v7
	v_mul_f32_e32 v3, v12, v7
	v_fma_f32 v2, v12, v6, -v2
	v_fmac_f32_e32 v3, v13, v6
	v_add_f32_e32 v21, v16, v2
	v_add_f32_e32 v24, v17, v3
	v_mul_f32_e32 v2, v13, v9
	v_mul_f32_e32 v3, v12, v9
	v_fma_f32 v2, v12, v8, -v2
	v_fmac_f32_e32 v3, v13, v8
	v_add_u32_e32 v14, 0x800, v57
	v_add_f32_e32 v10, v10, v2
	v_add_f32_e32 v11, v11, v3
	ds_read_b128 v[2:5], v55 offset:64
	ds_read2_b64 v[6:9], v14 offset1:16
	s_waitcnt lgkmcnt(0)
	v_mul_f32_e32 v13, v2, v7
	v_fmac_f32_e32 v13, v3, v6
	v_mul_f32_e32 v12, v3, v7
	v_add_f32_e32 v13, v15, v13
	v_mul_f32_e32 v15, v3, v9
	v_fma_f32 v12, v2, v6, -v12
	v_fma_f32 v15, v2, v8, -v15
	v_mul_f32_e32 v2, v2, v9
	v_add_f32_e32 v12, v18, v12
	v_fmac_f32_e32 v2, v3, v8
	v_add_f32_e32 v3, v19, v15
	ds_read_b128 v[15:18], v55 offset:4160
	v_add_f32_e32 v2, v20, v2
	s_waitcnt lgkmcnt(0)
	v_mul_f32_e32 v19, v16, v7
	v_mul_f32_e32 v7, v15, v7
	v_fmac_f32_e32 v7, v16, v6
	v_fma_f32 v19, v15, v6, -v19
	v_add_f32_e32 v20, v24, v7
	v_mul_f32_e32 v6, v16, v9
	v_mul_f32_e32 v7, v15, v9
	v_fma_f32 v6, v15, v8, -v6
	v_fmac_f32_e32 v7, v16, v8
	v_add_f32_e32 v19, v21, v19
	v_add_f32_e32 v21, v10, v6
	;; [unrolled: 1-line block ×3, first 2 shown]
	ds_read2_b64 v[6:9], v14 offset0:32 offset1:48
	s_waitcnt lgkmcnt(0)
	v_mul_f32_e32 v10, v5, v7
	v_fma_f32 v10, v4, v6, -v10
	v_add_f32_e32 v10, v12, v10
	v_mul_f32_e32 v12, v5, v9
	v_mul_f32_e32 v11, v4, v7
	v_fma_f32 v12, v4, v8, -v12
	v_mul_f32_e32 v4, v4, v9
	v_fmac_f32_e32 v11, v5, v6
	v_fmac_f32_e32 v4, v5, v8
	v_add_f32_e32 v11, v13, v11
	v_add_f32_e32 v12, v3, v12
	;; [unrolled: 1-line block ×3, first 2 shown]
	v_mul_f32_e32 v2, v18, v7
	v_mul_f32_e32 v3, v17, v7
	v_fma_f32 v2, v17, v6, -v2
	v_fmac_f32_e32 v3, v18, v6
	v_add_f32_e32 v15, v19, v2
	v_add_f32_e32 v16, v20, v3
	v_mul_f32_e32 v2, v18, v9
	v_mul_f32_e32 v3, v17, v9
	v_fma_f32 v2, v17, v8, -v2
	v_fmac_f32_e32 v3, v18, v8
	v_add_f32_e32 v17, v21, v2
	v_add_f32_e32 v18, v24, v3
	ds_read_b128 v[2:5], v55 offset:80
	ds_read2_b64 v[6:9], v14 offset0:64 offset1:80
	s_waitcnt lgkmcnt(0)
	v_mul_f32_e32 v19, v3, v7
	v_mul_f32_e32 v20, v2, v7
	v_fma_f32 v19, v2, v6, -v19
	v_fmac_f32_e32 v20, v3, v6
	v_add_f32_e32 v19, v10, v19
	v_add_f32_e32 v20, v11, v20
	v_mul_f32_e32 v10, v3, v9
	v_mul_f32_e32 v11, v2, v9
	v_fma_f32 v10, v2, v8, -v10
	v_fmac_f32_e32 v11, v3, v8
	v_add_f32_e32 v2, v12, v10
	v_add_f32_e32 v3, v13, v11
	ds_read_b128 v[10:13], v55 offset:4176
	s_waitcnt lgkmcnt(0)
	v_mul_f32_e32 v21, v11, v7
	v_mul_f32_e32 v7, v10, v7
	v_fmac_f32_e32 v7, v11, v6
	v_fma_f32 v21, v10, v6, -v21
	v_add_f32_e32 v16, v16, v7
	v_mul_f32_e32 v6, v11, v9
	v_mul_f32_e32 v7, v10, v9
	v_fma_f32 v6, v10, v8, -v6
	v_fmac_f32_e32 v7, v11, v8
	v_add_f32_e32 v10, v17, v6
	v_add_f32_e32 v11, v18, v7
	ds_read2_b64 v[6:9], v14 offset0:96 offset1:112
	v_add_f32_e32 v15, v15, v21
	s_waitcnt lgkmcnt(0)
	v_mul_f32_e32 v17, v5, v7
	v_fma_f32 v17, v4, v6, -v17
	v_add_f32_e32 v17, v19, v17
	v_mul_f32_e32 v19, v5, v9
	v_mul_f32_e32 v18, v4, v7
	v_fma_f32 v19, v4, v8, -v19
	v_mul_f32_e32 v4, v4, v9
	v_fmac_f32_e32 v18, v5, v6
	v_fmac_f32_e32 v4, v5, v8
	v_add_f32_e32 v18, v20, v18
	v_add_f32_e32 v19, v2, v19
	;; [unrolled: 1-line block ×3, first 2 shown]
	v_mul_f32_e32 v2, v13, v7
	v_mul_f32_e32 v3, v12, v7
	v_fma_f32 v2, v12, v6, -v2
	v_fmac_f32_e32 v3, v13, v6
	v_add_f32_e32 v21, v15, v2
	v_add_f32_e32 v24, v16, v3
	v_mul_f32_e32 v2, v13, v9
	v_mul_f32_e32 v3, v12, v9
	v_fma_f32 v2, v12, v8, -v2
	v_fmac_f32_e32 v3, v13, v8
	v_add_f32_e32 v10, v10, v2
	v_add_f32_e32 v11, v11, v3
	ds_read_b128 v[2:5], v55 offset:96
	ds_read2_b64 v[6:9], v14 offset0:128 offset1:144
	s_waitcnt lgkmcnt(0)
	v_mul_f32_e32 v12, v3, v7
	v_mul_f32_e32 v13, v2, v7
	v_mul_f32_e32 v15, v3, v9
	v_fma_f32 v12, v2, v6, -v12
	v_fmac_f32_e32 v13, v3, v6
	v_fma_f32 v15, v2, v8, -v15
	v_mul_f32_e32 v2, v2, v9
	v_add_f32_e32 v12, v17, v12
	v_add_f32_e32 v13, v18, v13
	v_fmac_f32_e32 v2, v3, v8
	v_add_f32_e32 v3, v19, v15
	ds_read_b128 v[15:18], v55 offset:4192
	v_add_f32_e32 v2, v20, v2
	s_waitcnt lgkmcnt(0)
	v_mul_f32_e32 v19, v16, v7
	v_mul_f32_e32 v7, v15, v7
	v_fmac_f32_e32 v7, v16, v6
	v_fma_f32 v19, v15, v6, -v19
	v_add_f32_e32 v20, v24, v7
	v_mul_f32_e32 v6, v16, v9
	v_mul_f32_e32 v7, v15, v9
	v_fma_f32 v6, v15, v8, -v6
	v_fmac_f32_e32 v7, v16, v8
	v_add_f32_e32 v19, v21, v19
	v_add_f32_e32 v21, v10, v6
	;; [unrolled: 1-line block ×3, first 2 shown]
	ds_read2_b64 v[6:9], v14 offset0:160 offset1:176
	s_waitcnt lgkmcnt(0)
	v_mul_f32_e32 v10, v5, v7
	v_fma_f32 v10, v4, v6, -v10
	v_add_f32_e32 v10, v12, v10
	v_mul_f32_e32 v12, v5, v9
	v_mul_f32_e32 v11, v4, v7
	v_fma_f32 v12, v4, v8, -v12
	v_mul_f32_e32 v4, v4, v9
	v_fmac_f32_e32 v11, v5, v6
	v_fmac_f32_e32 v4, v5, v8
	v_add_f32_e32 v11, v13, v11
	v_add_f32_e32 v12, v3, v12
	v_add_f32_e32 v13, v2, v4
	v_mul_f32_e32 v2, v18, v7
	v_mul_f32_e32 v3, v17, v7
	v_fma_f32 v2, v17, v6, -v2
	v_fmac_f32_e32 v3, v18, v6
	v_add_f32_e32 v15, v19, v2
	v_add_f32_e32 v16, v20, v3
	v_mul_f32_e32 v2, v18, v9
	v_mul_f32_e32 v3, v17, v9
	v_fma_f32 v2, v17, v8, -v2
	v_fmac_f32_e32 v3, v18, v8
	v_add_f32_e32 v17, v21, v2
	v_add_f32_e32 v18, v24, v3
	ds_read_b128 v[2:5], v55 offset:112
	ds_read2_b64 v[6:9], v14 offset0:192 offset1:208
	s_waitcnt lgkmcnt(0)
	v_mul_f32_e32 v19, v3, v7
	v_mul_f32_e32 v20, v2, v7
	v_fma_f32 v19, v2, v6, -v19
	v_fmac_f32_e32 v20, v3, v6
	v_add_f32_e32 v19, v10, v19
	v_add_f32_e32 v20, v11, v20
	v_mul_f32_e32 v10, v3, v9
	v_mul_f32_e32 v11, v2, v9
	v_fma_f32 v10, v2, v8, -v10
	v_fmac_f32_e32 v11, v3, v8
	v_add_f32_e32 v2, v12, v10
	v_add_f32_e32 v3, v13, v11
	ds_read_b128 v[10:13], v55 offset:4208
	s_waitcnt lgkmcnt(0)
	v_mul_f32_e32 v21, v11, v7
	v_mul_f32_e32 v7, v10, v7
	v_fmac_f32_e32 v7, v11, v6
	v_fma_f32 v21, v10, v6, -v21
	v_add_f32_e32 v16, v16, v7
	v_mul_f32_e32 v6, v11, v9
	v_mul_f32_e32 v7, v10, v9
	v_fma_f32 v6, v10, v8, -v6
	v_fmac_f32_e32 v7, v11, v8
	v_add_f32_e32 v10, v17, v6
	v_add_f32_e32 v11, v18, v7
	ds_read2_b64 v[6:9], v14 offset0:224 offset1:240
	v_add_f32_e32 v15, v15, v21
	s_waitcnt lgkmcnt(0)
	v_mul_f32_e32 v14, v5, v7
	v_fma_f32 v14, v4, v6, -v14
	v_add_f32_e32 v18, v19, v14
	v_mul_f32_e32 v14, v5, v9
	v_mul_f32_e32 v17, v4, v7
	v_fma_f32 v14, v4, v8, -v14
	v_mul_f32_e32 v4, v4, v9
	v_fmac_f32_e32 v17, v5, v6
	v_fmac_f32_e32 v4, v5, v8
	v_add_f32_e32 v17, v20, v17
	v_add_f32_e32 v19, v2, v14
	;; [unrolled: 1-line block ×3, first 2 shown]
	v_mul_f32_e32 v2, v13, v7
	v_mul_f32_e32 v3, v12, v7
	v_fma_f32 v2, v12, v6, -v2
	v_fmac_f32_e32 v3, v13, v6
	v_add_f32_e32 v21, v15, v2
	v_add_f32_e32 v24, v16, v3
	v_mul_f32_e32 v2, v13, v9
	v_mul_f32_e32 v3, v12, v9
	v_fma_f32 v2, v12, v8, -v2
	v_fmac_f32_e32 v3, v13, v8
	v_add_u32_e32 v14, 0x1000, v57
	v_add_f32_e32 v10, v10, v2
	v_add_f32_e32 v11, v11, v3
	ds_read_b128 v[2:5], v55 offset:128
	ds_read2_b64 v[6:9], v14 offset1:16
	s_waitcnt lgkmcnt(0)
	v_mul_f32_e32 v12, v3, v7
	v_mul_f32_e32 v13, v2, v7
	;; [unrolled: 1-line block ×3, first 2 shown]
	v_fma_f32 v12, v2, v6, -v12
	v_fmac_f32_e32 v13, v3, v6
	v_fma_f32 v15, v2, v8, -v15
	v_mul_f32_e32 v2, v2, v9
	v_add_f32_e32 v12, v18, v12
	v_add_f32_e32 v13, v17, v13
	v_fmac_f32_e32 v2, v3, v8
	v_add_f32_e32 v3, v19, v15
	ds_read_b128 v[15:18], v55 offset:4224
	v_add_f32_e32 v2, v20, v2
	s_waitcnt lgkmcnt(0)
	v_mul_f32_e32 v19, v16, v7
	v_mul_f32_e32 v7, v15, v7
	v_fmac_f32_e32 v7, v16, v6
	v_fma_f32 v19, v15, v6, -v19
	v_add_f32_e32 v20, v24, v7
	v_mul_f32_e32 v6, v16, v9
	v_mul_f32_e32 v7, v15, v9
	v_fma_f32 v6, v15, v8, -v6
	v_fmac_f32_e32 v7, v16, v8
	v_add_f32_e32 v19, v21, v19
	v_add_f32_e32 v21, v10, v6
	;; [unrolled: 1-line block ×3, first 2 shown]
	ds_read2_b64 v[6:9], v14 offset0:32 offset1:48
	s_waitcnt lgkmcnt(0)
	v_mul_f32_e32 v10, v5, v7
	v_fma_f32 v10, v4, v6, -v10
	v_add_f32_e32 v10, v12, v10
	v_mul_f32_e32 v12, v5, v9
	v_mul_f32_e32 v11, v4, v7
	v_fma_f32 v12, v4, v8, -v12
	v_mul_f32_e32 v4, v4, v9
	v_fmac_f32_e32 v11, v5, v6
	v_fmac_f32_e32 v4, v5, v8
	v_add_f32_e32 v11, v13, v11
	v_add_f32_e32 v12, v3, v12
	v_add_f32_e32 v13, v2, v4
	v_mul_f32_e32 v2, v18, v7
	v_mul_f32_e32 v3, v17, v7
	v_fma_f32 v2, v17, v6, -v2
	v_fmac_f32_e32 v3, v18, v6
	v_add_f32_e32 v15, v19, v2
	v_add_f32_e32 v16, v20, v3
	v_mul_f32_e32 v2, v18, v9
	v_mul_f32_e32 v3, v17, v9
	v_fma_f32 v2, v17, v8, -v2
	v_fmac_f32_e32 v3, v18, v8
	v_add_f32_e32 v17, v21, v2
	v_add_f32_e32 v18, v24, v3
	ds_read_b128 v[2:5], v55 offset:144
	ds_read2_b64 v[6:9], v14 offset0:64 offset1:80
	s_waitcnt lgkmcnt(0)
	v_mul_f32_e32 v19, v3, v7
	v_mul_f32_e32 v20, v2, v7
	v_fma_f32 v19, v2, v6, -v19
	v_fmac_f32_e32 v20, v3, v6
	v_add_f32_e32 v19, v10, v19
	v_add_f32_e32 v20, v11, v20
	v_mul_f32_e32 v10, v3, v9
	v_mul_f32_e32 v11, v2, v9
	v_fma_f32 v10, v2, v8, -v10
	v_fmac_f32_e32 v11, v3, v8
	v_add_f32_e32 v2, v12, v10
	v_add_f32_e32 v3, v13, v11
	ds_read_b128 v[10:13], v55 offset:4240
	s_waitcnt lgkmcnt(0)
	v_mul_f32_e32 v21, v11, v7
	v_mul_f32_e32 v7, v10, v7
	v_fmac_f32_e32 v7, v11, v6
	v_fma_f32 v21, v10, v6, -v21
	v_add_f32_e32 v16, v16, v7
	v_mul_f32_e32 v6, v11, v9
	v_mul_f32_e32 v7, v10, v9
	v_fma_f32 v6, v10, v8, -v6
	v_fmac_f32_e32 v7, v11, v8
	v_add_f32_e32 v10, v17, v6
	v_add_f32_e32 v11, v18, v7
	ds_read2_b64 v[6:9], v14 offset0:96 offset1:112
	v_add_f32_e32 v15, v15, v21
	s_waitcnt lgkmcnt(0)
	v_mul_f32_e32 v17, v5, v7
	v_fma_f32 v17, v4, v6, -v17
	v_add_f32_e32 v17, v19, v17
	v_mul_f32_e32 v19, v5, v9
	v_mul_f32_e32 v18, v4, v7
	v_fma_f32 v19, v4, v8, -v19
	v_mul_f32_e32 v4, v4, v9
	v_fmac_f32_e32 v18, v5, v6
	v_fmac_f32_e32 v4, v5, v8
	v_add_f32_e32 v18, v20, v18
	v_add_f32_e32 v19, v2, v19
	;; [unrolled: 1-line block ×3, first 2 shown]
	v_mul_f32_e32 v2, v13, v7
	v_mul_f32_e32 v3, v12, v7
	v_fma_f32 v2, v12, v6, -v2
	v_fmac_f32_e32 v3, v13, v6
	v_add_f32_e32 v21, v15, v2
	v_add_f32_e32 v24, v16, v3
	v_mul_f32_e32 v2, v13, v9
	v_mul_f32_e32 v3, v12, v9
	v_fma_f32 v2, v12, v8, -v2
	v_fmac_f32_e32 v3, v13, v8
	v_add_f32_e32 v10, v10, v2
	v_add_f32_e32 v11, v11, v3
	ds_read_b128 v[2:5], v55 offset:160
	ds_read2_b64 v[6:9], v14 offset0:128 offset1:144
	s_waitcnt lgkmcnt(0)
	v_mul_f32_e32 v12, v3, v7
	v_mul_f32_e32 v13, v2, v7
	v_mul_f32_e32 v15, v3, v9
	v_fma_f32 v12, v2, v6, -v12
	v_fmac_f32_e32 v13, v3, v6
	v_fma_f32 v15, v2, v8, -v15
	v_mul_f32_e32 v2, v2, v9
	v_add_f32_e32 v12, v17, v12
	v_add_f32_e32 v13, v18, v13
	v_fmac_f32_e32 v2, v3, v8
	v_add_f32_e32 v3, v19, v15
	ds_read_b128 v[15:18], v55 offset:4256
	v_add_f32_e32 v2, v20, v2
	s_waitcnt lgkmcnt(0)
	v_mul_f32_e32 v19, v16, v7
	v_mul_f32_e32 v7, v15, v7
	v_fmac_f32_e32 v7, v16, v6
	v_fma_f32 v19, v15, v6, -v19
	v_add_f32_e32 v20, v24, v7
	v_mul_f32_e32 v6, v16, v9
	v_mul_f32_e32 v7, v15, v9
	v_fma_f32 v6, v15, v8, -v6
	v_fmac_f32_e32 v7, v16, v8
	v_add_f32_e32 v19, v21, v19
	v_add_f32_e32 v21, v10, v6
	;; [unrolled: 1-line block ×3, first 2 shown]
	ds_read2_b64 v[6:9], v14 offset0:160 offset1:176
	s_waitcnt lgkmcnt(0)
	v_mul_f32_e32 v10, v5, v7
	v_fma_f32 v10, v4, v6, -v10
	v_add_f32_e32 v10, v12, v10
	v_mul_f32_e32 v12, v5, v9
	v_mul_f32_e32 v11, v4, v7
	v_fma_f32 v12, v4, v8, -v12
	v_mul_f32_e32 v4, v4, v9
	v_fmac_f32_e32 v11, v5, v6
	v_fmac_f32_e32 v4, v5, v8
	v_add_f32_e32 v11, v13, v11
	v_add_f32_e32 v12, v3, v12
	;; [unrolled: 1-line block ×3, first 2 shown]
	v_mul_f32_e32 v2, v18, v7
	v_mul_f32_e32 v3, v17, v7
	v_fma_f32 v2, v17, v6, -v2
	v_fmac_f32_e32 v3, v18, v6
	v_add_f32_e32 v15, v19, v2
	v_add_f32_e32 v16, v20, v3
	v_mul_f32_e32 v2, v18, v9
	v_mul_f32_e32 v3, v17, v9
	v_fma_f32 v2, v17, v8, -v2
	v_fmac_f32_e32 v3, v18, v8
	v_add_f32_e32 v17, v21, v2
	v_add_f32_e32 v18, v24, v3
	ds_read_b128 v[2:5], v55 offset:176
	ds_read2_b64 v[6:9], v14 offset0:192 offset1:208
	s_waitcnt lgkmcnt(0)
	v_mul_f32_e32 v19, v3, v7
	v_mul_f32_e32 v20, v2, v7
	v_fma_f32 v19, v2, v6, -v19
	v_fmac_f32_e32 v20, v3, v6
	v_add_f32_e32 v19, v10, v19
	v_add_f32_e32 v20, v11, v20
	v_mul_f32_e32 v10, v3, v9
	v_mul_f32_e32 v11, v2, v9
	v_fma_f32 v10, v2, v8, -v10
	v_fmac_f32_e32 v11, v3, v8
	v_add_f32_e32 v2, v12, v10
	v_add_f32_e32 v3, v13, v11
	ds_read_b128 v[10:13], v55 offset:4272
	s_waitcnt lgkmcnt(0)
	v_mul_f32_e32 v21, v11, v7
	v_mul_f32_e32 v7, v10, v7
	v_fmac_f32_e32 v7, v11, v6
	v_fma_f32 v21, v10, v6, -v21
	v_add_f32_e32 v16, v16, v7
	v_mul_f32_e32 v6, v11, v9
	v_mul_f32_e32 v7, v10, v9
	v_fma_f32 v6, v10, v8, -v6
	v_fmac_f32_e32 v7, v11, v8
	v_add_f32_e32 v10, v17, v6
	v_add_f32_e32 v11, v18, v7
	ds_read2_b64 v[6:9], v14 offset0:224 offset1:240
	v_add_f32_e32 v15, v15, v21
	s_waitcnt lgkmcnt(0)
	v_mul_f32_e32 v14, v5, v7
	v_fma_f32 v14, v4, v6, -v14
	v_add_f32_e32 v18, v19, v14
	v_mul_f32_e32 v14, v5, v9
	v_mul_f32_e32 v17, v4, v7
	v_fma_f32 v14, v4, v8, -v14
	v_mul_f32_e32 v4, v4, v9
	v_fmac_f32_e32 v17, v5, v6
	v_fmac_f32_e32 v4, v5, v8
	v_add_f32_e32 v17, v20, v17
	v_add_f32_e32 v19, v2, v14
	;; [unrolled: 1-line block ×3, first 2 shown]
	v_mul_f32_e32 v2, v13, v7
	v_mul_f32_e32 v3, v12, v7
	v_fma_f32 v2, v12, v6, -v2
	v_fmac_f32_e32 v3, v13, v6
	v_add_f32_e32 v21, v15, v2
	v_add_f32_e32 v24, v16, v3
	v_mul_f32_e32 v2, v13, v9
	v_mul_f32_e32 v3, v12, v9
	v_fma_f32 v2, v12, v8, -v2
	v_fmac_f32_e32 v3, v13, v8
	v_add_u32_e32 v14, 0x1800, v57
	v_add_f32_e32 v10, v10, v2
	v_add_f32_e32 v11, v11, v3
	ds_read_b128 v[2:5], v55 offset:192
	ds_read2_b64 v[6:9], v14 offset1:16
	s_waitcnt lgkmcnt(0)
	v_mul_f32_e32 v12, v3, v7
	v_mul_f32_e32 v13, v2, v7
	;; [unrolled: 1-line block ×3, first 2 shown]
	v_fma_f32 v12, v2, v6, -v12
	v_fmac_f32_e32 v13, v3, v6
	v_fma_f32 v15, v2, v8, -v15
	v_mul_f32_e32 v2, v2, v9
	v_add_f32_e32 v12, v18, v12
	v_add_f32_e32 v13, v17, v13
	v_fmac_f32_e32 v2, v3, v8
	v_add_f32_e32 v3, v19, v15
	ds_read_b128 v[15:18], v55 offset:4288
	v_add_f32_e32 v2, v20, v2
	s_waitcnt lgkmcnt(0)
	v_mul_f32_e32 v19, v16, v7
	v_mul_f32_e32 v7, v15, v7
	v_fmac_f32_e32 v7, v16, v6
	v_fma_f32 v19, v15, v6, -v19
	v_add_f32_e32 v20, v24, v7
	v_mul_f32_e32 v6, v16, v9
	v_mul_f32_e32 v7, v15, v9
	v_fma_f32 v6, v15, v8, -v6
	v_fmac_f32_e32 v7, v16, v8
	v_add_f32_e32 v19, v21, v19
	v_add_f32_e32 v21, v10, v6
	;; [unrolled: 1-line block ×3, first 2 shown]
	ds_read2_b64 v[6:9], v14 offset0:32 offset1:48
	s_waitcnt lgkmcnt(0)
	v_mul_f32_e32 v10, v5, v7
	v_fma_f32 v10, v4, v6, -v10
	v_add_f32_e32 v10, v12, v10
	v_mul_f32_e32 v12, v5, v9
	v_mul_f32_e32 v11, v4, v7
	v_fma_f32 v12, v4, v8, -v12
	v_mul_f32_e32 v4, v4, v9
	v_fmac_f32_e32 v11, v5, v6
	v_fmac_f32_e32 v4, v5, v8
	v_add_f32_e32 v11, v13, v11
	v_add_f32_e32 v12, v3, v12
	;; [unrolled: 1-line block ×3, first 2 shown]
	v_mul_f32_e32 v2, v18, v7
	v_mul_f32_e32 v3, v17, v7
	v_fma_f32 v2, v17, v6, -v2
	v_fmac_f32_e32 v3, v18, v6
	v_add_f32_e32 v15, v19, v2
	v_add_f32_e32 v16, v20, v3
	v_mul_f32_e32 v2, v18, v9
	v_mul_f32_e32 v3, v17, v9
	v_fma_f32 v2, v17, v8, -v2
	v_fmac_f32_e32 v3, v18, v8
	v_add_f32_e32 v17, v21, v2
	v_add_f32_e32 v18, v24, v3
	ds_read_b128 v[2:5], v55 offset:208
	ds_read2_b64 v[6:9], v14 offset0:64 offset1:80
	s_waitcnt lgkmcnt(0)
	v_mul_f32_e32 v19, v3, v7
	v_mul_f32_e32 v20, v2, v7
	v_fma_f32 v19, v2, v6, -v19
	v_fmac_f32_e32 v20, v3, v6
	v_add_f32_e32 v19, v10, v19
	v_add_f32_e32 v20, v11, v20
	v_mul_f32_e32 v10, v3, v9
	v_mul_f32_e32 v11, v2, v9
	v_fma_f32 v10, v2, v8, -v10
	v_fmac_f32_e32 v11, v3, v8
	v_add_f32_e32 v2, v12, v10
	v_add_f32_e32 v3, v13, v11
	ds_read_b128 v[10:13], v55 offset:4304
	s_waitcnt lgkmcnt(0)
	v_mul_f32_e32 v21, v11, v7
	v_mul_f32_e32 v7, v10, v7
	v_fmac_f32_e32 v7, v11, v6
	v_fma_f32 v21, v10, v6, -v21
	v_add_f32_e32 v16, v16, v7
	v_mul_f32_e32 v6, v11, v9
	v_mul_f32_e32 v7, v10, v9
	v_fma_f32 v6, v10, v8, -v6
	v_fmac_f32_e32 v7, v11, v8
	v_add_f32_e32 v10, v17, v6
	v_add_f32_e32 v11, v18, v7
	ds_read2_b64 v[6:9], v14 offset0:96 offset1:112
	v_add_f32_e32 v15, v15, v21
	s_waitcnt lgkmcnt(0)
	v_mul_f32_e32 v17, v5, v7
	v_fma_f32 v17, v4, v6, -v17
	v_add_f32_e32 v17, v19, v17
	v_mul_f32_e32 v19, v5, v9
	v_mul_f32_e32 v18, v4, v7
	v_fma_f32 v19, v4, v8, -v19
	v_mul_f32_e32 v4, v4, v9
	v_fmac_f32_e32 v18, v5, v6
	v_fmac_f32_e32 v4, v5, v8
	v_add_f32_e32 v18, v20, v18
	v_add_f32_e32 v19, v2, v19
	;; [unrolled: 1-line block ×3, first 2 shown]
	v_mul_f32_e32 v2, v13, v7
	v_mul_f32_e32 v3, v12, v7
	v_fma_f32 v2, v12, v6, -v2
	v_fmac_f32_e32 v3, v13, v6
	v_add_f32_e32 v21, v15, v2
	v_add_f32_e32 v24, v16, v3
	v_mul_f32_e32 v2, v13, v9
	v_mul_f32_e32 v3, v12, v9
	v_fma_f32 v2, v12, v8, -v2
	v_fmac_f32_e32 v3, v13, v8
	v_add_f32_e32 v10, v10, v2
	v_add_f32_e32 v11, v11, v3
	ds_read_b128 v[2:5], v55 offset:224
	ds_read2_b64 v[6:9], v14 offset0:128 offset1:144
	s_waitcnt lgkmcnt(0)
	v_mul_f32_e32 v12, v3, v7
	v_mul_f32_e32 v13, v2, v7
	;; [unrolled: 1-line block ×3, first 2 shown]
	v_fma_f32 v12, v2, v6, -v12
	v_fmac_f32_e32 v13, v3, v6
	v_fma_f32 v15, v2, v8, -v15
	v_mul_f32_e32 v2, v2, v9
	v_add_f32_e32 v12, v17, v12
	v_add_f32_e32 v13, v18, v13
	v_fmac_f32_e32 v2, v3, v8
	v_add_f32_e32 v3, v19, v15
	ds_read_b128 v[15:18], v55 offset:4320
	v_add_f32_e32 v2, v20, v2
	s_waitcnt lgkmcnt(0)
	v_mul_f32_e32 v19, v16, v7
	v_mul_f32_e32 v7, v15, v7
	v_fmac_f32_e32 v7, v16, v6
	v_fma_f32 v19, v15, v6, -v19
	v_add_f32_e32 v20, v24, v7
	v_mul_f32_e32 v6, v16, v9
	v_mul_f32_e32 v7, v15, v9
	v_fma_f32 v6, v15, v8, -v6
	v_fmac_f32_e32 v7, v16, v8
	v_add_f32_e32 v19, v21, v19
	v_add_f32_e32 v21, v10, v6
	;; [unrolled: 1-line block ×3, first 2 shown]
	ds_read2_b64 v[6:9], v14 offset0:160 offset1:176
	s_waitcnt lgkmcnt(0)
	v_mul_f32_e32 v10, v5, v7
	v_fma_f32 v10, v4, v6, -v10
	v_add_f32_e32 v10, v12, v10
	v_mul_f32_e32 v12, v5, v9
	v_mul_f32_e32 v11, v4, v7
	v_fma_f32 v12, v4, v8, -v12
	v_mul_f32_e32 v4, v4, v9
	v_fmac_f32_e32 v11, v5, v6
	v_fmac_f32_e32 v4, v5, v8
	v_add_f32_e32 v11, v13, v11
	v_add_f32_e32 v12, v3, v12
	;; [unrolled: 1-line block ×3, first 2 shown]
	v_mul_f32_e32 v2, v18, v7
	v_mul_f32_e32 v3, v17, v7
	v_fma_f32 v2, v17, v6, -v2
	v_fmac_f32_e32 v3, v18, v6
	v_add_f32_e32 v15, v19, v2
	v_add_f32_e32 v16, v20, v3
	v_mul_f32_e32 v2, v18, v9
	v_mul_f32_e32 v3, v17, v9
	v_fma_f32 v2, v17, v8, -v2
	v_fmac_f32_e32 v3, v18, v8
	v_add_f32_e32 v17, v21, v2
	v_add_f32_e32 v18, v24, v3
	ds_read_b128 v[2:5], v55 offset:240
	ds_read2_b64 v[6:9], v14 offset0:192 offset1:208
	s_waitcnt lgkmcnt(0)
	v_mul_f32_e32 v19, v3, v7
	v_mul_f32_e32 v20, v2, v7
	v_fma_f32 v19, v2, v6, -v19
	v_fmac_f32_e32 v20, v3, v6
	v_add_f32_e32 v19, v10, v19
	v_add_f32_e32 v21, v11, v20
	v_mul_f32_e32 v10, v3, v9
	v_mul_f32_e32 v11, v2, v9
	v_fma_f32 v10, v2, v8, -v10
	v_fmac_f32_e32 v11, v3, v8
	v_add_f32_e32 v2, v12, v10
	v_add_f32_e32 v3, v13, v11
	ds_read_b128 v[10:13], v55 offset:4336
	s_waitcnt lgkmcnt(0)
	v_mul_f32_e32 v20, v11, v7
	v_mul_f32_e32 v7, v10, v7
	v_fmac_f32_e32 v7, v11, v6
	v_fma_f32 v20, v10, v6, -v20
	v_add_f32_e32 v24, v16, v7
	v_mul_f32_e32 v6, v11, v9
	v_mul_f32_e32 v7, v10, v9
	v_fma_f32 v6, v10, v8, -v6
	v_fmac_f32_e32 v7, v11, v8
	v_add_f32_e32 v10, v17, v6
	v_add_f32_e32 v11, v18, v7
	ds_read2_b64 v[6:9], v14 offset0:224 offset1:240
	v_add_f32_e32 v15, v15, v20
	s_waitcnt lgkmcnt(0)
	s_barrier
	v_mul_f32_e32 v14, v5, v7
	v_fma_f32 v14, v4, v6, -v14
	v_add_f32_e32 v20, v19, v14
	v_mul_f32_e32 v14, v5, v9
	v_fma_f32 v14, v4, v8, -v14
	v_mul_f32_e32 v16, v4, v7
	v_add_f32_e32 v18, v2, v14
	v_mul_f32_e32 v2, v13, v7
	v_fmac_f32_e32 v16, v5, v6
	v_fma_f32 v2, v12, v6, -v2
	v_add_f32_e32 v21, v21, v16
	v_add_f32_e32 v16, v15, v2
	v_mul_f32_e32 v2, v13, v9
	v_mul_f32_e32 v4, v4, v9
	v_fma_f32 v2, v12, v8, -v2
	v_fmac_f32_e32 v4, v5, v8
	v_add_f32_e32 v15, v10, v2
	v_mov_b32_e32 v2, s25
	v_add_f32_e32 v19, v3, v4
	v_mul_f32_e32 v3, v12, v7
	v_addc_co_u32_e64 v54, s[10:11], v54, v2, s[10:11]
	v_fmac_f32_e32 v3, v13, v6
	v_add_co_u32_e64 v51, s[10:11], s24, v51
	v_add_f32_e32 v17, v24, v3
	v_mul_f32_e32 v3, v12, v9
	v_addc_co_u32_e64 v52, s[10:11], v52, v2, s[10:11]
	v_fmac_f32_e32 v3, v13, v8
	v_add_co_u32_e64 v49, s[10:11], s26, v49
	v_mov_b32_e32 v2, s27
	v_add_f32_e32 v14, v11, v3
	v_addc_co_u32_e64 v50, s[10:11], v50, v2, s[10:11]
	s_cbranch_scc1 .LBB92_55
.LBB92_7:                               ;   Parent Loop BB92_4 Depth=1
                                        ; =>  This Inner Loop Header: Depth=2
	v_mov_b32_e32 v2, s29
	v_add_co_u32_e64 v4, s[10:11], s28, v0
	v_addc_co_u32_e64 v5, s[10:11], 0, v2, s[10:11]
	v_cmp_eq_u64_e64 s[10:11], s[28:29], v[39:40]
	s_waitcnt vmcnt(3)
	v_add_co_u32_e64 v2, s[12:13], v51, v41
	s_and_b64 s[40:41], s[22:23], s[10:11]
	v_cmp_gt_i64_e64 s[10:11], v[4:5], v[37:38]
	s_waitcnt vmcnt(2)
	v_addc_co_u32_e64 v3, s[12:13], v52, v42, s[12:13]
	v_cmp_le_i64_e64 s[12:13], s[30:31], v[4:5]
	s_or_b64 s[14:15], s[16:17], s[10:11]
	s_or_b64 s[14:15], s[14:15], s[40:41]
	s_nor_b64 s[14:15], s[12:13], s[14:15]
	s_and_saveexec_b64 s[18:19], s[14:15]
	s_xor_b64 s[14:15], exec, s[18:19]
	s_cbranch_execz .LBB92_9
; %bb.8:                                ;   in Loop: Header=BB92_7 Depth=2
	global_load_dwordx2 v[6:7], v[2:3], off
	s_waitcnt vmcnt(0)
	v_xor_b32_e32 v7, 0x80000000, v7
	ds_write_b64 v56, v[6:7]
.LBB92_9:                               ;   in Loop: Header=BB92_7 Depth=2
	s_or_saveexec_b64 s[14:15], s[14:15]
	s_xor_b64 s[36:37], s[40:41], -1
	s_xor_b64 exec, exec, s[14:15]
	s_cbranch_execz .LBB92_15
; %bb.10:                               ;   in Loop: Header=BB92_7 Depth=2
	s_and_saveexec_b64 s[18:19], s[36:37]
	s_xor_b64 s[18:19], exec, s[18:19]
; %bb.11:                               ;   in Loop: Header=BB92_7 Depth=2
	v_mov_b32_e32 v6, v23
	v_mov_b32_e32 v7, v23
	ds_write_b64 v56, v[6:7]
; %bb.12:                               ;   in Loop: Header=BB92_7 Depth=2
	s_andn2_saveexec_b64 s[18:19], s[18:19]
; %bb.13:                               ;   in Loop: Header=BB92_7 Depth=2
	ds_write_b64 v56, v[22:23]
; %bb.14:                               ;   in Loop: Header=BB92_7 Depth=2
	s_or_b64 exec, exec, s[18:19]
.LBB92_15:                              ;   in Loop: Header=BB92_7 Depth=2
	s_or_b64 exec, exec, s[14:15]
	v_add_co_u32_e64 v6, s[18:19], 16, v4
	v_addc_co_u32_e64 v7, s[18:19], 0, v5, s[18:19]
	v_cmp_eq_u64_e64 s[14:15], s[28:29], v[47:48]
	v_cmp_gt_i64_e64 s[18:19], v[6:7], v[37:38]
	s_and_b64 s[20:21], s[22:23], s[14:15]
	v_cmp_le_i64_e64 s[14:15], s[30:31], v[6:7]
	s_or_b64 s[18:19], s[16:17], s[18:19]
	s_or_b64 s[18:19], s[18:19], s[20:21]
	s_nor_b64 s[18:19], s[14:15], s[18:19]
	s_and_saveexec_b64 s[42:43], s[18:19]
	s_xor_b64 s[42:43], exec, s[42:43]
	s_cbranch_execz .LBB92_17
; %bb.16:                               ;   in Loop: Header=BB92_7 Depth=2
	s_waitcnt vmcnt(1)
	v_add_co_u32_e64 v6, s[18:19], v53, v41
	s_waitcnt vmcnt(0)
	v_addc_co_u32_e64 v7, s[18:19], v54, v42, s[18:19]
	global_load_dwordx2 v[6:7], v[6:7], off
	s_waitcnt vmcnt(0)
	v_xor_b32_e32 v7, 0x80000000, v7
	ds_write_b64 v56, v[6:7] offset:128
.LBB92_17:                              ;   in Loop: Header=BB92_7 Depth=2
	s_andn2_saveexec_b64 s[18:19], s[42:43]
	s_cbranch_execz .LBB92_23
; %bb.18:                               ;   in Loop: Header=BB92_7 Depth=2
	s_xor_b64 s[20:21], s[20:21], -1
	s_and_saveexec_b64 s[42:43], s[20:21]
	s_xor_b64 s[20:21], exec, s[42:43]
; %bb.19:                               ;   in Loop: Header=BB92_7 Depth=2
	v_mov_b32_e32 v6, v23
	v_mov_b32_e32 v7, v23
	ds_write_b64 v56, v[6:7] offset:128
; %bb.20:                               ;   in Loop: Header=BB92_7 Depth=2
	s_andn2_saveexec_b64 s[20:21], s[20:21]
; %bb.21:                               ;   in Loop: Header=BB92_7 Depth=2
	ds_write_b64 v56, v[22:23] offset:128
; %bb.22:                               ;   in Loop: Header=BB92_7 Depth=2
	s_or_b64 exec, exec, s[20:21]
.LBB92_23:                              ;   in Loop: Header=BB92_7 Depth=2
	s_or_b64 exec, exec, s[18:19]
	v_cmp_eq_u64_e64 s[18:19], s[28:29], v[45:46]
	v_cmp_gt_i64_e64 s[20:21], v[4:5], v[43:44]
	s_and_b64 s[18:19], s[22:23], s[18:19]
	s_or_b64 s[20:21], s[8:9], s[20:21]
	s_or_b64 s[20:21], s[20:21], s[18:19]
	s_nor_b64 s[12:13], s[12:13], s[20:21]
	s_and_saveexec_b64 s[20:21], s[12:13]
	s_xor_b64 s[12:13], exec, s[20:21]
	s_cbranch_execz .LBB92_25
; %bb.24:                               ;   in Loop: Header=BB92_7 Depth=2
	global_load_dwordx2 v[2:3], v[2:3], off offset:128
	s_waitcnt vmcnt(0)
	v_xor_b32_e32 v3, 0x80000000, v3
	ds_write_b64 v56, v[2:3] offset:4096
.LBB92_25:                              ;   in Loop: Header=BB92_7 Depth=2
	s_andn2_saveexec_b64 s[12:13], s[12:13]
	s_cbranch_execz .LBB92_31
; %bb.26:                               ;   in Loop: Header=BB92_7 Depth=2
	s_xor_b64 s[18:19], s[18:19], -1
	s_and_saveexec_b64 s[20:21], s[18:19]
	s_xor_b64 s[18:19], exec, s[20:21]
; %bb.27:                               ;   in Loop: Header=BB92_7 Depth=2
	v_mov_b32_e32 v2, v23
	v_mov_b32_e32 v3, v23
	ds_write_b64 v56, v[2:3] offset:4096
; %bb.28:                               ;   in Loop: Header=BB92_7 Depth=2
	s_andn2_saveexec_b64 s[18:19], s[18:19]
; %bb.29:                               ;   in Loop: Header=BB92_7 Depth=2
	ds_write_b64 v56, v[22:23] offset:4096
; %bb.30:                               ;   in Loop: Header=BB92_7 Depth=2
	s_or_b64 exec, exec, s[18:19]
.LBB92_31:                              ;   in Loop: Header=BB92_7 Depth=2
	s_or_b64 exec, exec, s[12:13]
	s_or_b64 s[10:11], s[8:9], s[10:11]
	s_or_b64 s[10:11], s[10:11], s[40:41]
	s_nor_b64 s[10:11], s[14:15], s[10:11]
	s_and_saveexec_b64 s[12:13], s[10:11]
	s_xor_b64 s[12:13], exec, s[12:13]
	s_cbranch_execz .LBB92_33
; %bb.32:                               ;   in Loop: Header=BB92_7 Depth=2
	s_waitcnt vmcnt(1)
	v_add_co_u32_e64 v2, s[10:11], v53, v41
	s_waitcnt vmcnt(0)
	v_addc_co_u32_e64 v3, s[10:11], v54, v42, s[10:11]
	global_load_dwordx2 v[2:3], v[2:3], off offset:128
	s_waitcnt vmcnt(0)
	v_xor_b32_e32 v3, 0x80000000, v3
	ds_write_b64 v56, v[2:3] offset:4224
.LBB92_33:                              ;   in Loop: Header=BB92_7 Depth=2
	s_andn2_saveexec_b64 s[10:11], s[12:13]
	s_cbranch_execz .LBB92_39
; %bb.34:                               ;   in Loop: Header=BB92_7 Depth=2
	s_and_saveexec_b64 s[12:13], s[36:37]
	s_xor_b64 s[12:13], exec, s[12:13]
; %bb.35:                               ;   in Loop: Header=BB92_7 Depth=2
	v_mov_b32_e32 v2, v23
	v_mov_b32_e32 v3, v23
	ds_write_b64 v56, v[2:3] offset:4224
; %bb.36:                               ;   in Loop: Header=BB92_7 Depth=2
	s_andn2_saveexec_b64 s[12:13], s[12:13]
; %bb.37:                               ;   in Loop: Header=BB92_7 Depth=2
	ds_write_b64 v56, v[22:23] offset:4224
; %bb.38:                               ;   in Loop: Header=BB92_7 Depth=2
	s_or_b64 exec, exec, s[12:13]
.LBB92_39:                              ;   in Loop: Header=BB92_7 Depth=2
	s_or_b64 exec, exec, s[10:11]
	v_mov_b32_e32 v3, s29
	v_add_co_u32_e64 v2, s[10:11], s28, v1
	v_addc_co_u32_e64 v3, s[10:11], 0, v3, s[10:11]
	v_cmp_le_i64_e64 s[10:11], s[30:31], v[2:3]
	v_add_co_u32_e64 v4, s[12:13], v49, v61
	v_addc_co_u32_e64 v5, s[12:13], v50, v62, s[12:13]
	s_nor_b64 s[12:13], s[10:11], vcc
	s_and_saveexec_b64 s[14:15], s[12:13]
	s_xor_b64 s[12:13], exec, s[14:15]
	s_cbranch_execz .LBB92_41
; %bb.40:                               ;   in Loop: Header=BB92_7 Depth=2
	global_load_dwordx2 v[6:7], v[4:5], off offset:-128
	s_waitcnt vmcnt(0)
	ds_write_b64 v58, v[6:7]
.LBB92_41:                              ;   in Loop: Header=BB92_7 Depth=2
	s_andn2_saveexec_b64 s[12:13], s[12:13]
; %bb.42:                               ;   in Loop: Header=BB92_7 Depth=2
	v_mov_b32_e32 v6, v23
	v_mov_b32_e32 v7, v23
	ds_write_b64 v58, v[6:7]
; %bb.43:                               ;   in Loop: Header=BB92_7 Depth=2
	s_or_b64 exec, exec, s[12:13]
	s_nor_b64 s[10:11], s[10:11], s[0:1]
	s_and_saveexec_b64 s[12:13], s[10:11]
	s_xor_b64 s[10:11], exec, s[12:13]
	s_cbranch_execz .LBB92_45
; %bb.44:                               ;   in Loop: Header=BB92_7 Depth=2
	global_load_dwordx2 v[4:5], v[4:5], off
	s_waitcnt vmcnt(0)
	ds_write_b64 v58, v[4:5] offset:128
.LBB92_45:                              ;   in Loop: Header=BB92_7 Depth=2
	s_andn2_saveexec_b64 s[10:11], s[10:11]
; %bb.46:                               ;   in Loop: Header=BB92_7 Depth=2
	v_mov_b32_e32 v4, v23
	v_mov_b32_e32 v5, v23
	ds_write_b64 v58, v[4:5] offset:128
; %bb.47:                               ;   in Loop: Header=BB92_7 Depth=2
	s_or_b64 exec, exec, s[10:11]
	v_cmp_le_i64_e64 s[10:11], s[38:39], v[2:3]
	v_add_co_u32_e64 v2, s[12:13], v49, v32
	v_addc_co_u32_e64 v3, s[12:13], v50, v63, s[12:13]
	s_nor_b64 s[12:13], s[10:11], vcc
	s_and_saveexec_b64 s[14:15], s[12:13]
	s_xor_b64 s[12:13], exec, s[14:15]
	s_cbranch_execz .LBB92_49
; %bb.48:                               ;   in Loop: Header=BB92_7 Depth=2
	global_load_dwordx2 v[4:5], v[2:3], off
	s_waitcnt vmcnt(0)
	ds_write_b64 v58, v[4:5] offset:4096
.LBB92_49:                              ;   in Loop: Header=BB92_7 Depth=2
	s_andn2_saveexec_b64 s[12:13], s[12:13]
; %bb.50:                               ;   in Loop: Header=BB92_7 Depth=2
	v_mov_b32_e32 v4, v23
	v_mov_b32_e32 v5, v23
	ds_write_b64 v58, v[4:5] offset:4096
; %bb.51:                               ;   in Loop: Header=BB92_7 Depth=2
	s_or_b64 exec, exec, s[12:13]
	s_nor_b64 s[10:11], s[10:11], s[0:1]
	s_and_saveexec_b64 s[12:13], s[10:11]
	s_xor_b64 s[10:11], exec, s[12:13]
	s_cbranch_execz .LBB92_53
; %bb.52:                               ;   in Loop: Header=BB92_7 Depth=2
	global_load_dwordx2 v[2:3], v[2:3], off offset:128
	s_waitcnt vmcnt(0)
	ds_write_b64 v58, v[2:3] offset:4224
.LBB92_53:                              ;   in Loop: Header=BB92_7 Depth=2
	s_andn2_saveexec_b64 s[10:11], s[10:11]
	s_cbranch_execz .LBB92_6
; %bb.54:                               ;   in Loop: Header=BB92_7 Depth=2
	v_mov_b32_e32 v2, v23
	v_mov_b32_e32 v3, v23
	ds_write_b64 v58, v[2:3] offset:4224
	s_branch .LBB92_6
.LBB92_55:                              ;   in Loop: Header=BB92_4 Depth=1
	v_mul_lo_u32 v4, s45, v37
	v_mul_lo_u32 v5, s44, v38
	v_mad_u64_u32 v[2:3], s[8:9], s44, v37, 0
	v_cmp_gt_i32_e64 s[8:9], s30, v37
	v_add3_u32 v3, v3, v5, v4
	v_lshlrev_b64 v[2:3], 3, v[2:3]
	v_mov_b32_e32 v4, s47
	v_add_co_u32_e64 v2, s[10:11], s46, v2
	v_addc_co_u32_e64 v3, s[10:11], v4, v3, s[10:11]
	s_and_b64 s[10:11], s[2:3], s[8:9]
	s_and_saveexec_b64 s[12:13], s[10:11]
	s_cbranch_execz .LBB92_57
; %bb.56:                               ;   in Loop: Header=BB92_4 Depth=1
	v_add_co_u32_e64 v4, s[10:11], v2, v35
	v_addc_co_u32_e64 v5, s[10:11], v3, v36, s[10:11]
	global_load_dwordx2 v[6:7], v[4:5], off
	v_mul_f32_e32 v8, s35, v21
	v_mul_f32_e32 v9, s34, v21
	v_fma_f32 v8, v20, s34, -v8
	v_fmac_f32_e32 v9, s35, v20
	s_waitcnt vmcnt(0)
	v_add_f32_e32 v6, v6, v8
	v_add_f32_e32 v7, v9, v7
	global_store_dwordx2 v[4:5], v[6:7], off
.LBB92_57:                              ;   in Loop: Header=BB92_4 Depth=1
	s_or_b64 exec, exec, s[12:13]
	s_and_b64 s[8:9], s[4:5], s[8:9]
	s_and_saveexec_b64 s[10:11], s[8:9]
	s_cbranch_execz .LBB92_59
; %bb.58:                               ;   in Loop: Header=BB92_4 Depth=1
	buffer_load_dword v4, off, s[52:55], 0  ; 4-byte Folded Reload
	buffer_load_dword v5, off, s[52:55], 0 offset:4 ; 4-byte Folded Reload
	v_mul_f32_e32 v6, s35, v19
	v_mul_f32_e32 v7, s34, v19
	v_fma_f32 v6, v18, s34, -v6
	v_fmac_f32_e32 v7, s35, v18
	s_waitcnt vmcnt(1)
	v_add_co_u32_e64 v2, s[8:9], v2, v4
	s_waitcnt vmcnt(0)
	v_addc_co_u32_e64 v3, s[8:9], v3, v5, s[8:9]
	global_load_dwordx2 v[4:5], v[2:3], off
	s_waitcnt vmcnt(0)
	v_add_f32_e32 v4, v4, v6
	v_add_f32_e32 v5, v7, v5
	global_store_dwordx2 v[2:3], v[4:5], off
.LBB92_59:                              ;   in Loop: Header=BB92_4 Depth=1
	s_or_b64 exec, exec, s[10:11]
	v_add_u32_e32 v4, 16, v37
	v_ashrrev_i32_e32 v2, 31, v4
	v_mul_lo_u32 v5, s44, v2
	v_mul_lo_u32 v6, s45, v4
	v_mad_u64_u32 v[2:3], s[8:9], s44, v4, 0
	v_cmp_gt_i32_e64 s[8:9], s30, v4
	v_mov_b32_e32 v4, s47
	v_add3_u32 v3, v3, v5, v6
	v_lshlrev_b64 v[2:3], 3, v[2:3]
	v_add_co_u32_e64 v2, s[10:11], s46, v2
	v_addc_co_u32_e64 v3, s[10:11], v4, v3, s[10:11]
	s_and_b64 s[10:11], s[2:3], s[8:9]
	s_and_saveexec_b64 s[12:13], s[10:11]
	s_cbranch_execz .LBB92_61
; %bb.60:                               ;   in Loop: Header=BB92_4 Depth=1
	v_add_co_u32_e64 v4, s[10:11], v2, v35
	v_addc_co_u32_e64 v5, s[10:11], v3, v36, s[10:11]
	global_load_dwordx2 v[6:7], v[4:5], off
	v_mul_f32_e32 v8, s35, v17
	v_mul_f32_e32 v9, s34, v17
	v_fma_f32 v8, v16, s34, -v8
	v_fmac_f32_e32 v9, s35, v16
	s_waitcnt vmcnt(0)
	v_add_f32_e32 v6, v6, v8
	v_add_f32_e32 v7, v9, v7
	global_store_dwordx2 v[4:5], v[6:7], off
.LBB92_61:                              ;   in Loop: Header=BB92_4 Depth=1
	s_or_b64 exec, exec, s[12:13]
	s_and_b64 s[8:9], s[4:5], s[8:9]
	s_and_saveexec_b64 s[10:11], s[8:9]
	s_cbranch_execz .LBB92_3
; %bb.62:                               ;   in Loop: Header=BB92_4 Depth=1
	buffer_load_dword v4, off, s[52:55], 0  ; 4-byte Folded Reload
	buffer_load_dword v5, off, s[52:55], 0 offset:4 ; 4-byte Folded Reload
	v_mul_f32_e32 v6, s35, v14
	v_mul_f32_e32 v7, s34, v14
	v_fma_f32 v6, v15, s34, -v6
	v_fmac_f32_e32 v7, s35, v15
	s_waitcnt vmcnt(1)
	v_add_co_u32_e64 v2, s[8:9], v2, v4
	s_waitcnt vmcnt(0)
	v_addc_co_u32_e64 v3, s[8:9], v3, v5, s[8:9]
	global_load_dwordx2 v[4:5], v[2:3], off
	s_waitcnt vmcnt(0)
	v_add_f32_e32 v4, v4, v6
	v_add_f32_e32 v5, v7, v5
	global_store_dwordx2 v[2:3], v[4:5], off
	s_branch .LBB92_3
.LBB92_63:
	s_endpgm
	.section	.rodata,"a",@progbits
	.p2align	6, 0x0
	.amdhsa_kernel _ZL30rocblas_trmm_outofplace_kernelI19rocblas_complex_numIfELi32ELi2ELb0ELb0ELb1ELb1EPKS1_S2_S1_Ev17rocblas_diagonal_iiT6_lPT7_lllS7_lllPT8_llli
		.amdhsa_group_segment_fixed_size 16384
		.amdhsa_private_segment_fixed_size 44
		.amdhsa_kernarg_size 392
		.amdhsa_user_sgpr_count 6
		.amdhsa_user_sgpr_private_segment_buffer 1
		.amdhsa_user_sgpr_dispatch_ptr 0
		.amdhsa_user_sgpr_queue_ptr 0
		.amdhsa_user_sgpr_kernarg_segment_ptr 1
		.amdhsa_user_sgpr_dispatch_id 0
		.amdhsa_user_sgpr_flat_scratch_init 0
		.amdhsa_user_sgpr_private_segment_size 0
		.amdhsa_uses_dynamic_stack 0
		.amdhsa_system_sgpr_private_segment_wavefront_offset 1
		.amdhsa_system_sgpr_workgroup_id_x 1
		.amdhsa_system_sgpr_workgroup_id_y 1
		.amdhsa_system_sgpr_workgroup_id_z 1
		.amdhsa_system_sgpr_workgroup_info 0
		.amdhsa_system_vgpr_workitem_id 1
		.amdhsa_next_free_vgpr 64
		.amdhsa_next_free_sgpr 61
		.amdhsa_reserve_vcc 1
		.amdhsa_reserve_flat_scratch 0
		.amdhsa_float_round_mode_32 0
		.amdhsa_float_round_mode_16_64 0
		.amdhsa_float_denorm_mode_32 3
		.amdhsa_float_denorm_mode_16_64 3
		.amdhsa_dx10_clamp 1
		.amdhsa_ieee_mode 1
		.amdhsa_fp16_overflow 0
		.amdhsa_exception_fp_ieee_invalid_op 0
		.amdhsa_exception_fp_denorm_src 0
		.amdhsa_exception_fp_ieee_div_zero 0
		.amdhsa_exception_fp_ieee_overflow 0
		.amdhsa_exception_fp_ieee_underflow 0
		.amdhsa_exception_fp_ieee_inexact 0
		.amdhsa_exception_int_div_zero 0
	.end_amdhsa_kernel
	.section	.text._ZL30rocblas_trmm_outofplace_kernelI19rocblas_complex_numIfELi32ELi2ELb0ELb0ELb1ELb1EPKS1_S2_S1_Ev17rocblas_diagonal_iiT6_lPT7_lllS7_lllPT8_llli,"axG",@progbits,_ZL30rocblas_trmm_outofplace_kernelI19rocblas_complex_numIfELi32ELi2ELb0ELb0ELb1ELb1EPKS1_S2_S1_Ev17rocblas_diagonal_iiT6_lPT7_lllS7_lllPT8_llli,comdat
.Lfunc_end92:
	.size	_ZL30rocblas_trmm_outofplace_kernelI19rocblas_complex_numIfELi32ELi2ELb0ELb0ELb1ELb1EPKS1_S2_S1_Ev17rocblas_diagonal_iiT6_lPT7_lllS7_lllPT8_llli, .Lfunc_end92-_ZL30rocblas_trmm_outofplace_kernelI19rocblas_complex_numIfELi32ELi2ELb0ELb0ELb1ELb1EPKS1_S2_S1_Ev17rocblas_diagonal_iiT6_lPT7_lllS7_lllPT8_llli
                                        ; -- End function
	.set _ZL30rocblas_trmm_outofplace_kernelI19rocblas_complex_numIfELi32ELi2ELb0ELb0ELb1ELb1EPKS1_S2_S1_Ev17rocblas_diagonal_iiT6_lPT7_lllS7_lllPT8_llli.num_vgpr, 64
	.set _ZL30rocblas_trmm_outofplace_kernelI19rocblas_complex_numIfELi32ELi2ELb0ELb0ELb1ELb1EPKS1_S2_S1_Ev17rocblas_diagonal_iiT6_lPT7_lllS7_lllPT8_llli.num_agpr, 0
	.set _ZL30rocblas_trmm_outofplace_kernelI19rocblas_complex_numIfELi32ELi2ELb0ELb0ELb1ELb1EPKS1_S2_S1_Ev17rocblas_diagonal_iiT6_lPT7_lllS7_lllPT8_llli.numbered_sgpr, 56
	.set _ZL30rocblas_trmm_outofplace_kernelI19rocblas_complex_numIfELi32ELi2ELb0ELb0ELb1ELb1EPKS1_S2_S1_Ev17rocblas_diagonal_iiT6_lPT7_lllS7_lllPT8_llli.num_named_barrier, 0
	.set _ZL30rocblas_trmm_outofplace_kernelI19rocblas_complex_numIfELi32ELi2ELb0ELb0ELb1ELb1EPKS1_S2_S1_Ev17rocblas_diagonal_iiT6_lPT7_lllS7_lllPT8_llli.private_seg_size, 44
	.set _ZL30rocblas_trmm_outofplace_kernelI19rocblas_complex_numIfELi32ELi2ELb0ELb0ELb1ELb1EPKS1_S2_S1_Ev17rocblas_diagonal_iiT6_lPT7_lllS7_lllPT8_llli.uses_vcc, 1
	.set _ZL30rocblas_trmm_outofplace_kernelI19rocblas_complex_numIfELi32ELi2ELb0ELb0ELb1ELb1EPKS1_S2_S1_Ev17rocblas_diagonal_iiT6_lPT7_lllS7_lllPT8_llli.uses_flat_scratch, 0
	.set _ZL30rocblas_trmm_outofplace_kernelI19rocblas_complex_numIfELi32ELi2ELb0ELb0ELb1ELb1EPKS1_S2_S1_Ev17rocblas_diagonal_iiT6_lPT7_lllS7_lllPT8_llli.has_dyn_sized_stack, 0
	.set _ZL30rocblas_trmm_outofplace_kernelI19rocblas_complex_numIfELi32ELi2ELb0ELb0ELb1ELb1EPKS1_S2_S1_Ev17rocblas_diagonal_iiT6_lPT7_lllS7_lllPT8_llli.has_recursion, 0
	.set _ZL30rocblas_trmm_outofplace_kernelI19rocblas_complex_numIfELi32ELi2ELb0ELb0ELb1ELb1EPKS1_S2_S1_Ev17rocblas_diagonal_iiT6_lPT7_lllS7_lllPT8_llli.has_indirect_call, 0
	.section	.AMDGPU.csdata,"",@progbits
; Kernel info:
; codeLenInByte = 6860
; TotalNumSgprs: 60
; NumVgprs: 64
; ScratchSize: 44
; MemoryBound: 0
; FloatMode: 240
; IeeeMode: 1
; LDSByteSize: 16384 bytes/workgroup (compile time only)
; SGPRBlocks: 8
; VGPRBlocks: 15
; NumSGPRsForWavesPerEU: 65
; NumVGPRsForWavesPerEU: 64
; Occupancy: 4
; WaveLimiterHint : 0
; COMPUTE_PGM_RSRC2:SCRATCH_EN: 1
; COMPUTE_PGM_RSRC2:USER_SGPR: 6
; COMPUTE_PGM_RSRC2:TRAP_HANDLER: 0
; COMPUTE_PGM_RSRC2:TGID_X_EN: 1
; COMPUTE_PGM_RSRC2:TGID_Y_EN: 1
; COMPUTE_PGM_RSRC2:TGID_Z_EN: 1
; COMPUTE_PGM_RSRC2:TIDIG_COMP_CNT: 1
	.section	.text._ZL30rocblas_trmm_outofplace_kernelI19rocblas_complex_numIfELi32ELi2ELb0ELb0ELb1ELb1ES1_KS1_S1_Ev17rocblas_diagonal_iiT6_lPT7_lllS6_lllPT8_llli,"axG",@progbits,_ZL30rocblas_trmm_outofplace_kernelI19rocblas_complex_numIfELi32ELi2ELb0ELb0ELb1ELb1ES1_KS1_S1_Ev17rocblas_diagonal_iiT6_lPT7_lllS6_lllPT8_llli,comdat
	.globl	_ZL30rocblas_trmm_outofplace_kernelI19rocblas_complex_numIfELi32ELi2ELb0ELb0ELb1ELb1ES1_KS1_S1_Ev17rocblas_diagonal_iiT6_lPT7_lllS6_lllPT8_llli ; -- Begin function _ZL30rocblas_trmm_outofplace_kernelI19rocblas_complex_numIfELi32ELi2ELb0ELb0ELb1ELb1ES1_KS1_S1_Ev17rocblas_diagonal_iiT6_lPT7_lllS6_lllPT8_llli
	.p2align	8
	.type	_ZL30rocblas_trmm_outofplace_kernelI19rocblas_complex_numIfELi32ELi2ELb0ELb0ELb1ELb1ES1_KS1_S1_Ev17rocblas_diagonal_iiT6_lPT7_lllS6_lllPT8_llli,@function
_ZL30rocblas_trmm_outofplace_kernelI19rocblas_complex_numIfELi32ELi2ELb0ELb0ELb1ELb1ES1_KS1_S1_Ev17rocblas_diagonal_iiT6_lPT7_lllS6_lllPT8_llli: ; @_ZL30rocblas_trmm_outofplace_kernelI19rocblas_complex_numIfELi32ELi2ELb0ELb0ELb1ELb1ES1_KS1_S1_Ev17rocblas_diagonal_iiT6_lPT7_lllS6_lllPT8_llli
; %bb.0:
	s_load_dwordx4 s[28:31], s[4:5], 0x0
	s_load_dword s33, s[4:5], 0x10
	s_mov_b64 s[54:55], s[2:3]
	s_mov_b64 s[52:53], s[0:1]
	s_add_u32 s52, s52, s9
	s_addc_u32 s53, s53, 0
	s_waitcnt lgkmcnt(0)
	s_or_b32 s0, s31, s33
	s_bitset0_b32 s0, 31
	s_cmp_eq_u32 s0, 0
	s_cbranch_scc1 .LBB93_63
; %bb.1:
	s_add_i32 s0, s30, -1
	s_ashr_i32 s1, s0, 31
	s_lshr_b32 s1, s1, 27
	s_add_i32 s0, s0, s1
	s_ashr_i32 s46, s0, 5
	s_cmp_gt_i32 s7, s46
	s_cbranch_scc1 .LBB93_63
; %bb.2:
	s_load_dwordx16 s[12:27], s[4:5], 0x20
	s_load_dwordx8 s[36:43], s[4:5], 0x60
	v_lshlrev_b32_e32 v55, 8, v1
	v_mov_b32_e32 v23, 0
	v_mov_b32_e32 v22, 1.0
	s_waitcnt lgkmcnt(0)
	s_mul_i32 s1, s19, s8
	s_mul_hi_u32 s2, s18, s8
	s_mul_i32 s0, s18, s8
	s_add_i32 s1, s2, s1
	s_lshl_b64 s[10:11], s[0:1], 3
	s_add_u32 s0, s12, s10
	s_addc_u32 s1, s13, s11
	s_lshl_b64 s[14:15], s[14:15], 3
	s_add_u32 s2, s0, s14
	s_addc_u32 s3, s1, s15
	s_mul_i32 s0, s27, s8
	s_mul_hi_u32 s1, s26, s8
	s_add_i32 s1, s1, s0
	s_mul_i32 s0, s26, s8
	s_lshl_b64 s[0:1], s[0:1], 3
	s_add_u32 s9, s20, s0
	s_addc_u32 s18, s21, s1
	s_lshl_b64 s[0:1], s[22:23], 3
	s_add_u32 s9, s9, s0
	s_addc_u32 s18, s18, s1
	s_mul_i32 s0, s43, s8
	s_mul_hi_u32 s1, s42, s8
	s_add_i32 s1, s1, s0
	s_mul_i32 s0, s42, s8
	s_lshl_b64 s[0:1], s[0:1], 3
	s_add_u32 s8, s36, s0
	s_addc_u32 s19, s37, s1
	v_mad_u64_u32 v[2:3], s[0:1], s16, v0, 0
	s_lshl_b64 s[0:1], s[38:39], 3
	s_add_u32 s47, s8, s0
	s_addc_u32 s48, s19, s1
	v_mad_u64_u32 v[3:4], s[0:1], s17, v0, v[3:4]
	v_lshl_add_u32 v4, s6, 5, v0
	v_ashrrev_i32_e32 v5, 31, v4
	v_lshlrev_b64 v[2:3], 3, v[2:3]
	v_mov_b32_e32 v6, s3
	v_add_co_u32_e32 v2, vcc, s2, v2
	v_addc_co_u32_e32 v3, vcc, v6, v3, vcc
	v_lshlrev_b64 v[35:36], 3, v[4:5]
	buffer_store_dword v2, off, s[52:55], 0 offset:8 ; 4-byte Folded Spill
	s_nop 0
	buffer_store_dword v3, off, s[52:55], 0 offset:12 ; 4-byte Folded Spill
	v_mov_b32_e32 v2, s18
	v_add_co_u32_e32 v6, vcc, s9, v35
	v_addc_co_u32_e32 v7, vcc, v2, v36, vcc
	buffer_store_dword v6, off, s[52:55], 0 offset:16 ; 4-byte Folded Spill
	s_nop 0
	buffer_store_dword v7, off, s[52:55], 0 offset:20 ; 4-byte Folded Spill
	s_load_dword s6, s[4:5], 0x8c
	s_cmpk_eq_i32 s28, 0x84
	s_cselect_b64 s[22:23], -1, 0
	s_ashr_i32 s27, s30, 31
	s_ashr_i32 s0, s29, 31
	s_lshl_b64 s[34:35], s[16:17], 8
	s_lshl_b64 s[36:37], s[24:25], 8
	s_add_u32 s38, s30, -16
	s_addc_u32 s39, s27, -1
	s_waitcnt lgkmcnt(0)
	s_lshl_b32 s49, s6, 5
	s_add_u32 s4, s12, s14
	v_mov_b32_e32 v3, s0
	v_sub_co_u32_e32 v2, vcc, s29, v4
	s_addc_u32 s5, s13, s15
	v_subb_co_u32_e32 v3, vcc, v3, v5, vcc
	s_add_u32 s4, s4, s10
	v_lshlrev_b32_e32 v6, 3, v0
	v_cmp_gt_i64_e32 vcc, 1, v[2:3]
	v_cmp_gt_i64_e64 s[0:1], 17, v[2:3]
	s_addc_u32 s5, s5, s11
	v_mov_b32_e32 v2, s4
	v_add_u32_e32 v5, 0x80, v6
	v_mov_b32_e32 v3, s5
	v_mad_u64_u32 v[7:8], s[4:5], s16, v5, v[2:3]
	v_cmp_gt_i32_e64 s[2:3], s29, v4
	v_add_u32_e32 v2, 16, v4
	v_mov_b32_e32 v4, v8
	v_mad_u64_u32 v[4:5], s[8:9], s17, v5, v[4:5]
	v_add_u32_e32 v56, v55, v6
	v_or_b32_e32 v57, 0x2000, v6
	v_mad_u64_u32 v[5:6], s[8:9], s24, v1, 0
	v_sub_co_u32_e64 v8, s[8:9], 0, v0
	buffer_store_dword v8, off, s[52:55], 0 offset:32 ; 4-byte Folded Spill
	v_subb_co_u32_e64 v8, s[8:9], 0, 0, s[8:9]
	buffer_store_dword v8, off, s[52:55], 0 offset:36 ; 4-byte Folded Spill
	v_mov_b32_e32 v8, v4
	buffer_store_dword v7, off, s[52:55], 0 offset:24 ; 4-byte Folded Spill
	s_nop 0
	buffer_store_dword v8, off, s[52:55], 0 offset:28 ; 4-byte Folded Spill
	v_mov_b32_e32 v4, v6
	v_mad_u64_u32 v[6:7], s[8:9], s25, v1, v[4:5]
	v_mov_b32_e32 v4, 0x80
	v_lshl_add_u32 v7, v1, 3, v4
	v_mad_u64_u32 v[32:33], s[8:9], s24, v7, 0
	v_lshlrev_b64 v[4:5], 3, v[5:6]
	v_ashrrev_i32_e32 v3, 31, v2
	v_mov_b32_e32 v6, v33
	v_mad_u64_u32 v[6:7], s[8:9], s25, v7, v[6:7]
	s_movk_i32 s10, 0x80
	v_cmp_gt_i32_e64 s[4:5], s29, v2
	v_add_co_u32_e64 v61, s[8:9], s10, v4
	v_lshlrev_b64 v[2:3], 3, v[2:3]
	s_mov_b32 s26, s30
	v_add_u32_e32 v58, v57, v55
	v_addc_co_u32_e64 v62, s[8:9], 0, v5, s[8:9]
	v_lshl_add_u32 v33, s7, 5, v1
	v_mov_b32_e32 v63, v6
	buffer_store_dword v2, off, s[52:55], 0 ; 4-byte Folded Spill
	s_nop 0
	buffer_store_dword v3, off, s[52:55], 0 offset:4 ; 4-byte Folded Spill
	s_branch .LBB93_4
.LBB93_3:                               ;   in Loop: Header=BB93_4 Depth=1
	s_or_b64 exec, exec, s[10:11]
	s_add_i32 s7, s6, s7
	s_cmp_le_i32 s7, s46
	v_add_u32_e32 v33, s49, v33
	s_cbranch_scc0 .LBB93_63
.LBB93_4:                               ; =>This Loop Header: Depth=1
                                        ;     Child Loop BB93_7 Depth 2
	s_lshl_b32 s50, s7, 5
	v_add_u32_e32 v37, s50, v1
	v_ashrrev_i32_e32 v38, 31, v37
	s_cmp_lt_i32 s7, 0
	v_mov_b32_e32 v20, v23
	v_mov_b32_e32 v21, v23
	v_mov_b32_e32 v18, v23
	v_mov_b32_e32 v19, v23
	v_mov_b32_e32 v16, v23
	v_mov_b32_e32 v17, v23
	v_mov_b32_e32 v15, v23
	v_mov_b32_e32 v14, v23
	s_cbranch_scc1 .LBB93_55
; %bb.5:                                ;   in Loop: Header=BB93_4 Depth=1
	buffer_load_dword v2, off, s[52:55], 0 offset:32 ; 4-byte Folded Reload
	v_ashrrev_i32_e32 v34, 31, v33
	v_lshlrev_b64 v[41:42], 3, v[33:34]
	v_cmp_le_i32_e64 s[16:17], s30, v37
	v_mov_b32_e32 v14, 0
	s_mov_b64 s[24:25], 0
	v_mov_b32_e32 v15, 0
	v_mov_b32_e32 v17, 0
	;; [unrolled: 1-line block ×7, first 2 shown]
	s_waitcnt vmcnt(0)
	v_add_co_u32_e64 v39, s[8:9], v2, v33
	buffer_load_dword v2, off, s[52:55], 0 offset:36 ; 4-byte Folded Reload
	buffer_load_dword v49, off, s[52:55], 0 offset:16 ; 4-byte Folded Reload
	;; [unrolled: 1-line block ×7, first 2 shown]
	v_add_co_u32_e64 v45, s[10:11], 16, v39
	s_waitcnt vmcnt(6)
	v_addc_co_u32_e64 v40, s[8:9], v2, v34, s[8:9]
	v_add_co_u32_e64 v43, s[8:9], 16, v37
	v_addc_co_u32_e64 v44, s[8:9], 0, v38, s[8:9]
	v_addc_co_u32_e64 v46, s[10:11], 0, v40, s[10:11]
	v_cmp_le_i64_e64 s[8:9], s[26:27], v[43:44]
	v_add_co_u32_e64 v47, s[10:11], -16, v39
	v_addc_co_u32_e64 v48, s[10:11], -1, v40, s[10:11]
	s_branch .LBB93_7
.LBB93_6:                               ;   in Loop: Header=BB93_7 Depth=2
	s_or_b64 exec, exec, s[10:11]
	s_waitcnt vmcnt(0) lgkmcnt(0)
	s_barrier
	ds_read_b128 v[28:31], v55
	ds_read_b128 v[10:13], v55 offset:16
	ds_read_b128 v[6:9], v55 offset:32
	;; [unrolled: 1-line block ×3, first 2 shown]
	ds_read2_b64 v[24:27], v57 offset1:16
	v_add_co_u32_e64 v53, s[10:11], s34, v53
	s_add_u32 s24, s24, 32
	s_addc_u32 s25, s25, 0
	s_waitcnt lgkmcnt(0)
	v_mul_f32_e32 v34, v29, v25
	v_mul_f32_e32 v59, v28, v25
	v_fma_f32 v34, v28, v24, -v34
	v_fmac_f32_e32 v59, v29, v24
	v_add_f32_e32 v34, v20, v34
	v_add_f32_e32 v59, v21, v59
	v_mul_f32_e32 v20, v29, v27
	v_mul_f32_e32 v21, v28, v27
	v_fma_f32 v20, v28, v26, -v20
	v_fmac_f32_e32 v21, v29, v26
	v_add_f32_e32 v28, v18, v20
	v_add_f32_e32 v29, v19, v21
	ds_read_b128 v[18:21], v55 offset:4096
	s_sub_i32 s12, s24, 32
	s_cmp_ge_i32 s12, s50
	s_waitcnt lgkmcnt(0)
	v_mul_f32_e32 v60, v19, v25
	v_mul_f32_e32 v25, v18, v25
	v_fma_f32 v60, v18, v24, -v60
	v_fmac_f32_e32 v25, v19, v24
	v_add_f32_e32 v24, v16, v60
	v_add_f32_e32 v25, v17, v25
	v_mul_f32_e32 v16, v19, v27
	v_mul_f32_e32 v17, v18, v27
	v_fma_f32 v16, v18, v26, -v16
	v_fmac_f32_e32 v17, v19, v26
	v_add_f32_e32 v18, v15, v16
	v_add_f32_e32 v19, v14, v17
	ds_read2_b64 v[14:17], v57 offset0:32 offset1:48
	s_waitcnt lgkmcnt(0)
	v_mul_f32_e32 v26, v31, v15
	v_fma_f32 v26, v30, v14, -v26
	v_add_f32_e32 v26, v34, v26
	v_mul_f32_e32 v34, v31, v17
	v_mul_f32_e32 v27, v30, v15
	v_fma_f32 v34, v30, v16, -v34
	v_mul_f32_e32 v30, v30, v17
	v_fmac_f32_e32 v27, v31, v14
	v_fmac_f32_e32 v30, v31, v16
	v_add_f32_e32 v31, v28, v34
	v_mul_f32_e32 v28, v21, v15
	v_mul_f32_e32 v15, v20, v15
	v_fma_f32 v28, v20, v14, -v28
	v_fmac_f32_e32 v15, v21, v14
	v_add_f32_e32 v60, v24, v28
	v_add_f32_e32 v24, v25, v15
	v_mul_f32_e32 v14, v21, v17
	v_mul_f32_e32 v15, v20, v17
	v_fma_f32 v14, v20, v16, -v14
	v_fmac_f32_e32 v15, v21, v16
	v_add_f32_e32 v25, v18, v14
	v_add_f32_e32 v28, v19, v15
	ds_read2_b64 v[14:17], v57 offset0:64 offset1:80
	v_add_f32_e32 v27, v59, v27
	v_add_f32_e32 v29, v29, v30
	s_waitcnt lgkmcnt(0)
	v_mul_f32_e32 v18, v11, v15
	v_mul_f32_e32 v19, v10, v15
	v_fma_f32 v18, v10, v14, -v18
	v_fmac_f32_e32 v19, v11, v14
	v_add_f32_e32 v34, v26, v18
	v_add_f32_e32 v59, v27, v19
	v_mul_f32_e32 v18, v11, v17
	v_mul_f32_e32 v19, v10, v17
	v_fma_f32 v18, v10, v16, -v18
	v_fmac_f32_e32 v19, v11, v16
	v_add_f32_e32 v10, v31, v18
	v_add_f32_e32 v11, v29, v19
	ds_read_b128 v[18:21], v55 offset:4112
	s_waitcnt lgkmcnt(0)
	v_mul_f32_e32 v26, v19, v15
	v_mul_f32_e32 v15, v18, v15
	v_fmac_f32_e32 v15, v19, v14
	v_fma_f32 v26, v18, v14, -v26
	v_add_f32_e32 v24, v24, v15
	v_mul_f32_e32 v14, v19, v17
	v_mul_f32_e32 v15, v18, v17
	v_fma_f32 v14, v18, v16, -v14
	v_fmac_f32_e32 v15, v19, v16
	v_add_f32_e32 v18, v25, v14
	v_add_f32_e32 v19, v28, v15
	ds_read2_b64 v[14:17], v57 offset0:96 offset1:112
	v_add_f32_e32 v26, v60, v26
	s_waitcnt lgkmcnt(0)
	v_mul_f32_e32 v25, v13, v15
	v_mul_f32_e32 v28, v13, v17
	v_fma_f32 v25, v12, v14, -v25
	v_mul_f32_e32 v27, v12, v15
	v_fma_f32 v28, v12, v16, -v28
	v_mul_f32_e32 v12, v12, v17
	v_fmac_f32_e32 v12, v13, v16
	v_add_f32_e32 v28, v10, v28
	v_add_f32_e32 v29, v11, v12
	v_mul_f32_e32 v10, v21, v15
	v_mul_f32_e32 v11, v20, v15
	v_fma_f32 v10, v20, v14, -v10
	v_fmac_f32_e32 v11, v21, v14
	v_fmac_f32_e32 v27, v13, v14
	v_add_f32_e32 v14, v26, v10
	v_add_f32_e32 v15, v24, v11
	v_mul_f32_e32 v10, v21, v17
	v_mul_f32_e32 v11, v20, v17
	v_fma_f32 v10, v20, v16, -v10
	v_fmac_f32_e32 v11, v21, v16
	v_add_f32_e32 v20, v18, v10
	v_add_f32_e32 v21, v19, v11
	ds_read2_b64 v[10:13], v57 offset0:128 offset1:144
	v_add_f32_e32 v25, v34, v25
	v_add_f32_e32 v27, v59, v27
	s_waitcnt lgkmcnt(0)
	v_mul_f32_e32 v16, v7, v11
	v_fma_f32 v16, v6, v10, -v16
	v_mul_f32_e32 v17, v6, v11
	v_add_f32_e32 v24, v25, v16
	v_mul_f32_e32 v16, v7, v13
	v_fmac_f32_e32 v17, v7, v10
	v_fma_f32 v16, v6, v12, -v16
	v_mul_f32_e32 v6, v6, v13
	v_add_f32_e32 v25, v27, v17
	v_fmac_f32_e32 v6, v7, v12
	v_add_f32_e32 v7, v28, v16
	ds_read_b128 v[16:19], v55 offset:4128
	v_add_f32_e32 v6, v29, v6
	s_waitcnt lgkmcnt(0)
	v_mul_f32_e32 v26, v17, v11
	v_mul_f32_e32 v11, v16, v11
	v_fmac_f32_e32 v11, v17, v10
	v_fma_f32 v26, v16, v10, -v26
	v_add_f32_e32 v15, v15, v11
	v_mul_f32_e32 v10, v17, v13
	v_mul_f32_e32 v11, v16, v13
	v_fma_f32 v10, v16, v12, -v10
	v_fmac_f32_e32 v11, v17, v12
	v_add_f32_e32 v20, v20, v10
	v_add_f32_e32 v21, v21, v11
	ds_read2_b64 v[10:13], v57 offset0:160 offset1:176
	v_add_f32_e32 v14, v14, v26
	s_waitcnt lgkmcnt(0)
	v_mul_f32_e32 v16, v9, v11
	v_fma_f32 v16, v8, v10, -v16
	v_add_f32_e32 v24, v24, v16
	v_mul_f32_e32 v16, v9, v13
	v_mul_f32_e32 v17, v8, v11
	v_fma_f32 v16, v8, v12, -v16
	v_mul_f32_e32 v8, v8, v13
	v_fmac_f32_e32 v8, v9, v12
	v_add_f32_e32 v26, v7, v16
	v_add_f32_e32 v27, v6, v8
	v_mul_f32_e32 v6, v19, v11
	v_mul_f32_e32 v7, v18, v11
	v_fmac_f32_e32 v17, v9, v10
	v_fma_f32 v6, v18, v10, -v6
	v_fmac_f32_e32 v7, v19, v10
	v_add_f32_e32 v25, v25, v17
	v_add_f32_e32 v16, v14, v6
	;; [unrolled: 1-line block ×3, first 2 shown]
	v_mul_f32_e32 v6, v19, v13
	v_mul_f32_e32 v7, v18, v13
	v_fma_f32 v6, v18, v12, -v6
	v_fmac_f32_e32 v7, v19, v12
	v_add_f32_e32 v18, v20, v6
	v_add_f32_e32 v19, v21, v7
	ds_read2_b64 v[6:9], v57 offset0:192 offset1:208
	s_waitcnt lgkmcnt(0)
	v_mul_f32_e32 v10, v3, v7
	v_mul_f32_e32 v11, v2, v7
	v_fma_f32 v10, v2, v6, -v10
	v_fmac_f32_e32 v11, v3, v6
	v_add_f32_e32 v14, v24, v10
	v_add_f32_e32 v15, v25, v11
	v_mul_f32_e32 v10, v3, v9
	v_mul_f32_e32 v11, v2, v9
	v_fma_f32 v10, v2, v8, -v10
	v_fmac_f32_e32 v11, v3, v8
	v_add_f32_e32 v2, v26, v10
	v_add_f32_e32 v3, v27, v11
	ds_read_b128 v[10:13], v55 offset:4144
	s_waitcnt lgkmcnt(0)
	v_mul_f32_e32 v20, v11, v7
	v_mul_f32_e32 v7, v10, v7
	v_fmac_f32_e32 v7, v11, v6
	v_fma_f32 v20, v10, v6, -v20
	v_add_f32_e32 v17, v17, v7
	v_mul_f32_e32 v6, v11, v9
	v_mul_f32_e32 v7, v10, v9
	v_fma_f32 v6, v10, v8, -v6
	v_fmac_f32_e32 v7, v11, v8
	v_add_f32_e32 v10, v18, v6
	v_add_f32_e32 v11, v19, v7
	ds_read2_b64 v[6:9], v57 offset0:224 offset1:240
	v_add_f32_e32 v16, v16, v20
	s_waitcnt lgkmcnt(0)
	v_mul_f32_e32 v18, v5, v7
	v_fma_f32 v18, v4, v6, -v18
	v_add_f32_e32 v18, v14, v18
	v_mul_f32_e32 v14, v5, v9
	v_mul_f32_e32 v19, v4, v7
	v_fma_f32 v14, v4, v8, -v14
	v_mul_f32_e32 v4, v4, v9
	v_fmac_f32_e32 v19, v5, v6
	v_fmac_f32_e32 v4, v5, v8
	v_add_f32_e32 v15, v15, v19
	v_add_f32_e32 v19, v2, v14
	;; [unrolled: 1-line block ×3, first 2 shown]
	v_mul_f32_e32 v2, v13, v7
	v_mul_f32_e32 v3, v12, v7
	v_fma_f32 v2, v12, v6, -v2
	v_fmac_f32_e32 v3, v13, v6
	v_add_f32_e32 v21, v16, v2
	v_add_f32_e32 v24, v17, v3
	v_mul_f32_e32 v2, v13, v9
	v_mul_f32_e32 v3, v12, v9
	v_fma_f32 v2, v12, v8, -v2
	v_fmac_f32_e32 v3, v13, v8
	v_add_u32_e32 v14, 0x800, v57
	v_add_f32_e32 v10, v10, v2
	v_add_f32_e32 v11, v11, v3
	ds_read_b128 v[2:5], v55 offset:64
	ds_read2_b64 v[6:9], v14 offset1:16
	s_waitcnt lgkmcnt(0)
	v_mul_f32_e32 v13, v2, v7
	v_fmac_f32_e32 v13, v3, v6
	v_mul_f32_e32 v12, v3, v7
	v_add_f32_e32 v13, v15, v13
	v_mul_f32_e32 v15, v3, v9
	v_fma_f32 v12, v2, v6, -v12
	v_fma_f32 v15, v2, v8, -v15
	v_mul_f32_e32 v2, v2, v9
	v_add_f32_e32 v12, v18, v12
	v_fmac_f32_e32 v2, v3, v8
	v_add_f32_e32 v3, v19, v15
	ds_read_b128 v[15:18], v55 offset:4160
	v_add_f32_e32 v2, v20, v2
	s_waitcnt lgkmcnt(0)
	v_mul_f32_e32 v19, v16, v7
	v_mul_f32_e32 v7, v15, v7
	v_fmac_f32_e32 v7, v16, v6
	v_fma_f32 v19, v15, v6, -v19
	v_add_f32_e32 v20, v24, v7
	v_mul_f32_e32 v6, v16, v9
	v_mul_f32_e32 v7, v15, v9
	v_fma_f32 v6, v15, v8, -v6
	v_fmac_f32_e32 v7, v16, v8
	v_add_f32_e32 v19, v21, v19
	v_add_f32_e32 v21, v10, v6
	;; [unrolled: 1-line block ×3, first 2 shown]
	ds_read2_b64 v[6:9], v14 offset0:32 offset1:48
	s_waitcnt lgkmcnt(0)
	v_mul_f32_e32 v10, v5, v7
	v_fma_f32 v10, v4, v6, -v10
	v_add_f32_e32 v10, v12, v10
	v_mul_f32_e32 v12, v5, v9
	v_mul_f32_e32 v11, v4, v7
	v_fma_f32 v12, v4, v8, -v12
	v_mul_f32_e32 v4, v4, v9
	v_fmac_f32_e32 v11, v5, v6
	v_fmac_f32_e32 v4, v5, v8
	v_add_f32_e32 v11, v13, v11
	v_add_f32_e32 v12, v3, v12
	;; [unrolled: 1-line block ×3, first 2 shown]
	v_mul_f32_e32 v2, v18, v7
	v_mul_f32_e32 v3, v17, v7
	v_fma_f32 v2, v17, v6, -v2
	v_fmac_f32_e32 v3, v18, v6
	v_add_f32_e32 v15, v19, v2
	v_add_f32_e32 v16, v20, v3
	v_mul_f32_e32 v2, v18, v9
	v_mul_f32_e32 v3, v17, v9
	v_fma_f32 v2, v17, v8, -v2
	v_fmac_f32_e32 v3, v18, v8
	v_add_f32_e32 v17, v21, v2
	v_add_f32_e32 v18, v24, v3
	ds_read_b128 v[2:5], v55 offset:80
	ds_read2_b64 v[6:9], v14 offset0:64 offset1:80
	s_waitcnt lgkmcnt(0)
	v_mul_f32_e32 v19, v3, v7
	v_mul_f32_e32 v20, v2, v7
	v_fma_f32 v19, v2, v6, -v19
	v_fmac_f32_e32 v20, v3, v6
	v_add_f32_e32 v19, v10, v19
	v_add_f32_e32 v20, v11, v20
	v_mul_f32_e32 v10, v3, v9
	v_mul_f32_e32 v11, v2, v9
	v_fma_f32 v10, v2, v8, -v10
	v_fmac_f32_e32 v11, v3, v8
	v_add_f32_e32 v2, v12, v10
	v_add_f32_e32 v3, v13, v11
	ds_read_b128 v[10:13], v55 offset:4176
	s_waitcnt lgkmcnt(0)
	v_mul_f32_e32 v21, v11, v7
	v_mul_f32_e32 v7, v10, v7
	v_fmac_f32_e32 v7, v11, v6
	v_fma_f32 v21, v10, v6, -v21
	v_add_f32_e32 v16, v16, v7
	v_mul_f32_e32 v6, v11, v9
	v_mul_f32_e32 v7, v10, v9
	v_fma_f32 v6, v10, v8, -v6
	v_fmac_f32_e32 v7, v11, v8
	v_add_f32_e32 v10, v17, v6
	v_add_f32_e32 v11, v18, v7
	ds_read2_b64 v[6:9], v14 offset0:96 offset1:112
	v_add_f32_e32 v15, v15, v21
	s_waitcnt lgkmcnt(0)
	v_mul_f32_e32 v17, v5, v7
	v_fma_f32 v17, v4, v6, -v17
	v_add_f32_e32 v17, v19, v17
	v_mul_f32_e32 v19, v5, v9
	v_mul_f32_e32 v18, v4, v7
	v_fma_f32 v19, v4, v8, -v19
	v_mul_f32_e32 v4, v4, v9
	v_fmac_f32_e32 v18, v5, v6
	v_fmac_f32_e32 v4, v5, v8
	v_add_f32_e32 v18, v20, v18
	v_add_f32_e32 v19, v2, v19
	;; [unrolled: 1-line block ×3, first 2 shown]
	v_mul_f32_e32 v2, v13, v7
	v_mul_f32_e32 v3, v12, v7
	v_fma_f32 v2, v12, v6, -v2
	v_fmac_f32_e32 v3, v13, v6
	v_add_f32_e32 v21, v15, v2
	v_add_f32_e32 v24, v16, v3
	v_mul_f32_e32 v2, v13, v9
	v_mul_f32_e32 v3, v12, v9
	v_fma_f32 v2, v12, v8, -v2
	v_fmac_f32_e32 v3, v13, v8
	v_add_f32_e32 v10, v10, v2
	v_add_f32_e32 v11, v11, v3
	ds_read_b128 v[2:5], v55 offset:96
	ds_read2_b64 v[6:9], v14 offset0:128 offset1:144
	s_waitcnt lgkmcnt(0)
	v_mul_f32_e32 v12, v3, v7
	v_mul_f32_e32 v13, v2, v7
	;; [unrolled: 1-line block ×3, first 2 shown]
	v_fma_f32 v12, v2, v6, -v12
	v_fmac_f32_e32 v13, v3, v6
	v_fma_f32 v15, v2, v8, -v15
	v_mul_f32_e32 v2, v2, v9
	v_add_f32_e32 v12, v17, v12
	v_add_f32_e32 v13, v18, v13
	v_fmac_f32_e32 v2, v3, v8
	v_add_f32_e32 v3, v19, v15
	ds_read_b128 v[15:18], v55 offset:4192
	v_add_f32_e32 v2, v20, v2
	s_waitcnt lgkmcnt(0)
	v_mul_f32_e32 v19, v16, v7
	v_mul_f32_e32 v7, v15, v7
	v_fmac_f32_e32 v7, v16, v6
	v_fma_f32 v19, v15, v6, -v19
	v_add_f32_e32 v20, v24, v7
	v_mul_f32_e32 v6, v16, v9
	v_mul_f32_e32 v7, v15, v9
	v_fma_f32 v6, v15, v8, -v6
	v_fmac_f32_e32 v7, v16, v8
	v_add_f32_e32 v19, v21, v19
	v_add_f32_e32 v21, v10, v6
	;; [unrolled: 1-line block ×3, first 2 shown]
	ds_read2_b64 v[6:9], v14 offset0:160 offset1:176
	s_waitcnt lgkmcnt(0)
	v_mul_f32_e32 v10, v5, v7
	v_fma_f32 v10, v4, v6, -v10
	v_add_f32_e32 v10, v12, v10
	v_mul_f32_e32 v12, v5, v9
	v_mul_f32_e32 v11, v4, v7
	v_fma_f32 v12, v4, v8, -v12
	v_mul_f32_e32 v4, v4, v9
	v_fmac_f32_e32 v11, v5, v6
	v_fmac_f32_e32 v4, v5, v8
	v_add_f32_e32 v11, v13, v11
	v_add_f32_e32 v12, v3, v12
	;; [unrolled: 1-line block ×3, first 2 shown]
	v_mul_f32_e32 v2, v18, v7
	v_mul_f32_e32 v3, v17, v7
	v_fma_f32 v2, v17, v6, -v2
	v_fmac_f32_e32 v3, v18, v6
	v_add_f32_e32 v15, v19, v2
	v_add_f32_e32 v16, v20, v3
	v_mul_f32_e32 v2, v18, v9
	v_mul_f32_e32 v3, v17, v9
	v_fma_f32 v2, v17, v8, -v2
	v_fmac_f32_e32 v3, v18, v8
	v_add_f32_e32 v17, v21, v2
	v_add_f32_e32 v18, v24, v3
	ds_read_b128 v[2:5], v55 offset:112
	ds_read2_b64 v[6:9], v14 offset0:192 offset1:208
	s_waitcnt lgkmcnt(0)
	v_mul_f32_e32 v19, v3, v7
	v_mul_f32_e32 v20, v2, v7
	v_fma_f32 v19, v2, v6, -v19
	v_fmac_f32_e32 v20, v3, v6
	v_add_f32_e32 v19, v10, v19
	v_add_f32_e32 v20, v11, v20
	v_mul_f32_e32 v10, v3, v9
	v_mul_f32_e32 v11, v2, v9
	v_fma_f32 v10, v2, v8, -v10
	v_fmac_f32_e32 v11, v3, v8
	v_add_f32_e32 v2, v12, v10
	v_add_f32_e32 v3, v13, v11
	ds_read_b128 v[10:13], v55 offset:4208
	s_waitcnt lgkmcnt(0)
	v_mul_f32_e32 v21, v11, v7
	v_mul_f32_e32 v7, v10, v7
	v_fmac_f32_e32 v7, v11, v6
	v_fma_f32 v21, v10, v6, -v21
	v_add_f32_e32 v16, v16, v7
	v_mul_f32_e32 v6, v11, v9
	v_mul_f32_e32 v7, v10, v9
	v_fma_f32 v6, v10, v8, -v6
	v_fmac_f32_e32 v7, v11, v8
	v_add_f32_e32 v10, v17, v6
	v_add_f32_e32 v11, v18, v7
	ds_read2_b64 v[6:9], v14 offset0:224 offset1:240
	v_add_f32_e32 v15, v15, v21
	s_waitcnt lgkmcnt(0)
	v_mul_f32_e32 v14, v5, v7
	v_fma_f32 v14, v4, v6, -v14
	v_add_f32_e32 v18, v19, v14
	v_mul_f32_e32 v14, v5, v9
	v_mul_f32_e32 v17, v4, v7
	v_fma_f32 v14, v4, v8, -v14
	v_mul_f32_e32 v4, v4, v9
	v_fmac_f32_e32 v17, v5, v6
	v_fmac_f32_e32 v4, v5, v8
	v_add_f32_e32 v17, v20, v17
	v_add_f32_e32 v19, v2, v14
	;; [unrolled: 1-line block ×3, first 2 shown]
	v_mul_f32_e32 v2, v13, v7
	v_mul_f32_e32 v3, v12, v7
	v_fma_f32 v2, v12, v6, -v2
	v_fmac_f32_e32 v3, v13, v6
	v_add_f32_e32 v21, v15, v2
	v_add_f32_e32 v24, v16, v3
	v_mul_f32_e32 v2, v13, v9
	v_mul_f32_e32 v3, v12, v9
	v_fma_f32 v2, v12, v8, -v2
	v_fmac_f32_e32 v3, v13, v8
	v_add_u32_e32 v14, 0x1000, v57
	v_add_f32_e32 v10, v10, v2
	v_add_f32_e32 v11, v11, v3
	ds_read_b128 v[2:5], v55 offset:128
	ds_read2_b64 v[6:9], v14 offset1:16
	s_waitcnt lgkmcnt(0)
	v_mul_f32_e32 v12, v3, v7
	v_mul_f32_e32 v13, v2, v7
	;; [unrolled: 1-line block ×3, first 2 shown]
	v_fma_f32 v12, v2, v6, -v12
	v_fmac_f32_e32 v13, v3, v6
	v_fma_f32 v15, v2, v8, -v15
	v_mul_f32_e32 v2, v2, v9
	v_add_f32_e32 v12, v18, v12
	v_add_f32_e32 v13, v17, v13
	v_fmac_f32_e32 v2, v3, v8
	v_add_f32_e32 v3, v19, v15
	ds_read_b128 v[15:18], v55 offset:4224
	v_add_f32_e32 v2, v20, v2
	s_waitcnt lgkmcnt(0)
	v_mul_f32_e32 v19, v16, v7
	v_mul_f32_e32 v7, v15, v7
	v_fmac_f32_e32 v7, v16, v6
	v_fma_f32 v19, v15, v6, -v19
	v_add_f32_e32 v20, v24, v7
	v_mul_f32_e32 v6, v16, v9
	v_mul_f32_e32 v7, v15, v9
	v_fma_f32 v6, v15, v8, -v6
	v_fmac_f32_e32 v7, v16, v8
	v_add_f32_e32 v19, v21, v19
	v_add_f32_e32 v21, v10, v6
	;; [unrolled: 1-line block ×3, first 2 shown]
	ds_read2_b64 v[6:9], v14 offset0:32 offset1:48
	s_waitcnt lgkmcnt(0)
	v_mul_f32_e32 v10, v5, v7
	v_fma_f32 v10, v4, v6, -v10
	v_add_f32_e32 v10, v12, v10
	v_mul_f32_e32 v12, v5, v9
	v_mul_f32_e32 v11, v4, v7
	v_fma_f32 v12, v4, v8, -v12
	v_mul_f32_e32 v4, v4, v9
	v_fmac_f32_e32 v11, v5, v6
	v_fmac_f32_e32 v4, v5, v8
	v_add_f32_e32 v11, v13, v11
	v_add_f32_e32 v12, v3, v12
	;; [unrolled: 1-line block ×3, first 2 shown]
	v_mul_f32_e32 v2, v18, v7
	v_mul_f32_e32 v3, v17, v7
	v_fma_f32 v2, v17, v6, -v2
	v_fmac_f32_e32 v3, v18, v6
	v_add_f32_e32 v15, v19, v2
	v_add_f32_e32 v16, v20, v3
	v_mul_f32_e32 v2, v18, v9
	v_mul_f32_e32 v3, v17, v9
	v_fma_f32 v2, v17, v8, -v2
	v_fmac_f32_e32 v3, v18, v8
	v_add_f32_e32 v17, v21, v2
	v_add_f32_e32 v18, v24, v3
	ds_read_b128 v[2:5], v55 offset:144
	ds_read2_b64 v[6:9], v14 offset0:64 offset1:80
	s_waitcnt lgkmcnt(0)
	v_mul_f32_e32 v19, v3, v7
	v_mul_f32_e32 v20, v2, v7
	v_fma_f32 v19, v2, v6, -v19
	v_fmac_f32_e32 v20, v3, v6
	v_add_f32_e32 v19, v10, v19
	v_add_f32_e32 v20, v11, v20
	v_mul_f32_e32 v10, v3, v9
	v_mul_f32_e32 v11, v2, v9
	v_fma_f32 v10, v2, v8, -v10
	v_fmac_f32_e32 v11, v3, v8
	v_add_f32_e32 v2, v12, v10
	v_add_f32_e32 v3, v13, v11
	ds_read_b128 v[10:13], v55 offset:4240
	s_waitcnt lgkmcnt(0)
	v_mul_f32_e32 v21, v11, v7
	v_mul_f32_e32 v7, v10, v7
	v_fmac_f32_e32 v7, v11, v6
	v_fma_f32 v21, v10, v6, -v21
	v_add_f32_e32 v16, v16, v7
	v_mul_f32_e32 v6, v11, v9
	v_mul_f32_e32 v7, v10, v9
	v_fma_f32 v6, v10, v8, -v6
	v_fmac_f32_e32 v7, v11, v8
	v_add_f32_e32 v10, v17, v6
	v_add_f32_e32 v11, v18, v7
	ds_read2_b64 v[6:9], v14 offset0:96 offset1:112
	v_add_f32_e32 v15, v15, v21
	s_waitcnt lgkmcnt(0)
	v_mul_f32_e32 v17, v5, v7
	v_fma_f32 v17, v4, v6, -v17
	v_add_f32_e32 v17, v19, v17
	v_mul_f32_e32 v19, v5, v9
	v_mul_f32_e32 v18, v4, v7
	v_fma_f32 v19, v4, v8, -v19
	v_mul_f32_e32 v4, v4, v9
	v_fmac_f32_e32 v18, v5, v6
	v_fmac_f32_e32 v4, v5, v8
	v_add_f32_e32 v18, v20, v18
	v_add_f32_e32 v19, v2, v19
	;; [unrolled: 1-line block ×3, first 2 shown]
	v_mul_f32_e32 v2, v13, v7
	v_mul_f32_e32 v3, v12, v7
	v_fma_f32 v2, v12, v6, -v2
	v_fmac_f32_e32 v3, v13, v6
	v_add_f32_e32 v21, v15, v2
	v_add_f32_e32 v24, v16, v3
	v_mul_f32_e32 v2, v13, v9
	v_mul_f32_e32 v3, v12, v9
	v_fma_f32 v2, v12, v8, -v2
	v_fmac_f32_e32 v3, v13, v8
	v_add_f32_e32 v10, v10, v2
	v_add_f32_e32 v11, v11, v3
	ds_read_b128 v[2:5], v55 offset:160
	ds_read2_b64 v[6:9], v14 offset0:128 offset1:144
	s_waitcnt lgkmcnt(0)
	v_mul_f32_e32 v12, v3, v7
	v_mul_f32_e32 v13, v2, v7
	;; [unrolled: 1-line block ×3, first 2 shown]
	v_fma_f32 v12, v2, v6, -v12
	v_fmac_f32_e32 v13, v3, v6
	v_fma_f32 v15, v2, v8, -v15
	v_mul_f32_e32 v2, v2, v9
	v_add_f32_e32 v12, v17, v12
	v_add_f32_e32 v13, v18, v13
	v_fmac_f32_e32 v2, v3, v8
	v_add_f32_e32 v3, v19, v15
	ds_read_b128 v[15:18], v55 offset:4256
	v_add_f32_e32 v2, v20, v2
	s_waitcnt lgkmcnt(0)
	v_mul_f32_e32 v19, v16, v7
	v_mul_f32_e32 v7, v15, v7
	v_fmac_f32_e32 v7, v16, v6
	v_fma_f32 v19, v15, v6, -v19
	v_add_f32_e32 v20, v24, v7
	v_mul_f32_e32 v6, v16, v9
	v_mul_f32_e32 v7, v15, v9
	v_fma_f32 v6, v15, v8, -v6
	v_fmac_f32_e32 v7, v16, v8
	v_add_f32_e32 v19, v21, v19
	v_add_f32_e32 v21, v10, v6
	;; [unrolled: 1-line block ×3, first 2 shown]
	ds_read2_b64 v[6:9], v14 offset0:160 offset1:176
	s_waitcnt lgkmcnt(0)
	v_mul_f32_e32 v10, v5, v7
	v_fma_f32 v10, v4, v6, -v10
	v_add_f32_e32 v10, v12, v10
	v_mul_f32_e32 v12, v5, v9
	v_mul_f32_e32 v11, v4, v7
	v_fma_f32 v12, v4, v8, -v12
	v_mul_f32_e32 v4, v4, v9
	v_fmac_f32_e32 v11, v5, v6
	v_fmac_f32_e32 v4, v5, v8
	v_add_f32_e32 v11, v13, v11
	v_add_f32_e32 v12, v3, v12
	;; [unrolled: 1-line block ×3, first 2 shown]
	v_mul_f32_e32 v2, v18, v7
	v_mul_f32_e32 v3, v17, v7
	v_fma_f32 v2, v17, v6, -v2
	v_fmac_f32_e32 v3, v18, v6
	v_add_f32_e32 v15, v19, v2
	v_add_f32_e32 v16, v20, v3
	v_mul_f32_e32 v2, v18, v9
	v_mul_f32_e32 v3, v17, v9
	v_fma_f32 v2, v17, v8, -v2
	v_fmac_f32_e32 v3, v18, v8
	v_add_f32_e32 v17, v21, v2
	v_add_f32_e32 v18, v24, v3
	ds_read_b128 v[2:5], v55 offset:176
	ds_read2_b64 v[6:9], v14 offset0:192 offset1:208
	s_waitcnt lgkmcnt(0)
	v_mul_f32_e32 v19, v3, v7
	v_mul_f32_e32 v20, v2, v7
	v_fma_f32 v19, v2, v6, -v19
	v_fmac_f32_e32 v20, v3, v6
	v_add_f32_e32 v19, v10, v19
	v_add_f32_e32 v20, v11, v20
	v_mul_f32_e32 v10, v3, v9
	v_mul_f32_e32 v11, v2, v9
	v_fma_f32 v10, v2, v8, -v10
	v_fmac_f32_e32 v11, v3, v8
	v_add_f32_e32 v2, v12, v10
	v_add_f32_e32 v3, v13, v11
	ds_read_b128 v[10:13], v55 offset:4272
	s_waitcnt lgkmcnt(0)
	v_mul_f32_e32 v21, v11, v7
	v_mul_f32_e32 v7, v10, v7
	v_fmac_f32_e32 v7, v11, v6
	v_fma_f32 v21, v10, v6, -v21
	v_add_f32_e32 v16, v16, v7
	v_mul_f32_e32 v6, v11, v9
	v_mul_f32_e32 v7, v10, v9
	v_fma_f32 v6, v10, v8, -v6
	v_fmac_f32_e32 v7, v11, v8
	v_add_f32_e32 v10, v17, v6
	v_add_f32_e32 v11, v18, v7
	ds_read2_b64 v[6:9], v14 offset0:224 offset1:240
	v_add_f32_e32 v15, v15, v21
	s_waitcnt lgkmcnt(0)
	v_mul_f32_e32 v14, v5, v7
	v_fma_f32 v14, v4, v6, -v14
	v_add_f32_e32 v18, v19, v14
	v_mul_f32_e32 v14, v5, v9
	v_mul_f32_e32 v17, v4, v7
	v_fma_f32 v14, v4, v8, -v14
	v_mul_f32_e32 v4, v4, v9
	v_fmac_f32_e32 v17, v5, v6
	v_fmac_f32_e32 v4, v5, v8
	v_add_f32_e32 v17, v20, v17
	v_add_f32_e32 v19, v2, v14
	;; [unrolled: 1-line block ×3, first 2 shown]
	v_mul_f32_e32 v2, v13, v7
	v_mul_f32_e32 v3, v12, v7
	v_fma_f32 v2, v12, v6, -v2
	v_fmac_f32_e32 v3, v13, v6
	v_add_f32_e32 v21, v15, v2
	v_add_f32_e32 v24, v16, v3
	v_mul_f32_e32 v2, v13, v9
	v_mul_f32_e32 v3, v12, v9
	v_fma_f32 v2, v12, v8, -v2
	v_fmac_f32_e32 v3, v13, v8
	v_add_u32_e32 v14, 0x1800, v57
	v_add_f32_e32 v10, v10, v2
	v_add_f32_e32 v11, v11, v3
	ds_read_b128 v[2:5], v55 offset:192
	ds_read2_b64 v[6:9], v14 offset1:16
	s_waitcnt lgkmcnt(0)
	v_mul_f32_e32 v12, v3, v7
	v_mul_f32_e32 v13, v2, v7
	;; [unrolled: 1-line block ×3, first 2 shown]
	v_fma_f32 v12, v2, v6, -v12
	v_fmac_f32_e32 v13, v3, v6
	v_fma_f32 v15, v2, v8, -v15
	v_mul_f32_e32 v2, v2, v9
	v_add_f32_e32 v12, v18, v12
	v_add_f32_e32 v13, v17, v13
	v_fmac_f32_e32 v2, v3, v8
	v_add_f32_e32 v3, v19, v15
	ds_read_b128 v[15:18], v55 offset:4288
	v_add_f32_e32 v2, v20, v2
	s_waitcnt lgkmcnt(0)
	v_mul_f32_e32 v19, v16, v7
	v_mul_f32_e32 v7, v15, v7
	v_fmac_f32_e32 v7, v16, v6
	v_fma_f32 v19, v15, v6, -v19
	v_add_f32_e32 v20, v24, v7
	v_mul_f32_e32 v6, v16, v9
	v_mul_f32_e32 v7, v15, v9
	v_fma_f32 v6, v15, v8, -v6
	v_fmac_f32_e32 v7, v16, v8
	v_add_f32_e32 v19, v21, v19
	v_add_f32_e32 v21, v10, v6
	;; [unrolled: 1-line block ×3, first 2 shown]
	ds_read2_b64 v[6:9], v14 offset0:32 offset1:48
	s_waitcnt lgkmcnt(0)
	v_mul_f32_e32 v10, v5, v7
	v_fma_f32 v10, v4, v6, -v10
	v_add_f32_e32 v10, v12, v10
	v_mul_f32_e32 v12, v5, v9
	v_mul_f32_e32 v11, v4, v7
	v_fma_f32 v12, v4, v8, -v12
	v_mul_f32_e32 v4, v4, v9
	v_fmac_f32_e32 v11, v5, v6
	v_fmac_f32_e32 v4, v5, v8
	v_add_f32_e32 v11, v13, v11
	v_add_f32_e32 v12, v3, v12
	;; [unrolled: 1-line block ×3, first 2 shown]
	v_mul_f32_e32 v2, v18, v7
	v_mul_f32_e32 v3, v17, v7
	v_fma_f32 v2, v17, v6, -v2
	v_fmac_f32_e32 v3, v18, v6
	v_add_f32_e32 v15, v19, v2
	v_add_f32_e32 v16, v20, v3
	v_mul_f32_e32 v2, v18, v9
	v_mul_f32_e32 v3, v17, v9
	v_fma_f32 v2, v17, v8, -v2
	v_fmac_f32_e32 v3, v18, v8
	v_add_f32_e32 v17, v21, v2
	v_add_f32_e32 v18, v24, v3
	ds_read_b128 v[2:5], v55 offset:208
	ds_read2_b64 v[6:9], v14 offset0:64 offset1:80
	s_waitcnt lgkmcnt(0)
	v_mul_f32_e32 v19, v3, v7
	v_mul_f32_e32 v20, v2, v7
	v_fma_f32 v19, v2, v6, -v19
	v_fmac_f32_e32 v20, v3, v6
	v_add_f32_e32 v19, v10, v19
	v_add_f32_e32 v20, v11, v20
	v_mul_f32_e32 v10, v3, v9
	v_mul_f32_e32 v11, v2, v9
	v_fma_f32 v10, v2, v8, -v10
	v_fmac_f32_e32 v11, v3, v8
	v_add_f32_e32 v2, v12, v10
	v_add_f32_e32 v3, v13, v11
	ds_read_b128 v[10:13], v55 offset:4304
	s_waitcnt lgkmcnt(0)
	v_mul_f32_e32 v21, v11, v7
	v_mul_f32_e32 v7, v10, v7
	v_fmac_f32_e32 v7, v11, v6
	v_fma_f32 v21, v10, v6, -v21
	v_add_f32_e32 v16, v16, v7
	v_mul_f32_e32 v6, v11, v9
	v_mul_f32_e32 v7, v10, v9
	v_fma_f32 v6, v10, v8, -v6
	v_fmac_f32_e32 v7, v11, v8
	v_add_f32_e32 v10, v17, v6
	v_add_f32_e32 v11, v18, v7
	ds_read2_b64 v[6:9], v14 offset0:96 offset1:112
	v_add_f32_e32 v15, v15, v21
	s_waitcnt lgkmcnt(0)
	v_mul_f32_e32 v17, v5, v7
	v_fma_f32 v17, v4, v6, -v17
	v_add_f32_e32 v17, v19, v17
	v_mul_f32_e32 v19, v5, v9
	v_mul_f32_e32 v18, v4, v7
	v_fma_f32 v19, v4, v8, -v19
	v_mul_f32_e32 v4, v4, v9
	v_fmac_f32_e32 v18, v5, v6
	v_fmac_f32_e32 v4, v5, v8
	v_add_f32_e32 v18, v20, v18
	v_add_f32_e32 v19, v2, v19
	;; [unrolled: 1-line block ×3, first 2 shown]
	v_mul_f32_e32 v2, v13, v7
	v_mul_f32_e32 v3, v12, v7
	v_fma_f32 v2, v12, v6, -v2
	v_fmac_f32_e32 v3, v13, v6
	v_add_f32_e32 v21, v15, v2
	v_add_f32_e32 v24, v16, v3
	v_mul_f32_e32 v2, v13, v9
	v_mul_f32_e32 v3, v12, v9
	v_fma_f32 v2, v12, v8, -v2
	v_fmac_f32_e32 v3, v13, v8
	v_add_f32_e32 v10, v10, v2
	v_add_f32_e32 v11, v11, v3
	ds_read_b128 v[2:5], v55 offset:224
	ds_read2_b64 v[6:9], v14 offset0:128 offset1:144
	s_waitcnt lgkmcnt(0)
	v_mul_f32_e32 v12, v3, v7
	v_mul_f32_e32 v13, v2, v7
	;; [unrolled: 1-line block ×3, first 2 shown]
	v_fma_f32 v12, v2, v6, -v12
	v_fmac_f32_e32 v13, v3, v6
	v_fma_f32 v15, v2, v8, -v15
	v_mul_f32_e32 v2, v2, v9
	v_add_f32_e32 v12, v17, v12
	v_add_f32_e32 v13, v18, v13
	v_fmac_f32_e32 v2, v3, v8
	v_add_f32_e32 v3, v19, v15
	ds_read_b128 v[15:18], v55 offset:4320
	v_add_f32_e32 v2, v20, v2
	s_waitcnt lgkmcnt(0)
	v_mul_f32_e32 v19, v16, v7
	v_mul_f32_e32 v7, v15, v7
	v_fmac_f32_e32 v7, v16, v6
	v_fma_f32 v19, v15, v6, -v19
	v_add_f32_e32 v20, v24, v7
	v_mul_f32_e32 v6, v16, v9
	v_mul_f32_e32 v7, v15, v9
	v_fma_f32 v6, v15, v8, -v6
	v_fmac_f32_e32 v7, v16, v8
	v_add_f32_e32 v19, v21, v19
	v_add_f32_e32 v21, v10, v6
	;; [unrolled: 1-line block ×3, first 2 shown]
	ds_read2_b64 v[6:9], v14 offset0:160 offset1:176
	s_waitcnt lgkmcnt(0)
	v_mul_f32_e32 v10, v5, v7
	v_fma_f32 v10, v4, v6, -v10
	v_add_f32_e32 v10, v12, v10
	v_mul_f32_e32 v12, v5, v9
	v_mul_f32_e32 v11, v4, v7
	v_fma_f32 v12, v4, v8, -v12
	v_mul_f32_e32 v4, v4, v9
	v_fmac_f32_e32 v11, v5, v6
	v_fmac_f32_e32 v4, v5, v8
	v_add_f32_e32 v11, v13, v11
	v_add_f32_e32 v12, v3, v12
	;; [unrolled: 1-line block ×3, first 2 shown]
	v_mul_f32_e32 v2, v18, v7
	v_mul_f32_e32 v3, v17, v7
	v_fma_f32 v2, v17, v6, -v2
	v_fmac_f32_e32 v3, v18, v6
	v_add_f32_e32 v15, v19, v2
	v_add_f32_e32 v16, v20, v3
	v_mul_f32_e32 v2, v18, v9
	v_mul_f32_e32 v3, v17, v9
	v_fma_f32 v2, v17, v8, -v2
	v_fmac_f32_e32 v3, v18, v8
	v_add_f32_e32 v17, v21, v2
	v_add_f32_e32 v18, v24, v3
	ds_read_b128 v[2:5], v55 offset:240
	ds_read2_b64 v[6:9], v14 offset0:192 offset1:208
	s_waitcnt lgkmcnt(0)
	v_mul_f32_e32 v19, v3, v7
	v_mul_f32_e32 v20, v2, v7
	v_fma_f32 v19, v2, v6, -v19
	v_fmac_f32_e32 v20, v3, v6
	v_add_f32_e32 v19, v10, v19
	v_add_f32_e32 v21, v11, v20
	v_mul_f32_e32 v10, v3, v9
	v_mul_f32_e32 v11, v2, v9
	v_fma_f32 v10, v2, v8, -v10
	v_fmac_f32_e32 v11, v3, v8
	v_add_f32_e32 v2, v12, v10
	v_add_f32_e32 v3, v13, v11
	ds_read_b128 v[10:13], v55 offset:4336
	s_waitcnt lgkmcnt(0)
	v_mul_f32_e32 v20, v11, v7
	v_mul_f32_e32 v7, v10, v7
	v_fmac_f32_e32 v7, v11, v6
	v_fma_f32 v20, v10, v6, -v20
	v_add_f32_e32 v24, v16, v7
	v_mul_f32_e32 v6, v11, v9
	v_mul_f32_e32 v7, v10, v9
	v_fma_f32 v6, v10, v8, -v6
	v_fmac_f32_e32 v7, v11, v8
	v_add_f32_e32 v10, v17, v6
	v_add_f32_e32 v11, v18, v7
	ds_read2_b64 v[6:9], v14 offset0:224 offset1:240
	v_add_f32_e32 v15, v15, v20
	s_waitcnt lgkmcnt(0)
	s_barrier
	v_mul_f32_e32 v14, v5, v7
	v_fma_f32 v14, v4, v6, -v14
	v_add_f32_e32 v20, v19, v14
	v_mul_f32_e32 v14, v5, v9
	v_fma_f32 v14, v4, v8, -v14
	v_mul_f32_e32 v16, v4, v7
	v_add_f32_e32 v18, v2, v14
	v_mul_f32_e32 v2, v13, v7
	v_fmac_f32_e32 v16, v5, v6
	v_fma_f32 v2, v12, v6, -v2
	v_add_f32_e32 v21, v21, v16
	v_add_f32_e32 v16, v15, v2
	v_mul_f32_e32 v2, v13, v9
	v_mul_f32_e32 v4, v4, v9
	v_fma_f32 v2, v12, v8, -v2
	v_fmac_f32_e32 v4, v5, v8
	v_add_f32_e32 v15, v10, v2
	v_mov_b32_e32 v2, s35
	v_add_f32_e32 v19, v3, v4
	v_mul_f32_e32 v3, v12, v7
	v_addc_co_u32_e64 v54, s[10:11], v54, v2, s[10:11]
	v_fmac_f32_e32 v3, v13, v6
	v_add_co_u32_e64 v51, s[10:11], s34, v51
	v_add_f32_e32 v17, v24, v3
	v_mul_f32_e32 v3, v12, v9
	v_addc_co_u32_e64 v52, s[10:11], v52, v2, s[10:11]
	v_fmac_f32_e32 v3, v13, v8
	v_add_co_u32_e64 v49, s[10:11], s36, v49
	v_mov_b32_e32 v2, s37
	v_add_f32_e32 v14, v11, v3
	v_addc_co_u32_e64 v50, s[10:11], v50, v2, s[10:11]
	s_cbranch_scc1 .LBB93_55
.LBB93_7:                               ;   Parent Loop BB93_4 Depth=1
                                        ; =>  This Inner Loop Header: Depth=2
	v_mov_b32_e32 v2, s25
	v_add_co_u32_e64 v4, s[10:11], s24, v0
	v_addc_co_u32_e64 v5, s[10:11], 0, v2, s[10:11]
	v_cmp_eq_u64_e64 s[10:11], s[24:25], v[39:40]
	s_waitcnt vmcnt(3)
	v_add_co_u32_e64 v2, s[12:13], v51, v41
	s_and_b64 s[42:43], s[22:23], s[10:11]
	v_cmp_gt_i64_e64 s[10:11], v[4:5], v[37:38]
	s_waitcnt vmcnt(2)
	v_addc_co_u32_e64 v3, s[12:13], v52, v42, s[12:13]
	v_cmp_le_i64_e64 s[12:13], s[26:27], v[4:5]
	s_or_b64 s[14:15], s[16:17], s[10:11]
	s_or_b64 s[14:15], s[14:15], s[42:43]
	s_nor_b64 s[14:15], s[12:13], s[14:15]
	s_and_saveexec_b64 s[18:19], s[14:15]
	s_xor_b64 s[14:15], exec, s[18:19]
	s_cbranch_execz .LBB93_9
; %bb.8:                                ;   in Loop: Header=BB93_7 Depth=2
	global_load_dwordx2 v[6:7], v[2:3], off
	s_waitcnt vmcnt(0)
	v_xor_b32_e32 v7, 0x80000000, v7
	ds_write_b64 v56, v[6:7]
.LBB93_9:                               ;   in Loop: Header=BB93_7 Depth=2
	s_or_saveexec_b64 s[14:15], s[14:15]
	s_xor_b64 s[28:29], s[42:43], -1
	s_xor_b64 exec, exec, s[14:15]
	s_cbranch_execz .LBB93_15
; %bb.10:                               ;   in Loop: Header=BB93_7 Depth=2
	s_and_saveexec_b64 s[18:19], s[28:29]
	s_xor_b64 s[18:19], exec, s[18:19]
; %bb.11:                               ;   in Loop: Header=BB93_7 Depth=2
	v_mov_b32_e32 v6, v23
	v_mov_b32_e32 v7, v23
	ds_write_b64 v56, v[6:7]
; %bb.12:                               ;   in Loop: Header=BB93_7 Depth=2
	s_andn2_saveexec_b64 s[18:19], s[18:19]
; %bb.13:                               ;   in Loop: Header=BB93_7 Depth=2
	ds_write_b64 v56, v[22:23]
; %bb.14:                               ;   in Loop: Header=BB93_7 Depth=2
	s_or_b64 exec, exec, s[18:19]
.LBB93_15:                              ;   in Loop: Header=BB93_7 Depth=2
	s_or_b64 exec, exec, s[14:15]
	v_add_co_u32_e64 v6, s[18:19], 16, v4
	v_addc_co_u32_e64 v7, s[18:19], 0, v5, s[18:19]
	v_cmp_eq_u64_e64 s[14:15], s[24:25], v[47:48]
	v_cmp_gt_i64_e64 s[18:19], v[6:7], v[37:38]
	s_and_b64 s[20:21], s[22:23], s[14:15]
	v_cmp_le_i64_e64 s[14:15], s[26:27], v[6:7]
	s_or_b64 s[18:19], s[16:17], s[18:19]
	s_or_b64 s[18:19], s[18:19], s[20:21]
	s_nor_b64 s[18:19], s[14:15], s[18:19]
	s_and_saveexec_b64 s[44:45], s[18:19]
	s_xor_b64 s[44:45], exec, s[44:45]
	s_cbranch_execz .LBB93_17
; %bb.16:                               ;   in Loop: Header=BB93_7 Depth=2
	s_waitcnt vmcnt(1)
	v_add_co_u32_e64 v6, s[18:19], v53, v41
	s_waitcnt vmcnt(0)
	v_addc_co_u32_e64 v7, s[18:19], v54, v42, s[18:19]
	global_load_dwordx2 v[6:7], v[6:7], off
	s_waitcnt vmcnt(0)
	v_xor_b32_e32 v7, 0x80000000, v7
	ds_write_b64 v56, v[6:7] offset:128
.LBB93_17:                              ;   in Loop: Header=BB93_7 Depth=2
	s_andn2_saveexec_b64 s[18:19], s[44:45]
	s_cbranch_execz .LBB93_23
; %bb.18:                               ;   in Loop: Header=BB93_7 Depth=2
	s_xor_b64 s[20:21], s[20:21], -1
	s_and_saveexec_b64 s[44:45], s[20:21]
	s_xor_b64 s[20:21], exec, s[44:45]
; %bb.19:                               ;   in Loop: Header=BB93_7 Depth=2
	v_mov_b32_e32 v6, v23
	v_mov_b32_e32 v7, v23
	ds_write_b64 v56, v[6:7] offset:128
; %bb.20:                               ;   in Loop: Header=BB93_7 Depth=2
	s_andn2_saveexec_b64 s[20:21], s[20:21]
; %bb.21:                               ;   in Loop: Header=BB93_7 Depth=2
	ds_write_b64 v56, v[22:23] offset:128
; %bb.22:                               ;   in Loop: Header=BB93_7 Depth=2
	s_or_b64 exec, exec, s[20:21]
.LBB93_23:                              ;   in Loop: Header=BB93_7 Depth=2
	s_or_b64 exec, exec, s[18:19]
	v_cmp_eq_u64_e64 s[18:19], s[24:25], v[45:46]
	v_cmp_gt_i64_e64 s[20:21], v[4:5], v[43:44]
	s_and_b64 s[18:19], s[22:23], s[18:19]
	s_or_b64 s[20:21], s[8:9], s[20:21]
	s_or_b64 s[20:21], s[20:21], s[18:19]
	s_nor_b64 s[12:13], s[12:13], s[20:21]
	s_and_saveexec_b64 s[20:21], s[12:13]
	s_xor_b64 s[12:13], exec, s[20:21]
	s_cbranch_execz .LBB93_25
; %bb.24:                               ;   in Loop: Header=BB93_7 Depth=2
	global_load_dwordx2 v[2:3], v[2:3], off offset:128
	s_waitcnt vmcnt(0)
	v_xor_b32_e32 v3, 0x80000000, v3
	ds_write_b64 v56, v[2:3] offset:4096
.LBB93_25:                              ;   in Loop: Header=BB93_7 Depth=2
	s_andn2_saveexec_b64 s[12:13], s[12:13]
	s_cbranch_execz .LBB93_31
; %bb.26:                               ;   in Loop: Header=BB93_7 Depth=2
	s_xor_b64 s[18:19], s[18:19], -1
	s_and_saveexec_b64 s[20:21], s[18:19]
	s_xor_b64 s[18:19], exec, s[20:21]
; %bb.27:                               ;   in Loop: Header=BB93_7 Depth=2
	v_mov_b32_e32 v2, v23
	v_mov_b32_e32 v3, v23
	ds_write_b64 v56, v[2:3] offset:4096
; %bb.28:                               ;   in Loop: Header=BB93_7 Depth=2
	s_andn2_saveexec_b64 s[18:19], s[18:19]
; %bb.29:                               ;   in Loop: Header=BB93_7 Depth=2
	ds_write_b64 v56, v[22:23] offset:4096
; %bb.30:                               ;   in Loop: Header=BB93_7 Depth=2
	s_or_b64 exec, exec, s[18:19]
.LBB93_31:                              ;   in Loop: Header=BB93_7 Depth=2
	s_or_b64 exec, exec, s[12:13]
	s_or_b64 s[10:11], s[8:9], s[10:11]
	s_or_b64 s[10:11], s[10:11], s[42:43]
	s_nor_b64 s[10:11], s[14:15], s[10:11]
	s_and_saveexec_b64 s[12:13], s[10:11]
	s_xor_b64 s[12:13], exec, s[12:13]
	s_cbranch_execz .LBB93_33
; %bb.32:                               ;   in Loop: Header=BB93_7 Depth=2
	s_waitcnt vmcnt(1)
	v_add_co_u32_e64 v2, s[10:11], v53, v41
	s_waitcnt vmcnt(0)
	v_addc_co_u32_e64 v3, s[10:11], v54, v42, s[10:11]
	global_load_dwordx2 v[2:3], v[2:3], off offset:128
	s_waitcnt vmcnt(0)
	v_xor_b32_e32 v3, 0x80000000, v3
	ds_write_b64 v56, v[2:3] offset:4224
.LBB93_33:                              ;   in Loop: Header=BB93_7 Depth=2
	s_andn2_saveexec_b64 s[10:11], s[12:13]
	s_cbranch_execz .LBB93_39
; %bb.34:                               ;   in Loop: Header=BB93_7 Depth=2
	s_and_saveexec_b64 s[12:13], s[28:29]
	s_xor_b64 s[12:13], exec, s[12:13]
; %bb.35:                               ;   in Loop: Header=BB93_7 Depth=2
	v_mov_b32_e32 v2, v23
	v_mov_b32_e32 v3, v23
	ds_write_b64 v56, v[2:3] offset:4224
; %bb.36:                               ;   in Loop: Header=BB93_7 Depth=2
	s_andn2_saveexec_b64 s[12:13], s[12:13]
; %bb.37:                               ;   in Loop: Header=BB93_7 Depth=2
	ds_write_b64 v56, v[22:23] offset:4224
; %bb.38:                               ;   in Loop: Header=BB93_7 Depth=2
	s_or_b64 exec, exec, s[12:13]
.LBB93_39:                              ;   in Loop: Header=BB93_7 Depth=2
	s_or_b64 exec, exec, s[10:11]
	v_mov_b32_e32 v3, s25
	v_add_co_u32_e64 v2, s[10:11], s24, v1
	v_addc_co_u32_e64 v3, s[10:11], 0, v3, s[10:11]
	v_cmp_le_i64_e64 s[10:11], s[26:27], v[2:3]
	v_add_co_u32_e64 v4, s[12:13], v49, v61
	v_addc_co_u32_e64 v5, s[12:13], v50, v62, s[12:13]
	s_nor_b64 s[12:13], s[10:11], vcc
	s_and_saveexec_b64 s[14:15], s[12:13]
	s_xor_b64 s[12:13], exec, s[14:15]
	s_cbranch_execz .LBB93_41
; %bb.40:                               ;   in Loop: Header=BB93_7 Depth=2
	global_load_dwordx2 v[6:7], v[4:5], off offset:-128
	s_waitcnt vmcnt(0)
	ds_write_b64 v58, v[6:7]
.LBB93_41:                              ;   in Loop: Header=BB93_7 Depth=2
	s_andn2_saveexec_b64 s[12:13], s[12:13]
; %bb.42:                               ;   in Loop: Header=BB93_7 Depth=2
	v_mov_b32_e32 v6, v23
	v_mov_b32_e32 v7, v23
	ds_write_b64 v58, v[6:7]
; %bb.43:                               ;   in Loop: Header=BB93_7 Depth=2
	s_or_b64 exec, exec, s[12:13]
	s_nor_b64 s[10:11], s[10:11], s[0:1]
	s_and_saveexec_b64 s[12:13], s[10:11]
	s_xor_b64 s[10:11], exec, s[12:13]
	s_cbranch_execz .LBB93_45
; %bb.44:                               ;   in Loop: Header=BB93_7 Depth=2
	global_load_dwordx2 v[4:5], v[4:5], off
	s_waitcnt vmcnt(0)
	ds_write_b64 v58, v[4:5] offset:128
.LBB93_45:                              ;   in Loop: Header=BB93_7 Depth=2
	s_andn2_saveexec_b64 s[10:11], s[10:11]
; %bb.46:                               ;   in Loop: Header=BB93_7 Depth=2
	v_mov_b32_e32 v4, v23
	v_mov_b32_e32 v5, v23
	ds_write_b64 v58, v[4:5] offset:128
; %bb.47:                               ;   in Loop: Header=BB93_7 Depth=2
	s_or_b64 exec, exec, s[10:11]
	v_cmp_le_i64_e64 s[10:11], s[38:39], v[2:3]
	v_add_co_u32_e64 v2, s[12:13], v49, v32
	v_addc_co_u32_e64 v3, s[12:13], v50, v63, s[12:13]
	s_nor_b64 s[12:13], s[10:11], vcc
	s_and_saveexec_b64 s[14:15], s[12:13]
	s_xor_b64 s[12:13], exec, s[14:15]
	s_cbranch_execz .LBB93_49
; %bb.48:                               ;   in Loop: Header=BB93_7 Depth=2
	global_load_dwordx2 v[4:5], v[2:3], off
	s_waitcnt vmcnt(0)
	ds_write_b64 v58, v[4:5] offset:4096
.LBB93_49:                              ;   in Loop: Header=BB93_7 Depth=2
	s_andn2_saveexec_b64 s[12:13], s[12:13]
; %bb.50:                               ;   in Loop: Header=BB93_7 Depth=2
	v_mov_b32_e32 v4, v23
	v_mov_b32_e32 v5, v23
	ds_write_b64 v58, v[4:5] offset:4096
; %bb.51:                               ;   in Loop: Header=BB93_7 Depth=2
	s_or_b64 exec, exec, s[12:13]
	s_nor_b64 s[10:11], s[10:11], s[0:1]
	s_and_saveexec_b64 s[12:13], s[10:11]
	s_xor_b64 s[10:11], exec, s[12:13]
	s_cbranch_execz .LBB93_53
; %bb.52:                               ;   in Loop: Header=BB93_7 Depth=2
	global_load_dwordx2 v[2:3], v[2:3], off offset:128
	s_waitcnt vmcnt(0)
	ds_write_b64 v58, v[2:3] offset:4224
.LBB93_53:                              ;   in Loop: Header=BB93_7 Depth=2
	s_andn2_saveexec_b64 s[10:11], s[10:11]
	s_cbranch_execz .LBB93_6
; %bb.54:                               ;   in Loop: Header=BB93_7 Depth=2
	v_mov_b32_e32 v2, v23
	v_mov_b32_e32 v3, v23
	ds_write_b64 v58, v[2:3] offset:4224
	s_branch .LBB93_6
.LBB93_55:                              ;   in Loop: Header=BB93_4 Depth=1
	v_mul_lo_u32 v4, s41, v37
	v_mul_lo_u32 v5, s40, v38
	v_mad_u64_u32 v[2:3], s[8:9], s40, v37, 0
	v_cmp_gt_i32_e64 s[8:9], s30, v37
	v_add3_u32 v3, v3, v5, v4
	v_lshlrev_b64 v[2:3], 3, v[2:3]
	v_mov_b32_e32 v4, s48
	v_add_co_u32_e64 v2, s[10:11], s47, v2
	v_addc_co_u32_e64 v3, s[10:11], v4, v3, s[10:11]
	s_and_b64 s[10:11], s[2:3], s[8:9]
	s_and_saveexec_b64 s[12:13], s[10:11]
	s_cbranch_execz .LBB93_57
; %bb.56:                               ;   in Loop: Header=BB93_4 Depth=1
	v_add_co_u32_e64 v4, s[10:11], v2, v35
	v_addc_co_u32_e64 v5, s[10:11], v3, v36, s[10:11]
	global_load_dwordx2 v[6:7], v[4:5], off
	v_mul_f32_e32 v8, s33, v21
	v_mul_f32_e32 v9, s31, v21
	v_fma_f32 v8, v20, s31, -v8
	v_fmac_f32_e32 v9, s33, v20
	s_waitcnt vmcnt(0)
	v_add_f32_e32 v6, v6, v8
	v_add_f32_e32 v7, v9, v7
	global_store_dwordx2 v[4:5], v[6:7], off
.LBB93_57:                              ;   in Loop: Header=BB93_4 Depth=1
	s_or_b64 exec, exec, s[12:13]
	s_and_b64 s[8:9], s[4:5], s[8:9]
	s_and_saveexec_b64 s[10:11], s[8:9]
	s_cbranch_execz .LBB93_59
; %bb.58:                               ;   in Loop: Header=BB93_4 Depth=1
	buffer_load_dword v4, off, s[52:55], 0  ; 4-byte Folded Reload
	buffer_load_dword v5, off, s[52:55], 0 offset:4 ; 4-byte Folded Reload
	v_mul_f32_e32 v6, s33, v19
	v_mul_f32_e32 v7, s31, v19
	v_fma_f32 v6, v18, s31, -v6
	v_fmac_f32_e32 v7, s33, v18
	s_waitcnt vmcnt(1)
	v_add_co_u32_e64 v2, s[8:9], v2, v4
	s_waitcnt vmcnt(0)
	v_addc_co_u32_e64 v3, s[8:9], v3, v5, s[8:9]
	global_load_dwordx2 v[4:5], v[2:3], off
	s_waitcnt vmcnt(0)
	v_add_f32_e32 v4, v4, v6
	v_add_f32_e32 v5, v7, v5
	global_store_dwordx2 v[2:3], v[4:5], off
.LBB93_59:                              ;   in Loop: Header=BB93_4 Depth=1
	s_or_b64 exec, exec, s[10:11]
	v_add_u32_e32 v4, 16, v37
	v_ashrrev_i32_e32 v2, 31, v4
	v_mul_lo_u32 v5, s40, v2
	v_mul_lo_u32 v6, s41, v4
	v_mad_u64_u32 v[2:3], s[8:9], s40, v4, 0
	v_cmp_gt_i32_e64 s[8:9], s30, v4
	v_mov_b32_e32 v4, s48
	v_add3_u32 v3, v3, v5, v6
	v_lshlrev_b64 v[2:3], 3, v[2:3]
	v_add_co_u32_e64 v2, s[10:11], s47, v2
	v_addc_co_u32_e64 v3, s[10:11], v4, v3, s[10:11]
	s_and_b64 s[10:11], s[2:3], s[8:9]
	s_and_saveexec_b64 s[12:13], s[10:11]
	s_cbranch_execz .LBB93_61
; %bb.60:                               ;   in Loop: Header=BB93_4 Depth=1
	v_add_co_u32_e64 v4, s[10:11], v2, v35
	v_addc_co_u32_e64 v5, s[10:11], v3, v36, s[10:11]
	global_load_dwordx2 v[6:7], v[4:5], off
	v_mul_f32_e32 v8, s33, v17
	v_mul_f32_e32 v9, s31, v17
	v_fma_f32 v8, v16, s31, -v8
	v_fmac_f32_e32 v9, s33, v16
	s_waitcnt vmcnt(0)
	v_add_f32_e32 v6, v6, v8
	v_add_f32_e32 v7, v9, v7
	global_store_dwordx2 v[4:5], v[6:7], off
.LBB93_61:                              ;   in Loop: Header=BB93_4 Depth=1
	s_or_b64 exec, exec, s[12:13]
	s_and_b64 s[8:9], s[4:5], s[8:9]
	s_and_saveexec_b64 s[10:11], s[8:9]
	s_cbranch_execz .LBB93_3
; %bb.62:                               ;   in Loop: Header=BB93_4 Depth=1
	buffer_load_dword v4, off, s[52:55], 0  ; 4-byte Folded Reload
	buffer_load_dword v5, off, s[52:55], 0 offset:4 ; 4-byte Folded Reload
	v_mul_f32_e32 v6, s33, v14
	v_mul_f32_e32 v7, s31, v14
	v_fma_f32 v6, v15, s31, -v6
	v_fmac_f32_e32 v7, s33, v15
	s_waitcnt vmcnt(1)
	v_add_co_u32_e64 v2, s[8:9], v2, v4
	s_waitcnt vmcnt(0)
	v_addc_co_u32_e64 v3, s[8:9], v3, v5, s[8:9]
	global_load_dwordx2 v[4:5], v[2:3], off
	s_waitcnt vmcnt(0)
	v_add_f32_e32 v4, v4, v6
	v_add_f32_e32 v5, v7, v5
	global_store_dwordx2 v[2:3], v[4:5], off
	s_branch .LBB93_3
.LBB93_63:
	s_endpgm
	.section	.rodata,"a",@progbits
	.p2align	6, 0x0
	.amdhsa_kernel _ZL30rocblas_trmm_outofplace_kernelI19rocblas_complex_numIfELi32ELi2ELb0ELb0ELb1ELb1ES1_KS1_S1_Ev17rocblas_diagonal_iiT6_lPT7_lllS6_lllPT8_llli
		.amdhsa_group_segment_fixed_size 16384
		.amdhsa_private_segment_fixed_size 44
		.amdhsa_kernarg_size 392
		.amdhsa_user_sgpr_count 6
		.amdhsa_user_sgpr_private_segment_buffer 1
		.amdhsa_user_sgpr_dispatch_ptr 0
		.amdhsa_user_sgpr_queue_ptr 0
		.amdhsa_user_sgpr_kernarg_segment_ptr 1
		.amdhsa_user_sgpr_dispatch_id 0
		.amdhsa_user_sgpr_flat_scratch_init 0
		.amdhsa_user_sgpr_private_segment_size 0
		.amdhsa_uses_dynamic_stack 0
		.amdhsa_system_sgpr_private_segment_wavefront_offset 1
		.amdhsa_system_sgpr_workgroup_id_x 1
		.amdhsa_system_sgpr_workgroup_id_y 1
		.amdhsa_system_sgpr_workgroup_id_z 1
		.amdhsa_system_sgpr_workgroup_info 0
		.amdhsa_system_vgpr_workitem_id 1
		.amdhsa_next_free_vgpr 64
		.amdhsa_next_free_sgpr 61
		.amdhsa_reserve_vcc 1
		.amdhsa_reserve_flat_scratch 0
		.amdhsa_float_round_mode_32 0
		.amdhsa_float_round_mode_16_64 0
		.amdhsa_float_denorm_mode_32 3
		.amdhsa_float_denorm_mode_16_64 3
		.amdhsa_dx10_clamp 1
		.amdhsa_ieee_mode 1
		.amdhsa_fp16_overflow 0
		.amdhsa_exception_fp_ieee_invalid_op 0
		.amdhsa_exception_fp_denorm_src 0
		.amdhsa_exception_fp_ieee_div_zero 0
		.amdhsa_exception_fp_ieee_overflow 0
		.amdhsa_exception_fp_ieee_underflow 0
		.amdhsa_exception_fp_ieee_inexact 0
		.amdhsa_exception_int_div_zero 0
	.end_amdhsa_kernel
	.section	.text._ZL30rocblas_trmm_outofplace_kernelI19rocblas_complex_numIfELi32ELi2ELb0ELb0ELb1ELb1ES1_KS1_S1_Ev17rocblas_diagonal_iiT6_lPT7_lllS6_lllPT8_llli,"axG",@progbits,_ZL30rocblas_trmm_outofplace_kernelI19rocblas_complex_numIfELi32ELi2ELb0ELb0ELb1ELb1ES1_KS1_S1_Ev17rocblas_diagonal_iiT6_lPT7_lllS6_lllPT8_llli,comdat
.Lfunc_end93:
	.size	_ZL30rocblas_trmm_outofplace_kernelI19rocblas_complex_numIfELi32ELi2ELb0ELb0ELb1ELb1ES1_KS1_S1_Ev17rocblas_diagonal_iiT6_lPT7_lllS6_lllPT8_llli, .Lfunc_end93-_ZL30rocblas_trmm_outofplace_kernelI19rocblas_complex_numIfELi32ELi2ELb0ELb0ELb1ELb1ES1_KS1_S1_Ev17rocblas_diagonal_iiT6_lPT7_lllS6_lllPT8_llli
                                        ; -- End function
	.set _ZL30rocblas_trmm_outofplace_kernelI19rocblas_complex_numIfELi32ELi2ELb0ELb0ELb1ELb1ES1_KS1_S1_Ev17rocblas_diagonal_iiT6_lPT7_lllS6_lllPT8_llli.num_vgpr, 64
	.set _ZL30rocblas_trmm_outofplace_kernelI19rocblas_complex_numIfELi32ELi2ELb0ELb0ELb1ELb1ES1_KS1_S1_Ev17rocblas_diagonal_iiT6_lPT7_lllS6_lllPT8_llli.num_agpr, 0
	.set _ZL30rocblas_trmm_outofplace_kernelI19rocblas_complex_numIfELi32ELi2ELb0ELb0ELb1ELb1ES1_KS1_S1_Ev17rocblas_diagonal_iiT6_lPT7_lllS6_lllPT8_llli.numbered_sgpr, 56
	.set _ZL30rocblas_trmm_outofplace_kernelI19rocblas_complex_numIfELi32ELi2ELb0ELb0ELb1ELb1ES1_KS1_S1_Ev17rocblas_diagonal_iiT6_lPT7_lllS6_lllPT8_llli.num_named_barrier, 0
	.set _ZL30rocblas_trmm_outofplace_kernelI19rocblas_complex_numIfELi32ELi2ELb0ELb0ELb1ELb1ES1_KS1_S1_Ev17rocblas_diagonal_iiT6_lPT7_lllS6_lllPT8_llli.private_seg_size, 44
	.set _ZL30rocblas_trmm_outofplace_kernelI19rocblas_complex_numIfELi32ELi2ELb0ELb0ELb1ELb1ES1_KS1_S1_Ev17rocblas_diagonal_iiT6_lPT7_lllS6_lllPT8_llli.uses_vcc, 1
	.set _ZL30rocblas_trmm_outofplace_kernelI19rocblas_complex_numIfELi32ELi2ELb0ELb0ELb1ELb1ES1_KS1_S1_Ev17rocblas_diagonal_iiT6_lPT7_lllS6_lllPT8_llli.uses_flat_scratch, 0
	.set _ZL30rocblas_trmm_outofplace_kernelI19rocblas_complex_numIfELi32ELi2ELb0ELb0ELb1ELb1ES1_KS1_S1_Ev17rocblas_diagonal_iiT6_lPT7_lllS6_lllPT8_llli.has_dyn_sized_stack, 0
	.set _ZL30rocblas_trmm_outofplace_kernelI19rocblas_complex_numIfELi32ELi2ELb0ELb0ELb1ELb1ES1_KS1_S1_Ev17rocblas_diagonal_iiT6_lPT7_lllS6_lllPT8_llli.has_recursion, 0
	.set _ZL30rocblas_trmm_outofplace_kernelI19rocblas_complex_numIfELi32ELi2ELb0ELb0ELb1ELb1ES1_KS1_S1_Ev17rocblas_diagonal_iiT6_lPT7_lllS6_lllPT8_llli.has_indirect_call, 0
	.section	.AMDGPU.csdata,"",@progbits
; Kernel info:
; codeLenInByte = 6820
; TotalNumSgprs: 60
; NumVgprs: 64
; ScratchSize: 44
; MemoryBound: 0
; FloatMode: 240
; IeeeMode: 1
; LDSByteSize: 16384 bytes/workgroup (compile time only)
; SGPRBlocks: 8
; VGPRBlocks: 15
; NumSGPRsForWavesPerEU: 65
; NumVGPRsForWavesPerEU: 64
; Occupancy: 4
; WaveLimiterHint : 0
; COMPUTE_PGM_RSRC2:SCRATCH_EN: 1
; COMPUTE_PGM_RSRC2:USER_SGPR: 6
; COMPUTE_PGM_RSRC2:TRAP_HANDLER: 0
; COMPUTE_PGM_RSRC2:TGID_X_EN: 1
; COMPUTE_PGM_RSRC2:TGID_Y_EN: 1
; COMPUTE_PGM_RSRC2:TGID_Z_EN: 1
; COMPUTE_PGM_RSRC2:TIDIG_COMP_CNT: 1
	.section	.text._ZL30rocblas_trmm_outofplace_kernelI19rocblas_complex_numIfELi32ELi2ELb0ELb1ELb1ELb1EPKS1_S2_S1_Ev17rocblas_diagonal_iiT6_lPT7_lllS7_lllPT8_llli,"axG",@progbits,_ZL30rocblas_trmm_outofplace_kernelI19rocblas_complex_numIfELi32ELi2ELb0ELb1ELb1ELb1EPKS1_S2_S1_Ev17rocblas_diagonal_iiT6_lPT7_lllS7_lllPT8_llli,comdat
	.globl	_ZL30rocblas_trmm_outofplace_kernelI19rocblas_complex_numIfELi32ELi2ELb0ELb1ELb1ELb1EPKS1_S2_S1_Ev17rocblas_diagonal_iiT6_lPT7_lllS7_lllPT8_llli ; -- Begin function _ZL30rocblas_trmm_outofplace_kernelI19rocblas_complex_numIfELi32ELi2ELb0ELb1ELb1ELb1EPKS1_S2_S1_Ev17rocblas_diagonal_iiT6_lPT7_lllS7_lllPT8_llli
	.p2align	8
	.type	_ZL30rocblas_trmm_outofplace_kernelI19rocblas_complex_numIfELi32ELi2ELb0ELb1ELb1ELb1EPKS1_S2_S1_Ev17rocblas_diagonal_iiT6_lPT7_lllS7_lllPT8_llli,@function
_ZL30rocblas_trmm_outofplace_kernelI19rocblas_complex_numIfELi32ELi2ELb0ELb1ELb1ELb1EPKS1_S2_S1_Ev17rocblas_diagonal_iiT6_lPT7_lllS7_lllPT8_llli: ; @_ZL30rocblas_trmm_outofplace_kernelI19rocblas_complex_numIfELi32ELi2ELb0ELb1ELb1ELb1EPKS1_S2_S1_Ev17rocblas_diagonal_iiT6_lPT7_lllS7_lllPT8_llli
; %bb.0:
	s_load_dwordx16 s[16:31], s[4:5], 0x10
	s_mov_b64 s[70:71], s[2:3]
	s_mov_b64 s[68:69], s[0:1]
	s_add_u32 s68, s68, s9
	s_addc_u32 s69, s69, 0
	s_waitcnt lgkmcnt(0)
	s_mul_i32 s0, s19, s8
	s_mul_hi_u32 s1, s18, s8
	s_add_i32 s1, s1, s0
	s_mul_i32 s0, s18, s8
	s_lshl_b64 s[0:1], s[0:1], 3
	s_add_u32 s0, s16, s0
	s_addc_u32 s1, s17, s1
	s_load_dwordx2 s[34:35], s[0:1], 0x0
	s_waitcnt lgkmcnt(0)
	s_or_b32 s0, s34, s35
	s_bitset0_b32 s0, 31
	s_cmp_eq_u32 s0, 0
	s_cbranch_scc1 .LBB94_64
; %bb.1:
	s_load_dwordx4 s[44:47], s[4:5], 0x0
	s_waitcnt lgkmcnt(0)
	s_add_i32 s0, s46, -1
	s_ashr_i32 s1, s0, 31
	s_lshr_b32 s1, s1, 27
	s_add_i32 s0, s0, s1
	s_ashr_i32 s33, s0, 5
	s_cmp_gt_i32 s7, s33
	s_cbranch_scc1 .LBB94_64
; %bb.2:
	s_load_dwordx4 s[48:51], s[4:5], 0x70
	s_load_dwordx8 s[36:43], s[4:5], 0x50
	s_load_dword s60, s[4:5], 0x8c
	s_mul_hi_u32 s10, s26, s8
	v_lshl_add_u32 v2, s6, 5, v0
	s_waitcnt lgkmcnt(0)
	s_mul_i32 s1, s51, s8
	s_mul_hi_u32 s2, s50, s8
	s_mul_i32 s0, s50, s8
	s_add_i32 s1, s2, s1
	s_lshl_b64 s[0:1], s[0:1], 3
	s_add_u32 s2, s40, s0
	s_addc_u32 s3, s41, s1
	s_lshl_b64 s[0:1], s[42:43], 3
	s_add_u32 s61, s2, s0
	s_addc_u32 s62, s3, s1
	s_cmpk_eq_i32 s44, 0x84
	s_cselect_b64 s[40:41], -1, 0
	s_ashr_i32 s47, s46, 31
	s_ashr_i32 s0, s45, 31
	s_lshl_b64 s[42:43], s[24:25], 8
	s_lshl_b64 s[50:51], s[36:37], 8
	s_add_u32 s52, s46, -16
	s_addc_u32 s53, s47, -1
	s_lshl_b32 s9, s7, 5
	v_add_u32_e32 v24, s9, v0
	v_add_u32_e32 v26, s9, v1
	s_mul_i32 s9, s27, s8
	s_add_i32 s11, s10, s9
	s_mul_i32 s10, s26, s8
	s_lshl_b32 s6, s60, 5
	s_lshl_b64 s[10:11], s[10:11], 3
	s_lshl_b64 s[12:13], s[22:23], 3
	s_add_u32 s9, s10, s12
	s_addc_u32 s10, s11, s13
	v_ashrrev_i32_e32 v3, 31, v2
	v_mov_b32_e32 v5, s0
	v_sub_co_u32_e32 v4, vcc, s45, v2
	s_add_u32 s22, s20, s9
	v_subb_co_u32_e32 v5, vcc, v5, v3, vcc
	s_addc_u32 s23, s21, s10
	s_lshl_b64 s[26:27], s[24:25], 3
	v_cmp_gt_i64_e64 s[0:1], 1, v[4:5]
	v_cmp_gt_i64_e64 s[2:3], 17, v[4:5]
	v_add_u32_e32 v4, 16, v2
	s_add_u32 s44, s28, 0x80
	s_mul_i32 s9, s39, s8
	s_mul_hi_u32 s10, s38, s8
	v_cmp_gt_i32_e64 s[4:5], s45, v2
	v_cmp_gt_i32_e64 s[16:17], s45, v4
	s_addc_u32 s45, s29, 0
	s_add_i32 s9, s10, s9
	s_mul_i32 s8, s38, s8
	v_ashrrev_i32_e32 v5, 31, v4
	s_lshl_b64 s[54:55], s[36:37], 3
	s_lshl_b64 s[8:9], s[8:9], 3
	;; [unrolled: 1-line block ×3, first 2 shown]
	v_lshlrev_b64 v[2:3], 3, v[2:3]
	buffer_store_dword v4, off, s[68:71], 0 offset:8 ; 4-byte Folded Spill
	s_nop 0
	buffer_store_dword v5, off, s[68:71], 0 offset:12 ; 4-byte Folded Spill
	s_add_u32 s8, s8, s10
	v_add_co_u32_e32 v4, vcc, s8, v2
	buffer_store_dword v2, off, s[68:71], 0 offset:16 ; 4-byte Folded Spill
	s_nop 0
	buffer_store_dword v3, off, s[68:71], 0 offset:20 ; 4-byte Folded Spill
	v_lshlrev_b32_e32 v6, 3, v0
	s_addc_u32 s9, s9, s11
	v_lshlrev_b32_e32 v56, 8, v1
	v_or_b32_e32 v58, 0x2000, v6
	v_mov_b32_e32 v0, s9
	v_add_u32_e32 v57, v56, v6
	v_add_u32_e32 v59, v58, v56
	s_movk_i32 s63, 0x80
	v_mov_b32_e32 v33, 0
	v_mov_b32_e32 v32, 1.0
	v_addc_co_u32_e32 v5, vcc, v0, v3, vcc
	buffer_store_dword v4, off, s[68:71], 0 offset:24 ; 4-byte Folded Spill
	s_nop 0
	buffer_store_dword v5, off, s[68:71], 0 offset:28 ; 4-byte Folded Spill
	s_branch .LBB94_4
.LBB94_3:                               ;   in Loop: Header=BB94_4 Depth=1
	s_or_b64 exec, exec, s[8:9]
	s_add_i32 s7, s60, s7
	v_add_u32_e32 v24, s6, v24
	s_cmp_le_i32 s7, s33
	v_add_u32_e32 v26, s6, v26
	s_cbranch_scc0 .LBB94_64
.LBB94_4:                               ; =>This Loop Header: Depth=1
                                        ;     Child Loop BB94_7 Depth 2
	s_lshl_b32 s8, s7, 5
	v_add_u32_e32 v34, s8, v1
	s_sub_i32 s64, s46, s8
	v_ashrrev_i32_e32 v25, 31, v24
	v_ashrrev_i32_e32 v27, 31, v26
	s_cmp_lt_i32 s64, 1
	v_ashrrev_i32_e32 v35, 31, v34
	s_cbranch_scc1 .LBB94_55
; %bb.5:                                ;   in Loop: Header=BB94_4 Depth=1
	v_sub_co_u32_e32 v36, vcc, v26, v24
	v_lshlrev_b64 v[2:3], 3, v[24:25]
	v_subb_co_u32_e32 v37, vcc, v27, v25, vcc
	v_add_co_u32_e32 v0, vcc, 0x80, v2
	v_addc_co_u32_e32 v2, vcc, 0, v3, vcc
	v_mul_lo_u32 v4, s24, v2
	v_mov_b32_e32 v2, s22
	v_lshlrev_b64 v[38:39], 3, v[26:27]
	v_mov_b32_e32 v3, s23
	v_mad_u64_u32 v[40:41], s[8:9], s24, v0, v[2:3]
	v_mad_u64_u32 v[42:43], s[8:9], s26, v24, v[2:3]
	v_mov_b32_e32 v2, s44
	v_mov_b32_e32 v3, s45
	v_add_co_u32_e32 v9, vcc, s63, v38
	v_mad_u64_u32 v[44:45], s[8:9], s54, v26, v[2:3]
	v_addc_co_u32_e32 v2, vcc, 0, v39, vcc
	v_mul_lo_u32 v10, s36, v2
	v_mov_b32_e32 v2, s28
	v_mov_b32_e32 v3, s29
	v_mad_u64_u32 v[46:47], s[8:9], s36, v9, v[2:3]
	v_mul_lo_u32 v2, s37, v9
	v_mul_lo_u32 v5, s25, v0
	;; [unrolled: 1-line block ×4, first 2 shown]
	v_add3_u32 v47, v2, v47, v10
	v_add_co_u32_e64 v2, s[10:11], 16, v36
	v_addc_co_u32_e64 v3, s[10:11], 0, v37, s[10:11]
	buffer_store_dword v2, off, s[68:71], 0 ; 4-byte Folded Spill
	s_nop 0
	buffer_store_dword v3, off, s[68:71], 0 offset:4 ; 4-byte Folded Spill
	buffer_load_dword v54, off, s[68:71], 0 offset:24 ; 4-byte Folded Reload
	buffer_load_dword v55, off, s[68:71], 0 offset:28 ; 4-byte Folded Reload
	v_mul_lo_u32 v7, s54, v27
	v_mul_lo_u32 v8, s55, v26
	v_add_co_u32_e64 v48, s[8:9], 16, v34
	v_addc_co_u32_e64 v49, s[8:9], 0, v35, s[8:9]
	v_cmp_le_i64_e64 s[8:9], s[46:47], v[48:49]
	v_add_co_u32_e64 v52, s[10:11], -16, v36
	v_add3_u32 v41, v5, v41, v4
	v_add3_u32 v43, v6, v43, v0
	v_add3_u32 v45, v8, v45, v7
	v_cmp_le_i32_e32 vcc, s46, v34
	v_addc_co_u32_e64 v53, s[10:11], -1, v37, s[10:11]
	v_mov_b32_e32 v0, 0
	s_mov_b64 s[30:31], 0
	v_mov_b32_e32 v14, 0
	v_mov_b32_e32 v16, 0
	;; [unrolled: 1-line block ×7, first 2 shown]
	s_branch .LBB94_7
.LBB94_6:                               ;   in Loop: Header=BB94_7 Depth=2
	s_or_b64 exec, exec, s[10:11]
	s_waitcnt lgkmcnt(0)
	s_barrier
	ds_read_b128 v[60:63], v56
	ds_read_b128 v[10:13], v56 offset:16
	ds_read_b128 v[6:9], v56 offset:32
	;; [unrolled: 1-line block ×3, first 2 shown]
	ds_read2_b64 v[28:31], v58 offset1:16
	v_add_co_u32_e64 v40, s[10:11], s42, v40
	s_add_u32 s30, s30, 32
	s_addc_u32 s31, s31, 0
	s_waitcnt lgkmcnt(0)
	v_mul_f32_e32 v21, v61, v29
	v_mul_f32_e32 v22, v60, v29
	v_fma_f32 v21, v60, v28, -v21
	v_fmac_f32_e32 v22, v61, v28
	v_add_f32_e32 v21, v19, v21
	v_add_f32_e32 v22, v20, v22
	v_mul_f32_e32 v19, v61, v31
	v_mul_f32_e32 v20, v60, v31
	v_fma_f32 v19, v60, v30, -v19
	v_fmac_f32_e32 v20, v61, v30
	v_add_f32_e32 v23, v17, v19
	v_add_f32_e32 v60, v18, v20
	ds_read_b128 v[17:20], v56 offset:4096
	s_cmp_ge_i32 s30, s64
	s_waitcnt lgkmcnt(0)
	v_mul_f32_e32 v61, v18, v29
	v_mul_f32_e32 v29, v17, v29
	v_fma_f32 v61, v17, v28, -v61
	v_fmac_f32_e32 v29, v18, v28
	v_add_f32_e32 v28, v15, v61
	v_add_f32_e32 v29, v16, v29
	v_mul_f32_e32 v15, v18, v31
	v_mul_f32_e32 v16, v17, v31
	v_fma_f32 v15, v17, v30, -v15
	v_fmac_f32_e32 v16, v18, v30
	v_add_f32_e32 v18, v14, v15
	v_add_f32_e32 v0, v0, v16
	ds_read2_b64 v[14:17], v58 offset0:32 offset1:48
	s_waitcnt lgkmcnt(0)
	v_mul_f32_e32 v30, v63, v15
	v_fma_f32 v30, v62, v14, -v30
	v_add_f32_e32 v21, v21, v30
	v_mul_f32_e32 v30, v63, v17
	v_mul_f32_e32 v31, v62, v15
	v_fma_f32 v30, v62, v16, -v30
	v_fmac_f32_e32 v31, v63, v14
	v_add_f32_e32 v23, v23, v30
	v_mul_f32_e32 v30, v20, v15
	v_mul_f32_e32 v15, v19, v15
	v_add_f32_e32 v22, v22, v31
	v_mul_f32_e32 v31, v62, v17
	v_fmac_f32_e32 v15, v20, v14
	v_fmac_f32_e32 v31, v63, v16
	v_fma_f32 v30, v19, v14, -v30
	v_add_f32_e32 v63, v29, v15
	v_mul_f32_e32 v14, v20, v17
	v_mul_f32_e32 v15, v19, v17
	v_fma_f32 v14, v19, v16, -v14
	v_fmac_f32_e32 v15, v20, v16
	v_add_f32_e32 v50, v60, v31
	v_add_f32_e32 v62, v28, v30
	;; [unrolled: 1-line block ×4, first 2 shown]
	ds_read2_b64 v[14:17], v58 offset0:64 offset1:80
	s_waitcnt lgkmcnt(0)
	v_mul_f32_e32 v0, v11, v15
	v_mul_f32_e32 v18, v10, v15
	v_fma_f32 v0, v10, v14, -v0
	v_fmac_f32_e32 v18, v11, v14
	v_add_f32_e32 v60, v21, v0
	v_add_f32_e32 v61, v22, v18
	ds_read_b128 v[18:21], v56 offset:4112
	v_mul_f32_e32 v0, v11, v17
	v_fma_f32 v0, v10, v16, -v0
	v_mul_f32_e32 v10, v10, v17
	v_fmac_f32_e32 v10, v11, v16
	s_waitcnt lgkmcnt(0)
	v_mul_f32_e32 v11, v19, v15
	v_mul_f32_e32 v15, v18, v15
	v_fmac_f32_e32 v15, v19, v14
	v_fma_f32 v11, v18, v14, -v11
	v_add_f32_e32 v22, v63, v15
	v_mul_f32_e32 v14, v19, v17
	v_mul_f32_e32 v15, v18, v17
	v_fma_f32 v14, v18, v16, -v14
	v_fmac_f32_e32 v15, v19, v16
	v_add_f32_e32 v18, v30, v14
	v_add_f32_e32 v19, v31, v15
	ds_read2_b64 v[14:17], v58 offset0:96 offset1:112
	v_add_f32_e32 v0, v23, v0
	v_add_f32_e32 v10, v50, v10
	;; [unrolled: 1-line block ×3, first 2 shown]
	s_waitcnt lgkmcnt(0)
	v_mul_f32_e32 v23, v13, v15
	v_mul_f32_e32 v29, v13, v17
	v_fma_f32 v23, v12, v14, -v23
	v_mul_f32_e32 v28, v12, v15
	v_fma_f32 v29, v12, v16, -v29
	v_mul_f32_e32 v12, v12, v17
	v_fmac_f32_e32 v12, v13, v16
	v_add_f32_e32 v0, v0, v29
	v_add_f32_e32 v29, v10, v12
	v_mul_f32_e32 v10, v21, v15
	v_fma_f32 v10, v20, v14, -v10
	v_mul_f32_e32 v12, v20, v15
	v_fmac_f32_e32 v28, v13, v14
	v_fmac_f32_e32 v12, v21, v14
	v_add_f32_e32 v14, v11, v10
	v_mul_f32_e32 v10, v21, v17
	v_mul_f32_e32 v11, v20, v17
	v_fma_f32 v10, v20, v16, -v10
	v_fmac_f32_e32 v11, v21, v16
	v_add_f32_e32 v15, v22, v12
	v_add_f32_e32 v20, v18, v10
	;; [unrolled: 1-line block ×3, first 2 shown]
	ds_read2_b64 v[10:13], v58 offset0:128 offset1:144
	v_add_f32_e32 v23, v60, v23
	v_add_f32_e32 v28, v61, v28
	s_waitcnt lgkmcnt(0)
	v_mul_f32_e32 v16, v7, v11
	v_fma_f32 v16, v6, v10, -v16
	v_mul_f32_e32 v17, v6, v11
	v_add_f32_e32 v22, v23, v16
	v_mul_f32_e32 v16, v7, v13
	v_fmac_f32_e32 v17, v7, v10
	v_fma_f32 v16, v6, v12, -v16
	v_add_f32_e32 v23, v28, v17
	v_add_f32_e32 v0, v0, v16
	ds_read_b128 v[16:19], v56 offset:4128
	v_mul_f32_e32 v6, v6, v13
	v_fmac_f32_e32 v6, v7, v12
	v_add_f32_e32 v6, v29, v6
	s_waitcnt lgkmcnt(0)
	v_mul_f32_e32 v7, v17, v11
	v_mul_f32_e32 v11, v16, v11
	v_fma_f32 v7, v16, v10, -v7
	v_fmac_f32_e32 v11, v17, v10
	v_add_f32_e32 v7, v14, v7
	v_add_f32_e32 v14, v15, v11
	v_mul_f32_e32 v10, v17, v13
	v_mul_f32_e32 v11, v16, v13
	v_fma_f32 v10, v16, v12, -v10
	v_fmac_f32_e32 v11, v17, v12
	v_add_f32_e32 v15, v20, v10
	v_add_f32_e32 v20, v21, v11
	ds_read2_b64 v[10:13], v58 offset0:160 offset1:176
	s_waitcnt lgkmcnt(0)
	v_mul_f32_e32 v16, v9, v11
	v_fma_f32 v16, v8, v10, -v16
	v_add_f32_e32 v21, v22, v16
	v_mul_f32_e32 v16, v9, v13
	v_mul_f32_e32 v17, v8, v11
	v_fma_f32 v16, v8, v12, -v16
	v_mul_f32_e32 v8, v8, v13
	v_fmac_f32_e32 v17, v9, v10
	v_fmac_f32_e32 v8, v9, v12
	v_add_f32_e32 v22, v23, v17
	v_add_f32_e32 v23, v6, v8
	v_mul_f32_e32 v6, v19, v11
	v_fma_f32 v6, v18, v10, -v6
	v_add_f32_e32 v0, v0, v16
	v_mul_f32_e32 v8, v18, v11
	v_add_f32_e32 v16, v7, v6
	v_mul_f32_e32 v6, v19, v13
	v_mul_f32_e32 v7, v18, v13
	v_fmac_f32_e32 v8, v19, v10
	v_fma_f32 v6, v18, v12, -v6
	v_fmac_f32_e32 v7, v19, v12
	v_add_f32_e32 v17, v14, v8
	v_add_f32_e32 v18, v15, v6
	;; [unrolled: 1-line block ×3, first 2 shown]
	ds_read2_b64 v[6:9], v58 offset0:192 offset1:208
	s_waitcnt lgkmcnt(0)
	v_mul_f32_e32 v10, v3, v7
	v_fma_f32 v10, v2, v6, -v10
	v_mul_f32_e32 v11, v2, v7
	v_add_f32_e32 v14, v21, v10
	v_mul_f32_e32 v10, v3, v9
	v_fmac_f32_e32 v11, v3, v6
	v_fma_f32 v10, v2, v8, -v10
	v_add_f32_e32 v15, v22, v11
	v_add_f32_e32 v0, v0, v10
	ds_read_b128 v[10:13], v56 offset:4144
	v_mul_f32_e32 v2, v2, v9
	v_fmac_f32_e32 v2, v3, v8
	v_add_f32_e32 v2, v23, v2
	s_waitcnt lgkmcnt(0)
	v_mul_f32_e32 v3, v11, v7
	v_mul_f32_e32 v7, v10, v7
	v_fma_f32 v3, v10, v6, -v3
	v_fmac_f32_e32 v7, v11, v6
	v_add_f32_e32 v3, v16, v3
	v_add_f32_e32 v16, v17, v7
	v_mul_f32_e32 v6, v11, v9
	v_mul_f32_e32 v7, v10, v9
	v_fma_f32 v6, v10, v8, -v6
	v_fmac_f32_e32 v7, v11, v8
	v_add_f32_e32 v10, v18, v6
	v_add_f32_e32 v11, v19, v7
	ds_read2_b64 v[6:9], v58 offset0:224 offset1:240
	s_waitcnt lgkmcnt(0)
	v_mul_f32_e32 v17, v5, v7
	v_fma_f32 v17, v4, v6, -v17
	v_add_f32_e32 v14, v14, v17
	v_mul_f32_e32 v17, v5, v9
	v_mul_f32_e32 v18, v4, v7
	v_fma_f32 v17, v4, v8, -v17
	v_mul_f32_e32 v4, v4, v9
	v_fmac_f32_e32 v18, v5, v6
	v_fmac_f32_e32 v4, v5, v8
	v_add_f32_e32 v17, v0, v17
	v_mul_f32_e32 v0, v13, v7
	v_add_f32_e32 v15, v15, v18
	v_add_f32_e32 v18, v2, v4
	v_fma_f32 v0, v12, v6, -v0
	v_mul_f32_e32 v2, v12, v7
	v_fmac_f32_e32 v2, v13, v6
	v_add_f32_e32 v19, v3, v0
	v_mul_f32_e32 v0, v13, v9
	v_add_f32_e32 v20, v16, v2
	v_fma_f32 v0, v12, v8, -v0
	v_mul_f32_e32 v2, v12, v9
	v_fmac_f32_e32 v2, v13, v8
	v_add_f32_e32 v10, v10, v0
	v_add_u32_e32 v0, 0x800, v58
	v_add_f32_e32 v11, v11, v2
	ds_read_b128 v[2:5], v56 offset:64
	ds_read2_b64 v[6:9], v0 offset1:16
	s_waitcnt lgkmcnt(0)
	v_mul_f32_e32 v12, v3, v7
	v_fma_f32 v12, v2, v6, -v12
	v_mul_f32_e32 v13, v2, v7
	v_add_f32_e32 v12, v14, v12
	v_mul_f32_e32 v14, v3, v9
	v_fmac_f32_e32 v13, v3, v6
	v_fma_f32 v14, v2, v8, -v14
	v_mul_f32_e32 v2, v2, v9
	v_add_f32_e32 v13, v15, v13
	v_fmac_f32_e32 v2, v3, v8
	v_add_f32_e32 v3, v17, v14
	ds_read_b128 v[14:17], v56 offset:4160
	v_add_f32_e32 v2, v18, v2
	s_waitcnt lgkmcnt(0)
	v_mul_f32_e32 v18, v15, v7
	v_mul_f32_e32 v7, v14, v7
	v_fma_f32 v18, v14, v6, -v18
	v_fmac_f32_e32 v7, v15, v6
	v_add_f32_e32 v18, v19, v18
	v_add_f32_e32 v19, v20, v7
	v_mul_f32_e32 v6, v15, v9
	v_mul_f32_e32 v7, v14, v9
	v_fma_f32 v6, v14, v8, -v6
	v_fmac_f32_e32 v7, v15, v8
	v_add_f32_e32 v20, v10, v6
	v_add_f32_e32 v21, v11, v7
	ds_read2_b64 v[6:9], v0 offset0:32 offset1:48
	s_waitcnt lgkmcnt(0)
	v_mul_f32_e32 v10, v5, v7
	v_fma_f32 v10, v4, v6, -v10
	v_add_f32_e32 v10, v12, v10
	v_mul_f32_e32 v12, v5, v9
	v_mul_f32_e32 v11, v4, v7
	v_fma_f32 v12, v4, v8, -v12
	v_mul_f32_e32 v4, v4, v9
	v_fmac_f32_e32 v11, v5, v6
	v_fmac_f32_e32 v4, v5, v8
	v_add_f32_e32 v11, v13, v11
	v_add_f32_e32 v12, v3, v12
	;; [unrolled: 1-line block ×3, first 2 shown]
	v_mul_f32_e32 v2, v17, v7
	v_mul_f32_e32 v3, v16, v7
	v_fma_f32 v2, v16, v6, -v2
	v_fmac_f32_e32 v3, v17, v6
	v_add_f32_e32 v14, v18, v2
	v_add_f32_e32 v15, v19, v3
	v_mul_f32_e32 v2, v17, v9
	v_mul_f32_e32 v3, v16, v9
	v_fma_f32 v2, v16, v8, -v2
	v_fmac_f32_e32 v3, v17, v8
	v_add_f32_e32 v16, v20, v2
	v_add_f32_e32 v17, v21, v3
	ds_read_b128 v[2:5], v56 offset:80
	ds_read2_b64 v[6:9], v0 offset0:64 offset1:80
	s_waitcnt lgkmcnt(0)
	v_mul_f32_e32 v18, v3, v7
	v_mul_f32_e32 v19, v2, v7
	v_fma_f32 v18, v2, v6, -v18
	v_fmac_f32_e32 v19, v3, v6
	v_add_f32_e32 v18, v10, v18
	v_add_f32_e32 v19, v11, v19
	v_mul_f32_e32 v10, v3, v9
	v_mul_f32_e32 v11, v2, v9
	v_fma_f32 v10, v2, v8, -v10
	v_fmac_f32_e32 v11, v3, v8
	v_add_f32_e32 v2, v12, v10
	v_add_f32_e32 v3, v13, v11
	ds_read_b128 v[10:13], v56 offset:4176
	s_waitcnt lgkmcnt(0)
	v_mul_f32_e32 v20, v11, v7
	v_mul_f32_e32 v7, v10, v7
	v_fmac_f32_e32 v7, v11, v6
	v_fma_f32 v20, v10, v6, -v20
	v_add_f32_e32 v15, v15, v7
	v_mul_f32_e32 v6, v11, v9
	v_mul_f32_e32 v7, v10, v9
	v_fma_f32 v6, v10, v8, -v6
	v_fmac_f32_e32 v7, v11, v8
	v_add_f32_e32 v10, v16, v6
	v_add_f32_e32 v11, v17, v7
	ds_read2_b64 v[6:9], v0 offset0:96 offset1:112
	v_add_f32_e32 v14, v14, v20
	s_waitcnt lgkmcnt(0)
	v_mul_f32_e32 v16, v5, v7
	v_fma_f32 v16, v4, v6, -v16
	v_add_f32_e32 v16, v18, v16
	v_mul_f32_e32 v18, v5, v9
	v_mul_f32_e32 v17, v4, v7
	v_fma_f32 v18, v4, v8, -v18
	v_mul_f32_e32 v4, v4, v9
	v_fmac_f32_e32 v17, v5, v6
	v_fmac_f32_e32 v4, v5, v8
	v_add_f32_e32 v17, v19, v17
	v_add_f32_e32 v18, v2, v18
	;; [unrolled: 1-line block ×3, first 2 shown]
	v_mul_f32_e32 v2, v13, v7
	v_mul_f32_e32 v3, v12, v7
	v_fma_f32 v2, v12, v6, -v2
	v_fmac_f32_e32 v3, v13, v6
	v_add_f32_e32 v20, v14, v2
	v_add_f32_e32 v21, v15, v3
	v_mul_f32_e32 v2, v13, v9
	v_mul_f32_e32 v3, v12, v9
	v_fma_f32 v2, v12, v8, -v2
	v_fmac_f32_e32 v3, v13, v8
	v_add_f32_e32 v10, v10, v2
	v_add_f32_e32 v11, v11, v3
	ds_read_b128 v[2:5], v56 offset:96
	ds_read2_b64 v[6:9], v0 offset0:128 offset1:144
	s_waitcnt lgkmcnt(0)
	v_mul_f32_e32 v12, v3, v7
	v_mul_f32_e32 v13, v2, v7
	v_mul_f32_e32 v14, v3, v9
	v_fma_f32 v12, v2, v6, -v12
	v_fmac_f32_e32 v13, v3, v6
	v_fma_f32 v14, v2, v8, -v14
	v_mul_f32_e32 v2, v2, v9
	v_add_f32_e32 v12, v16, v12
	v_add_f32_e32 v13, v17, v13
	v_fmac_f32_e32 v2, v3, v8
	v_add_f32_e32 v3, v18, v14
	ds_read_b128 v[14:17], v56 offset:4192
	v_add_f32_e32 v2, v19, v2
	s_waitcnt lgkmcnt(0)
	v_mul_f32_e32 v18, v15, v7
	v_mul_f32_e32 v7, v14, v7
	v_fmac_f32_e32 v7, v15, v6
	v_fma_f32 v18, v14, v6, -v18
	v_add_f32_e32 v19, v21, v7
	v_mul_f32_e32 v6, v15, v9
	v_mul_f32_e32 v7, v14, v9
	v_fma_f32 v6, v14, v8, -v6
	v_fmac_f32_e32 v7, v15, v8
	v_add_f32_e32 v18, v20, v18
	v_add_f32_e32 v20, v10, v6
	;; [unrolled: 1-line block ×3, first 2 shown]
	ds_read2_b64 v[6:9], v0 offset0:160 offset1:176
	s_waitcnt lgkmcnt(0)
	v_mul_f32_e32 v10, v5, v7
	v_fma_f32 v10, v4, v6, -v10
	v_add_f32_e32 v10, v12, v10
	v_mul_f32_e32 v12, v5, v9
	v_mul_f32_e32 v11, v4, v7
	v_fma_f32 v12, v4, v8, -v12
	v_mul_f32_e32 v4, v4, v9
	v_fmac_f32_e32 v11, v5, v6
	v_fmac_f32_e32 v4, v5, v8
	v_add_f32_e32 v11, v13, v11
	v_add_f32_e32 v12, v3, v12
	;; [unrolled: 1-line block ×3, first 2 shown]
	v_mul_f32_e32 v2, v17, v7
	v_mul_f32_e32 v3, v16, v7
	v_fma_f32 v2, v16, v6, -v2
	v_fmac_f32_e32 v3, v17, v6
	v_add_f32_e32 v14, v18, v2
	v_add_f32_e32 v15, v19, v3
	v_mul_f32_e32 v2, v17, v9
	v_mul_f32_e32 v3, v16, v9
	v_fma_f32 v2, v16, v8, -v2
	v_fmac_f32_e32 v3, v17, v8
	v_add_f32_e32 v16, v20, v2
	v_add_f32_e32 v17, v21, v3
	ds_read_b128 v[2:5], v56 offset:112
	ds_read2_b64 v[6:9], v0 offset0:192 offset1:208
	s_waitcnt lgkmcnt(0)
	v_mul_f32_e32 v18, v3, v7
	v_mul_f32_e32 v19, v2, v7
	v_fma_f32 v18, v2, v6, -v18
	v_fmac_f32_e32 v19, v3, v6
	v_add_f32_e32 v18, v10, v18
	v_add_f32_e32 v19, v11, v19
	v_mul_f32_e32 v10, v3, v9
	v_mul_f32_e32 v11, v2, v9
	v_fma_f32 v10, v2, v8, -v10
	v_fmac_f32_e32 v11, v3, v8
	v_add_f32_e32 v2, v12, v10
	v_add_f32_e32 v3, v13, v11
	ds_read_b128 v[10:13], v56 offset:4208
	s_waitcnt lgkmcnt(0)
	v_mul_f32_e32 v20, v11, v7
	v_mul_f32_e32 v7, v10, v7
	v_fmac_f32_e32 v7, v11, v6
	v_fma_f32 v20, v10, v6, -v20
	v_add_f32_e32 v15, v15, v7
	v_mul_f32_e32 v6, v11, v9
	v_mul_f32_e32 v7, v10, v9
	v_fma_f32 v6, v10, v8, -v6
	v_fmac_f32_e32 v7, v11, v8
	v_add_f32_e32 v10, v16, v6
	v_add_f32_e32 v11, v17, v7
	ds_read2_b64 v[6:9], v0 offset0:224 offset1:240
	v_add_f32_e32 v14, v14, v20
	s_waitcnt lgkmcnt(0)
	v_mul_f32_e32 v0, v5, v7
	v_fma_f32 v0, v4, v6, -v0
	v_add_f32_e32 v17, v18, v0
	v_mul_f32_e32 v0, v5, v9
	v_fma_f32 v0, v4, v8, -v0
	v_add_f32_e32 v18, v2, v0
	v_mul_f32_e32 v0, v13, v7
	v_fma_f32 v0, v12, v6, -v0
	v_mul_f32_e32 v2, v12, v7
	v_fmac_f32_e32 v2, v13, v6
	v_add_f32_e32 v20, v14, v0
	v_mul_f32_e32 v0, v13, v9
	v_mul_f32_e32 v16, v4, v7
	;; [unrolled: 1-line block ×3, first 2 shown]
	v_add_f32_e32 v21, v15, v2
	v_fma_f32 v0, v12, v8, -v0
	v_mul_f32_e32 v2, v12, v9
	v_fmac_f32_e32 v16, v5, v6
	v_fmac_f32_e32 v4, v5, v8
	;; [unrolled: 1-line block ×3, first 2 shown]
	v_add_f32_e32 v10, v10, v0
	v_add_u32_e32 v0, 0x1000, v58
	v_add_f32_e32 v16, v19, v16
	v_add_f32_e32 v19, v3, v4
	;; [unrolled: 1-line block ×3, first 2 shown]
	ds_read_b128 v[2:5], v56 offset:128
	ds_read2_b64 v[6:9], v0 offset1:16
	s_waitcnt lgkmcnt(0)
	v_mul_f32_e32 v12, v3, v7
	v_mul_f32_e32 v13, v2, v7
	;; [unrolled: 1-line block ×3, first 2 shown]
	v_fma_f32 v12, v2, v6, -v12
	v_fmac_f32_e32 v13, v3, v6
	v_fma_f32 v14, v2, v8, -v14
	v_mul_f32_e32 v2, v2, v9
	v_add_f32_e32 v12, v17, v12
	v_add_f32_e32 v13, v16, v13
	v_fmac_f32_e32 v2, v3, v8
	v_add_f32_e32 v3, v18, v14
	ds_read_b128 v[14:17], v56 offset:4224
	v_add_f32_e32 v2, v19, v2
	s_waitcnt lgkmcnt(0)
	v_mul_f32_e32 v18, v15, v7
	v_mul_f32_e32 v7, v14, v7
	v_fmac_f32_e32 v7, v15, v6
	v_fma_f32 v18, v14, v6, -v18
	v_add_f32_e32 v19, v21, v7
	v_mul_f32_e32 v6, v15, v9
	v_mul_f32_e32 v7, v14, v9
	v_fma_f32 v6, v14, v8, -v6
	v_fmac_f32_e32 v7, v15, v8
	v_add_f32_e32 v18, v20, v18
	v_add_f32_e32 v20, v10, v6
	;; [unrolled: 1-line block ×3, first 2 shown]
	ds_read2_b64 v[6:9], v0 offset0:32 offset1:48
	s_waitcnt lgkmcnt(0)
	v_mul_f32_e32 v10, v5, v7
	v_fma_f32 v10, v4, v6, -v10
	v_add_f32_e32 v10, v12, v10
	v_mul_f32_e32 v12, v5, v9
	v_mul_f32_e32 v11, v4, v7
	v_fma_f32 v12, v4, v8, -v12
	v_mul_f32_e32 v4, v4, v9
	v_fmac_f32_e32 v11, v5, v6
	v_fmac_f32_e32 v4, v5, v8
	v_add_f32_e32 v11, v13, v11
	v_add_f32_e32 v12, v3, v12
	;; [unrolled: 1-line block ×3, first 2 shown]
	v_mul_f32_e32 v2, v17, v7
	v_mul_f32_e32 v3, v16, v7
	v_fma_f32 v2, v16, v6, -v2
	v_fmac_f32_e32 v3, v17, v6
	v_add_f32_e32 v14, v18, v2
	v_add_f32_e32 v15, v19, v3
	v_mul_f32_e32 v2, v17, v9
	v_mul_f32_e32 v3, v16, v9
	v_fma_f32 v2, v16, v8, -v2
	v_fmac_f32_e32 v3, v17, v8
	v_add_f32_e32 v16, v20, v2
	v_add_f32_e32 v17, v21, v3
	ds_read_b128 v[2:5], v56 offset:144
	ds_read2_b64 v[6:9], v0 offset0:64 offset1:80
	s_waitcnt lgkmcnt(0)
	v_mul_f32_e32 v18, v3, v7
	v_mul_f32_e32 v19, v2, v7
	v_fma_f32 v18, v2, v6, -v18
	v_fmac_f32_e32 v19, v3, v6
	v_add_f32_e32 v18, v10, v18
	v_add_f32_e32 v19, v11, v19
	v_mul_f32_e32 v10, v3, v9
	v_mul_f32_e32 v11, v2, v9
	v_fma_f32 v10, v2, v8, -v10
	v_fmac_f32_e32 v11, v3, v8
	v_add_f32_e32 v2, v12, v10
	v_add_f32_e32 v3, v13, v11
	ds_read_b128 v[10:13], v56 offset:4240
	s_waitcnt lgkmcnt(0)
	v_mul_f32_e32 v20, v11, v7
	v_mul_f32_e32 v7, v10, v7
	v_fmac_f32_e32 v7, v11, v6
	v_fma_f32 v20, v10, v6, -v20
	v_add_f32_e32 v15, v15, v7
	v_mul_f32_e32 v6, v11, v9
	v_mul_f32_e32 v7, v10, v9
	v_fma_f32 v6, v10, v8, -v6
	v_fmac_f32_e32 v7, v11, v8
	v_add_f32_e32 v10, v16, v6
	v_add_f32_e32 v11, v17, v7
	ds_read2_b64 v[6:9], v0 offset0:96 offset1:112
	v_add_f32_e32 v14, v14, v20
	s_waitcnt lgkmcnt(0)
	v_mul_f32_e32 v16, v5, v7
	v_fma_f32 v16, v4, v6, -v16
	v_add_f32_e32 v16, v18, v16
	v_mul_f32_e32 v18, v5, v9
	v_mul_f32_e32 v17, v4, v7
	v_fma_f32 v18, v4, v8, -v18
	v_mul_f32_e32 v4, v4, v9
	v_fmac_f32_e32 v17, v5, v6
	v_fmac_f32_e32 v4, v5, v8
	v_add_f32_e32 v17, v19, v17
	v_add_f32_e32 v18, v2, v18
	;; [unrolled: 1-line block ×3, first 2 shown]
	v_mul_f32_e32 v2, v13, v7
	v_mul_f32_e32 v3, v12, v7
	v_fma_f32 v2, v12, v6, -v2
	v_fmac_f32_e32 v3, v13, v6
	v_add_f32_e32 v20, v14, v2
	v_add_f32_e32 v21, v15, v3
	v_mul_f32_e32 v2, v13, v9
	v_mul_f32_e32 v3, v12, v9
	v_fma_f32 v2, v12, v8, -v2
	v_fmac_f32_e32 v3, v13, v8
	v_add_f32_e32 v10, v10, v2
	v_add_f32_e32 v11, v11, v3
	ds_read_b128 v[2:5], v56 offset:160
	ds_read2_b64 v[6:9], v0 offset0:128 offset1:144
	s_waitcnt lgkmcnt(0)
	v_mul_f32_e32 v12, v3, v7
	v_mul_f32_e32 v13, v2, v7
	;; [unrolled: 1-line block ×3, first 2 shown]
	v_fma_f32 v12, v2, v6, -v12
	v_fmac_f32_e32 v13, v3, v6
	v_fma_f32 v14, v2, v8, -v14
	v_mul_f32_e32 v2, v2, v9
	v_add_f32_e32 v12, v16, v12
	v_add_f32_e32 v13, v17, v13
	v_fmac_f32_e32 v2, v3, v8
	v_add_f32_e32 v3, v18, v14
	ds_read_b128 v[14:17], v56 offset:4256
	v_add_f32_e32 v2, v19, v2
	s_waitcnt lgkmcnt(0)
	v_mul_f32_e32 v18, v15, v7
	v_mul_f32_e32 v7, v14, v7
	v_fmac_f32_e32 v7, v15, v6
	v_fma_f32 v18, v14, v6, -v18
	v_add_f32_e32 v19, v21, v7
	v_mul_f32_e32 v6, v15, v9
	v_mul_f32_e32 v7, v14, v9
	v_fma_f32 v6, v14, v8, -v6
	v_fmac_f32_e32 v7, v15, v8
	v_add_f32_e32 v18, v20, v18
	v_add_f32_e32 v20, v10, v6
	;; [unrolled: 1-line block ×3, first 2 shown]
	ds_read2_b64 v[6:9], v0 offset0:160 offset1:176
	s_waitcnt lgkmcnt(0)
	v_mul_f32_e32 v10, v5, v7
	v_fma_f32 v10, v4, v6, -v10
	v_add_f32_e32 v10, v12, v10
	v_mul_f32_e32 v12, v5, v9
	v_mul_f32_e32 v11, v4, v7
	v_fma_f32 v12, v4, v8, -v12
	v_mul_f32_e32 v4, v4, v9
	v_fmac_f32_e32 v11, v5, v6
	v_fmac_f32_e32 v4, v5, v8
	v_add_f32_e32 v11, v13, v11
	v_add_f32_e32 v12, v3, v12
	;; [unrolled: 1-line block ×3, first 2 shown]
	v_mul_f32_e32 v2, v17, v7
	v_mul_f32_e32 v3, v16, v7
	v_fma_f32 v2, v16, v6, -v2
	v_fmac_f32_e32 v3, v17, v6
	v_add_f32_e32 v14, v18, v2
	v_add_f32_e32 v15, v19, v3
	v_mul_f32_e32 v2, v17, v9
	v_mul_f32_e32 v3, v16, v9
	v_fma_f32 v2, v16, v8, -v2
	v_fmac_f32_e32 v3, v17, v8
	v_add_f32_e32 v16, v20, v2
	v_add_f32_e32 v17, v21, v3
	ds_read_b128 v[2:5], v56 offset:176
	ds_read2_b64 v[6:9], v0 offset0:192 offset1:208
	s_waitcnt lgkmcnt(0)
	v_mul_f32_e32 v18, v3, v7
	v_mul_f32_e32 v19, v2, v7
	v_fma_f32 v18, v2, v6, -v18
	v_fmac_f32_e32 v19, v3, v6
	v_add_f32_e32 v18, v10, v18
	v_add_f32_e32 v19, v11, v19
	v_mul_f32_e32 v10, v3, v9
	v_mul_f32_e32 v11, v2, v9
	v_fma_f32 v10, v2, v8, -v10
	v_fmac_f32_e32 v11, v3, v8
	v_add_f32_e32 v2, v12, v10
	v_add_f32_e32 v3, v13, v11
	ds_read_b128 v[10:13], v56 offset:4272
	s_waitcnt lgkmcnt(0)
	v_mul_f32_e32 v20, v11, v7
	v_mul_f32_e32 v7, v10, v7
	v_fmac_f32_e32 v7, v11, v6
	v_fma_f32 v20, v10, v6, -v20
	v_add_f32_e32 v15, v15, v7
	v_mul_f32_e32 v6, v11, v9
	v_mul_f32_e32 v7, v10, v9
	v_fma_f32 v6, v10, v8, -v6
	v_fmac_f32_e32 v7, v11, v8
	v_add_f32_e32 v10, v16, v6
	v_add_f32_e32 v11, v17, v7
	ds_read2_b64 v[6:9], v0 offset0:224 offset1:240
	v_add_f32_e32 v14, v14, v20
	s_waitcnt lgkmcnt(0)
	v_mul_f32_e32 v0, v5, v7
	v_fma_f32 v0, v4, v6, -v0
	v_add_f32_e32 v17, v18, v0
	v_mul_f32_e32 v0, v5, v9
	v_fma_f32 v0, v4, v8, -v0
	v_add_f32_e32 v18, v2, v0
	v_mul_f32_e32 v0, v13, v7
	v_fma_f32 v0, v12, v6, -v0
	v_mul_f32_e32 v2, v12, v7
	v_fmac_f32_e32 v2, v13, v6
	v_add_f32_e32 v20, v14, v0
	v_mul_f32_e32 v0, v13, v9
	v_mul_f32_e32 v16, v4, v7
	;; [unrolled: 1-line block ×3, first 2 shown]
	v_add_f32_e32 v21, v15, v2
	v_fma_f32 v0, v12, v8, -v0
	v_mul_f32_e32 v2, v12, v9
	v_fmac_f32_e32 v16, v5, v6
	v_fmac_f32_e32 v4, v5, v8
	v_fmac_f32_e32 v2, v13, v8
	v_add_f32_e32 v10, v10, v0
	v_add_u32_e32 v0, 0x1800, v58
	v_add_f32_e32 v16, v19, v16
	v_add_f32_e32 v19, v3, v4
	;; [unrolled: 1-line block ×3, first 2 shown]
	ds_read_b128 v[2:5], v56 offset:192
	ds_read2_b64 v[6:9], v0 offset1:16
	s_waitcnt lgkmcnt(0)
	v_mul_f32_e32 v12, v3, v7
	v_mul_f32_e32 v13, v2, v7
	;; [unrolled: 1-line block ×3, first 2 shown]
	v_fma_f32 v12, v2, v6, -v12
	v_fmac_f32_e32 v13, v3, v6
	v_fma_f32 v14, v2, v8, -v14
	v_mul_f32_e32 v2, v2, v9
	v_add_f32_e32 v12, v17, v12
	v_add_f32_e32 v13, v16, v13
	v_fmac_f32_e32 v2, v3, v8
	v_add_f32_e32 v3, v18, v14
	ds_read_b128 v[14:17], v56 offset:4288
	v_add_f32_e32 v2, v19, v2
	s_waitcnt lgkmcnt(0)
	v_mul_f32_e32 v18, v15, v7
	v_mul_f32_e32 v7, v14, v7
	v_fmac_f32_e32 v7, v15, v6
	v_fma_f32 v18, v14, v6, -v18
	v_add_f32_e32 v19, v21, v7
	v_mul_f32_e32 v6, v15, v9
	v_mul_f32_e32 v7, v14, v9
	v_fma_f32 v6, v14, v8, -v6
	v_fmac_f32_e32 v7, v15, v8
	v_add_f32_e32 v18, v20, v18
	v_add_f32_e32 v20, v10, v6
	;; [unrolled: 1-line block ×3, first 2 shown]
	ds_read2_b64 v[6:9], v0 offset0:32 offset1:48
	s_waitcnt lgkmcnt(0)
	v_mul_f32_e32 v10, v5, v7
	v_fma_f32 v10, v4, v6, -v10
	v_add_f32_e32 v10, v12, v10
	v_mul_f32_e32 v12, v5, v9
	v_mul_f32_e32 v11, v4, v7
	v_fma_f32 v12, v4, v8, -v12
	v_mul_f32_e32 v4, v4, v9
	v_fmac_f32_e32 v11, v5, v6
	v_fmac_f32_e32 v4, v5, v8
	v_add_f32_e32 v11, v13, v11
	v_add_f32_e32 v12, v3, v12
	;; [unrolled: 1-line block ×3, first 2 shown]
	v_mul_f32_e32 v2, v17, v7
	v_mul_f32_e32 v3, v16, v7
	v_fma_f32 v2, v16, v6, -v2
	v_fmac_f32_e32 v3, v17, v6
	v_add_f32_e32 v14, v18, v2
	v_add_f32_e32 v15, v19, v3
	v_mul_f32_e32 v2, v17, v9
	v_mul_f32_e32 v3, v16, v9
	v_fma_f32 v2, v16, v8, -v2
	v_fmac_f32_e32 v3, v17, v8
	v_add_f32_e32 v16, v20, v2
	v_add_f32_e32 v17, v21, v3
	ds_read_b128 v[2:5], v56 offset:208
	ds_read2_b64 v[6:9], v0 offset0:64 offset1:80
	s_waitcnt lgkmcnt(0)
	v_mul_f32_e32 v18, v3, v7
	v_mul_f32_e32 v19, v2, v7
	v_fma_f32 v18, v2, v6, -v18
	v_fmac_f32_e32 v19, v3, v6
	v_add_f32_e32 v18, v10, v18
	v_add_f32_e32 v19, v11, v19
	v_mul_f32_e32 v10, v3, v9
	v_mul_f32_e32 v11, v2, v9
	v_fma_f32 v10, v2, v8, -v10
	v_fmac_f32_e32 v11, v3, v8
	v_add_f32_e32 v2, v12, v10
	v_add_f32_e32 v3, v13, v11
	ds_read_b128 v[10:13], v56 offset:4304
	s_waitcnt lgkmcnt(0)
	v_mul_f32_e32 v20, v11, v7
	v_mul_f32_e32 v7, v10, v7
	v_fmac_f32_e32 v7, v11, v6
	v_fma_f32 v20, v10, v6, -v20
	v_add_f32_e32 v15, v15, v7
	v_mul_f32_e32 v6, v11, v9
	v_mul_f32_e32 v7, v10, v9
	v_fma_f32 v6, v10, v8, -v6
	v_fmac_f32_e32 v7, v11, v8
	v_add_f32_e32 v10, v16, v6
	v_add_f32_e32 v11, v17, v7
	ds_read2_b64 v[6:9], v0 offset0:96 offset1:112
	v_add_f32_e32 v14, v14, v20
	s_waitcnt lgkmcnt(0)
	v_mul_f32_e32 v16, v5, v7
	v_fma_f32 v16, v4, v6, -v16
	v_add_f32_e32 v16, v18, v16
	v_mul_f32_e32 v18, v5, v9
	v_mul_f32_e32 v17, v4, v7
	v_fma_f32 v18, v4, v8, -v18
	v_mul_f32_e32 v4, v4, v9
	v_fmac_f32_e32 v17, v5, v6
	v_fmac_f32_e32 v4, v5, v8
	v_add_f32_e32 v17, v19, v17
	v_add_f32_e32 v18, v2, v18
	;; [unrolled: 1-line block ×3, first 2 shown]
	v_mul_f32_e32 v2, v13, v7
	v_mul_f32_e32 v3, v12, v7
	v_fma_f32 v2, v12, v6, -v2
	v_fmac_f32_e32 v3, v13, v6
	v_add_f32_e32 v20, v14, v2
	v_add_f32_e32 v21, v15, v3
	v_mul_f32_e32 v2, v13, v9
	v_mul_f32_e32 v3, v12, v9
	v_fma_f32 v2, v12, v8, -v2
	v_fmac_f32_e32 v3, v13, v8
	v_add_f32_e32 v10, v10, v2
	v_add_f32_e32 v11, v11, v3
	ds_read_b128 v[2:5], v56 offset:224
	ds_read2_b64 v[6:9], v0 offset0:128 offset1:144
	s_waitcnt lgkmcnt(0)
	v_mul_f32_e32 v12, v3, v7
	v_mul_f32_e32 v13, v2, v7
	;; [unrolled: 1-line block ×3, first 2 shown]
	v_fma_f32 v12, v2, v6, -v12
	v_fmac_f32_e32 v13, v3, v6
	v_fma_f32 v14, v2, v8, -v14
	v_mul_f32_e32 v2, v2, v9
	v_add_f32_e32 v12, v16, v12
	v_add_f32_e32 v13, v17, v13
	v_fmac_f32_e32 v2, v3, v8
	v_add_f32_e32 v3, v18, v14
	ds_read_b128 v[14:17], v56 offset:4320
	v_add_f32_e32 v2, v19, v2
	s_waitcnt lgkmcnt(0)
	v_mul_f32_e32 v18, v15, v7
	v_mul_f32_e32 v7, v14, v7
	v_fmac_f32_e32 v7, v15, v6
	v_fma_f32 v18, v14, v6, -v18
	v_add_f32_e32 v19, v21, v7
	v_mul_f32_e32 v6, v15, v9
	v_mul_f32_e32 v7, v14, v9
	v_fma_f32 v6, v14, v8, -v6
	v_fmac_f32_e32 v7, v15, v8
	v_add_f32_e32 v18, v20, v18
	v_add_f32_e32 v20, v10, v6
	;; [unrolled: 1-line block ×3, first 2 shown]
	ds_read2_b64 v[6:9], v0 offset0:160 offset1:176
	s_waitcnt lgkmcnt(0)
	v_mul_f32_e32 v10, v5, v7
	v_fma_f32 v10, v4, v6, -v10
	v_add_f32_e32 v10, v12, v10
	v_mul_f32_e32 v12, v5, v9
	v_mul_f32_e32 v11, v4, v7
	v_fma_f32 v12, v4, v8, -v12
	v_mul_f32_e32 v4, v4, v9
	v_fmac_f32_e32 v11, v5, v6
	v_fmac_f32_e32 v4, v5, v8
	v_add_f32_e32 v11, v13, v11
	v_add_f32_e32 v12, v3, v12
	;; [unrolled: 1-line block ×3, first 2 shown]
	v_mul_f32_e32 v2, v17, v7
	v_mul_f32_e32 v3, v16, v7
	v_fma_f32 v2, v16, v6, -v2
	v_fmac_f32_e32 v3, v17, v6
	v_add_f32_e32 v14, v18, v2
	v_add_f32_e32 v15, v19, v3
	v_mul_f32_e32 v2, v17, v9
	v_mul_f32_e32 v3, v16, v9
	v_fma_f32 v2, v16, v8, -v2
	v_fmac_f32_e32 v3, v17, v8
	v_add_f32_e32 v16, v20, v2
	v_add_f32_e32 v17, v21, v3
	ds_read_b128 v[2:5], v56 offset:240
	ds_read2_b64 v[6:9], v0 offset0:192 offset1:208
	s_waitcnt lgkmcnt(0)
	v_mul_f32_e32 v18, v3, v7
	v_mul_f32_e32 v19, v2, v7
	v_fma_f32 v18, v2, v6, -v18
	v_fmac_f32_e32 v19, v3, v6
	v_add_f32_e32 v18, v10, v18
	v_add_f32_e32 v20, v11, v19
	v_mul_f32_e32 v10, v3, v9
	v_mul_f32_e32 v11, v2, v9
	v_fma_f32 v10, v2, v8, -v10
	v_fmac_f32_e32 v11, v3, v8
	v_add_f32_e32 v2, v12, v10
	v_add_f32_e32 v3, v13, v11
	ds_read_b128 v[10:13], v56 offset:4336
	s_waitcnt lgkmcnt(0)
	v_mul_f32_e32 v19, v11, v7
	v_mul_f32_e32 v7, v10, v7
	v_fmac_f32_e32 v7, v11, v6
	v_fma_f32 v19, v10, v6, -v19
	v_add_f32_e32 v21, v15, v7
	v_mul_f32_e32 v6, v11, v9
	v_mul_f32_e32 v7, v10, v9
	v_fma_f32 v6, v10, v8, -v6
	v_fmac_f32_e32 v7, v11, v8
	v_add_f32_e32 v10, v16, v6
	v_add_f32_e32 v11, v17, v7
	ds_read2_b64 v[6:9], v0 offset0:224 offset1:240
	v_add_f32_e32 v14, v14, v19
	s_waitcnt lgkmcnt(0)
	s_barrier
	v_mul_f32_e32 v0, v5, v7
	v_fma_f32 v0, v4, v6, -v0
	v_add_f32_e32 v19, v18, v0
	v_mul_f32_e32 v0, v5, v9
	v_fma_f32 v0, v4, v8, -v0
	v_mul_f32_e32 v15, v4, v7
	v_add_f32_e32 v17, v2, v0
	v_mul_f32_e32 v0, v13, v7
	v_mul_f32_e32 v2, v12, v7
	v_fmac_f32_e32 v15, v5, v6
	v_fma_f32 v0, v12, v6, -v0
	v_fmac_f32_e32 v2, v13, v6
	v_add_f32_e32 v20, v20, v15
	v_add_f32_e32 v15, v14, v0
	;; [unrolled: 1-line block ×3, first 2 shown]
	v_mul_f32_e32 v0, v13, v9
	v_mul_f32_e32 v2, v12, v9
	v_fma_f32 v0, v12, v8, -v0
	v_fmac_f32_e32 v2, v13, v8
	v_add_f32_e32 v14, v10, v0
	v_add_f32_e32 v0, v11, v2
	v_mov_b32_e32 v2, s43
	v_addc_co_u32_e64 v41, s[10:11], v41, v2, s[10:11]
	v_add_co_u32_e64 v42, s[10:11], s42, v42
	v_mul_f32_e32 v4, v4, v9
	v_addc_co_u32_e64 v43, s[10:11], v43, v2, s[10:11]
	v_fmac_f32_e32 v4, v5, v8
	v_add_co_u32_e64 v54, s[10:11], s50, v54
	v_mov_b32_e32 v2, s51
	v_add_f32_e32 v18, v3, v4
	v_addc_co_u32_e64 v55, s[10:11], v55, v2, s[10:11]
	s_cbranch_scc1 .LBB94_56
.LBB94_7:                               ;   Parent Loop BB94_4 Depth=1
                                        ; =>  This Inner Loop Header: Depth=2
	v_mov_b32_e32 v2, s31
	v_add_co_u32_e64 v4, s[10:11], s30, v24
	v_addc_co_u32_e64 v5, s[10:11], v25, v2, s[10:11]
	v_cmp_eq_u64_e64 s[10:11], s[30:31], v[36:37]
	v_add_co_u32_e64 v2, s[12:13], v42, v38
	v_addc_co_u32_e64 v3, s[12:13], v43, v39, s[12:13]
	s_and_b64 s[56:57], s[40:41], s[10:11]
	v_cmp_lt_i64_e64 s[10:11], v[4:5], v[34:35]
	v_cmp_le_i64_e64 s[12:13], s[46:47], v[4:5]
	s_or_b64 s[14:15], vcc, s[10:11]
	s_or_b64 s[14:15], s[12:13], s[14:15]
	s_nor_b64 s[14:15], s[14:15], s[56:57]
	s_and_saveexec_b64 s[18:19], s[14:15]
	s_xor_b64 s[14:15], exec, s[18:19]
	s_cbranch_execz .LBB94_9
; %bb.8:                                ;   in Loop: Header=BB94_7 Depth=2
	global_load_dwordx2 v[6:7], v[2:3], off
	s_waitcnt vmcnt(0)
	v_xor_b32_e32 v7, 0x80000000, v7
	ds_write_b64 v57, v[6:7]
.LBB94_9:                               ;   in Loop: Header=BB94_7 Depth=2
	s_or_saveexec_b64 s[14:15], s[14:15]
	s_xor_b64 s[38:39], s[56:57], -1
	s_xor_b64 exec, exec, s[14:15]
	s_cbranch_execz .LBB94_15
; %bb.10:                               ;   in Loop: Header=BB94_7 Depth=2
	s_and_saveexec_b64 s[18:19], s[38:39]
	s_xor_b64 s[18:19], exec, s[18:19]
; %bb.11:                               ;   in Loop: Header=BB94_7 Depth=2
	v_mov_b32_e32 v6, v33
	v_mov_b32_e32 v7, v33
	ds_write_b64 v57, v[6:7]
; %bb.12:                               ;   in Loop: Header=BB94_7 Depth=2
	s_andn2_saveexec_b64 s[18:19], s[18:19]
; %bb.13:                               ;   in Loop: Header=BB94_7 Depth=2
	ds_write_b64 v57, v[32:33]
; %bb.14:                               ;   in Loop: Header=BB94_7 Depth=2
	s_or_b64 exec, exec, s[18:19]
.LBB94_15:                              ;   in Loop: Header=BB94_7 Depth=2
	s_or_b64 exec, exec, s[14:15]
	v_add_co_u32_e64 v6, s[18:19], 16, v4
	v_cmp_eq_u64_e64 s[14:15], s[30:31], v[52:53]
	v_addc_co_u32_e64 v7, s[18:19], 0, v5, s[18:19]
	v_cmp_lt_i64_e64 s[18:19], v[6:7], v[34:35]
	s_and_b64 s[20:21], s[40:41], s[14:15]
	v_cmp_le_i64_e64 s[14:15], s[46:47], v[6:7]
	s_or_b64 s[18:19], vcc, s[18:19]
	s_or_b64 s[18:19], s[14:15], s[18:19]
	s_nor_b64 s[18:19], s[18:19], s[20:21]
	s_and_saveexec_b64 s[58:59], s[18:19]
	s_xor_b64 s[58:59], exec, s[58:59]
	s_cbranch_execz .LBB94_17
; %bb.16:                               ;   in Loop: Header=BB94_7 Depth=2
	v_add_co_u32_e64 v6, s[18:19], v40, v38
	v_addc_co_u32_e64 v7, s[18:19], v41, v39, s[18:19]
	global_load_dwordx2 v[6:7], v[6:7], off
	s_waitcnt vmcnt(0)
	v_xor_b32_e32 v7, 0x80000000, v7
	ds_write_b64 v57, v[6:7] offset:128
.LBB94_17:                              ;   in Loop: Header=BB94_7 Depth=2
	s_andn2_saveexec_b64 s[18:19], s[58:59]
	s_cbranch_execz .LBB94_23
; %bb.18:                               ;   in Loop: Header=BB94_7 Depth=2
	s_xor_b64 s[20:21], s[20:21], -1
	s_and_saveexec_b64 s[58:59], s[20:21]
	s_xor_b64 s[20:21], exec, s[58:59]
; %bb.19:                               ;   in Loop: Header=BB94_7 Depth=2
	v_mov_b32_e32 v6, v33
	v_mov_b32_e32 v7, v33
	ds_write_b64 v57, v[6:7] offset:128
; %bb.20:                               ;   in Loop: Header=BB94_7 Depth=2
	s_andn2_saveexec_b64 s[20:21], s[20:21]
; %bb.21:                               ;   in Loop: Header=BB94_7 Depth=2
	ds_write_b64 v57, v[32:33] offset:128
; %bb.22:                               ;   in Loop: Header=BB94_7 Depth=2
	s_or_b64 exec, exec, s[20:21]
.LBB94_23:                              ;   in Loop: Header=BB94_7 Depth=2
	s_or_b64 exec, exec, s[18:19]
	buffer_load_dword v6, off, s[68:71], 0  ; 4-byte Folded Reload
	buffer_load_dword v7, off, s[68:71], 0 offset:4 ; 4-byte Folded Reload
	v_cmp_lt_i64_e64 s[20:21], v[4:5], v[48:49]
	s_or_b64 s[20:21], s[8:9], s[20:21]
	s_waitcnt vmcnt(0)
	v_cmp_eq_u64_e64 s[18:19], s[30:31], v[6:7]
	s_and_b64 s[18:19], s[40:41], s[18:19]
	s_or_b64 s[20:21], s[20:21], s[18:19]
	s_nor_b64 s[12:13], s[12:13], s[20:21]
	s_and_saveexec_b64 s[20:21], s[12:13]
	s_xor_b64 s[12:13], exec, s[20:21]
	s_cbranch_execz .LBB94_25
; %bb.24:                               ;   in Loop: Header=BB94_7 Depth=2
	global_load_dwordx2 v[2:3], v[2:3], off offset:128
	s_waitcnt vmcnt(0)
	v_xor_b32_e32 v3, 0x80000000, v3
	ds_write_b64 v57, v[2:3] offset:4096
.LBB94_25:                              ;   in Loop: Header=BB94_7 Depth=2
	s_andn2_saveexec_b64 s[12:13], s[12:13]
	s_cbranch_execz .LBB94_31
; %bb.26:                               ;   in Loop: Header=BB94_7 Depth=2
	s_xor_b64 s[18:19], s[18:19], -1
	s_and_saveexec_b64 s[20:21], s[18:19]
	s_xor_b64 s[18:19], exec, s[20:21]
; %bb.27:                               ;   in Loop: Header=BB94_7 Depth=2
	v_mov_b32_e32 v2, v33
	v_mov_b32_e32 v3, v33
	ds_write_b64 v57, v[2:3] offset:4096
; %bb.28:                               ;   in Loop: Header=BB94_7 Depth=2
	s_andn2_saveexec_b64 s[18:19], s[18:19]
; %bb.29:                               ;   in Loop: Header=BB94_7 Depth=2
	ds_write_b64 v57, v[32:33] offset:4096
; %bb.30:                               ;   in Loop: Header=BB94_7 Depth=2
	s_or_b64 exec, exec, s[18:19]
.LBB94_31:                              ;   in Loop: Header=BB94_7 Depth=2
	s_or_b64 exec, exec, s[12:13]
	s_or_b64 s[10:11], s[8:9], s[10:11]
	s_or_b64 s[10:11], s[14:15], s[10:11]
	s_nor_b64 s[10:11], s[10:11], s[56:57]
	s_and_saveexec_b64 s[12:13], s[10:11]
	s_xor_b64 s[12:13], exec, s[12:13]
	s_cbranch_execz .LBB94_33
; %bb.32:                               ;   in Loop: Header=BB94_7 Depth=2
	v_add_co_u32_e64 v2, s[10:11], v40, v38
	v_addc_co_u32_e64 v3, s[10:11], v41, v39, s[10:11]
	global_load_dwordx2 v[2:3], v[2:3], off offset:128
	s_waitcnt vmcnt(0)
	v_xor_b32_e32 v3, 0x80000000, v3
	ds_write_b64 v57, v[2:3] offset:4224
.LBB94_33:                              ;   in Loop: Header=BB94_7 Depth=2
	s_andn2_saveexec_b64 s[10:11], s[12:13]
	s_cbranch_execz .LBB94_39
; %bb.34:                               ;   in Loop: Header=BB94_7 Depth=2
	s_and_saveexec_b64 s[12:13], s[38:39]
	s_xor_b64 s[12:13], exec, s[12:13]
; %bb.35:                               ;   in Loop: Header=BB94_7 Depth=2
	v_mov_b32_e32 v2, v33
	v_mov_b32_e32 v3, v33
	ds_write_b64 v57, v[2:3] offset:4224
; %bb.36:                               ;   in Loop: Header=BB94_7 Depth=2
	s_andn2_saveexec_b64 s[12:13], s[12:13]
; %bb.37:                               ;   in Loop: Header=BB94_7 Depth=2
	ds_write_b64 v57, v[32:33] offset:4224
; %bb.38:                               ;   in Loop: Header=BB94_7 Depth=2
	s_or_b64 exec, exec, s[12:13]
.LBB94_39:                              ;   in Loop: Header=BB94_7 Depth=2
	s_or_b64 exec, exec, s[10:11]
	v_mov_b32_e32 v3, s31
	v_add_co_u32_e64 v2, s[10:11], s30, v26
	v_addc_co_u32_e64 v3, s[10:11], v27, v3, s[10:11]
	v_cmp_le_i64_e64 s[10:11], s[46:47], v[2:3]
	v_add_co_u32_e64 v4, s[12:13], v44, v54
	v_addc_co_u32_e64 v5, s[12:13], v45, v55, s[12:13]
	s_nor_b64 s[12:13], s[10:11], s[0:1]
	s_and_saveexec_b64 s[14:15], s[12:13]
	s_xor_b64 s[12:13], exec, s[14:15]
	s_cbranch_execz .LBB94_41
; %bb.40:                               ;   in Loop: Header=BB94_7 Depth=2
	global_load_dwordx2 v[6:7], v[4:5], off offset:-128
	s_waitcnt vmcnt(0)
	ds_write_b64 v59, v[6:7]
.LBB94_41:                              ;   in Loop: Header=BB94_7 Depth=2
	s_andn2_saveexec_b64 s[12:13], s[12:13]
; %bb.42:                               ;   in Loop: Header=BB94_7 Depth=2
	v_mov_b32_e32 v6, v33
	v_mov_b32_e32 v7, v33
	ds_write_b64 v59, v[6:7]
; %bb.43:                               ;   in Loop: Header=BB94_7 Depth=2
	s_or_b64 exec, exec, s[12:13]
	s_nor_b64 s[10:11], s[10:11], s[2:3]
	s_and_saveexec_b64 s[12:13], s[10:11]
	s_xor_b64 s[10:11], exec, s[12:13]
	s_cbranch_execz .LBB94_45
; %bb.44:                               ;   in Loop: Header=BB94_7 Depth=2
	global_load_dwordx2 v[4:5], v[4:5], off
	s_waitcnt vmcnt(0)
	ds_write_b64 v59, v[4:5] offset:128
.LBB94_45:                              ;   in Loop: Header=BB94_7 Depth=2
	s_andn2_saveexec_b64 s[10:11], s[10:11]
; %bb.46:                               ;   in Loop: Header=BB94_7 Depth=2
	v_mov_b32_e32 v4, v33
	v_mov_b32_e32 v5, v33
	ds_write_b64 v59, v[4:5] offset:128
; %bb.47:                               ;   in Loop: Header=BB94_7 Depth=2
	s_or_b64 exec, exec, s[10:11]
	v_cmp_le_i64_e64 s[10:11], s[52:53], v[2:3]
	v_add_co_u32_e64 v2, s[12:13], v46, v54
	v_addc_co_u32_e64 v3, s[12:13], v47, v55, s[12:13]
	s_nor_b64 s[12:13], s[10:11], s[0:1]
	s_and_saveexec_b64 s[14:15], s[12:13]
	s_xor_b64 s[12:13], exec, s[14:15]
	s_cbranch_execz .LBB94_49
; %bb.48:                               ;   in Loop: Header=BB94_7 Depth=2
	global_load_dwordx2 v[4:5], v[2:3], off
	s_waitcnt vmcnt(0)
	ds_write_b64 v59, v[4:5] offset:4096
.LBB94_49:                              ;   in Loop: Header=BB94_7 Depth=2
	s_andn2_saveexec_b64 s[12:13], s[12:13]
; %bb.50:                               ;   in Loop: Header=BB94_7 Depth=2
	v_mov_b32_e32 v4, v33
	v_mov_b32_e32 v5, v33
	ds_write_b64 v59, v[4:5] offset:4096
; %bb.51:                               ;   in Loop: Header=BB94_7 Depth=2
	s_or_b64 exec, exec, s[12:13]
	s_nor_b64 s[10:11], s[10:11], s[2:3]
	s_and_saveexec_b64 s[12:13], s[10:11]
	s_xor_b64 s[10:11], exec, s[12:13]
	s_cbranch_execz .LBB94_53
; %bb.52:                               ;   in Loop: Header=BB94_7 Depth=2
	global_load_dwordx2 v[2:3], v[2:3], off offset:128
	s_waitcnt vmcnt(0)
	ds_write_b64 v59, v[2:3] offset:4224
.LBB94_53:                              ;   in Loop: Header=BB94_7 Depth=2
	s_andn2_saveexec_b64 s[10:11], s[10:11]
	s_cbranch_execz .LBB94_6
; %bb.54:                               ;   in Loop: Header=BB94_7 Depth=2
	v_mov_b32_e32 v2, v33
	v_mov_b32_e32 v3, v33
	ds_write_b64 v59, v[2:3] offset:4224
	s_branch .LBB94_6
.LBB94_55:                              ;   in Loop: Header=BB94_4 Depth=1
	v_mov_b32_e32 v19, 0
	v_mov_b32_e32 v20, 0
	;; [unrolled: 1-line block ×8, first 2 shown]
.LBB94_56:                              ;   in Loop: Header=BB94_4 Depth=1
	v_mul_lo_u32 v4, s49, v34
	v_mul_lo_u32 v5, s48, v35
	v_mad_u64_u32 v[2:3], s[8:9], s48, v34, 0
	v_cmp_gt_i32_e32 vcc, s46, v34
	v_add3_u32 v3, v3, v5, v4
	v_lshlrev_b64 v[2:3], 3, v[2:3]
	v_mov_b32_e32 v4, s62
	v_add_co_u32_e64 v2, s[8:9], s61, v2
	v_addc_co_u32_e64 v3, s[8:9], v4, v3, s[8:9]
	s_and_b64 s[8:9], s[4:5], vcc
	s_and_saveexec_b64 s[10:11], s[8:9]
	s_cbranch_execz .LBB94_58
; %bb.57:                               ;   in Loop: Header=BB94_4 Depth=1
	buffer_load_dword v4, off, s[68:71], 0 offset:16 ; 4-byte Folded Reload
	buffer_load_dword v5, off, s[68:71], 0 offset:20 ; 4-byte Folded Reload
	v_mul_f32_e32 v8, s35, v20
	v_mul_f32_e32 v9, s34, v20
	v_fma_f32 v8, v19, s34, -v8
	v_fmac_f32_e32 v9, s35, v19
	s_waitcnt vmcnt(1)
	v_add_co_u32_e64 v4, s[8:9], v2, v4
	s_waitcnt vmcnt(0)
	v_addc_co_u32_e64 v5, s[8:9], v3, v5, s[8:9]
	global_load_dwordx2 v[6:7], v[4:5], off
	s_waitcnt vmcnt(0)
	v_add_f32_e32 v6, v6, v8
	v_add_f32_e32 v7, v9, v7
	global_store_dwordx2 v[4:5], v[6:7], off
.LBB94_58:                              ;   in Loop: Header=BB94_4 Depth=1
	s_or_b64 exec, exec, s[10:11]
	s_and_b64 s[10:11], s[16:17], vcc
	s_and_saveexec_b64 s[8:9], s[10:11]
	s_cbranch_execz .LBB94_60
; %bb.59:                               ;   in Loop: Header=BB94_4 Depth=1
	buffer_load_dword v4, off, s[68:71], 0 offset:8 ; 4-byte Folded Reload
	buffer_load_dword v5, off, s[68:71], 0 offset:12 ; 4-byte Folded Reload
	v_mul_f32_e32 v6, s35, v18
	v_mul_f32_e32 v7, s34, v18
	v_fma_f32 v6, v17, s34, -v6
	v_fmac_f32_e32 v7, s35, v17
	s_waitcnt vmcnt(0)
	v_lshlrev_b64 v[4:5], 3, v[4:5]
	v_add_co_u32_e32 v2, vcc, v2, v4
	v_addc_co_u32_e32 v3, vcc, v3, v5, vcc
	global_load_dwordx2 v[4:5], v[2:3], off
	s_waitcnt vmcnt(0)
	v_add_f32_e32 v4, v4, v6
	v_add_f32_e32 v5, v7, v5
	global_store_dwordx2 v[2:3], v[4:5], off
.LBB94_60:                              ;   in Loop: Header=BB94_4 Depth=1
	s_or_b64 exec, exec, s[8:9]
	v_add_u32_e32 v4, 16, v34
	v_ashrrev_i32_e32 v2, 31, v4
	v_mul_lo_u32 v5, s48, v2
	v_mul_lo_u32 v6, s49, v4
	v_mad_u64_u32 v[2:3], s[8:9], s48, v4, 0
	v_cmp_gt_i32_e32 vcc, s46, v4
	v_mov_b32_e32 v4, s62
	v_add3_u32 v3, v3, v5, v6
	v_lshlrev_b64 v[2:3], 3, v[2:3]
	v_add_co_u32_e64 v2, s[8:9], s61, v2
	v_addc_co_u32_e64 v3, s[8:9], v4, v3, s[8:9]
	s_and_b64 s[8:9], s[4:5], vcc
	s_and_saveexec_b64 s[10:11], s[8:9]
	s_cbranch_execz .LBB94_62
; %bb.61:                               ;   in Loop: Header=BB94_4 Depth=1
	buffer_load_dword v4, off, s[68:71], 0 offset:16 ; 4-byte Folded Reload
	buffer_load_dword v5, off, s[68:71], 0 offset:20 ; 4-byte Folded Reload
	v_mul_f32_e32 v8, s35, v16
	v_mul_f32_e32 v9, s34, v16
	v_fma_f32 v8, v15, s34, -v8
	v_fmac_f32_e32 v9, s35, v15
	s_waitcnt vmcnt(1)
	v_add_co_u32_e64 v4, s[8:9], v2, v4
	s_waitcnt vmcnt(0)
	v_addc_co_u32_e64 v5, s[8:9], v3, v5, s[8:9]
	global_load_dwordx2 v[6:7], v[4:5], off
	s_waitcnt vmcnt(0)
	v_add_f32_e32 v6, v6, v8
	v_add_f32_e32 v7, v9, v7
	global_store_dwordx2 v[4:5], v[6:7], off
.LBB94_62:                              ;   in Loop: Header=BB94_4 Depth=1
	s_or_b64 exec, exec, s[10:11]
	s_and_b64 s[10:11], s[16:17], vcc
	s_and_saveexec_b64 s[8:9], s[10:11]
	s_cbranch_execz .LBB94_3
; %bb.63:                               ;   in Loop: Header=BB94_4 Depth=1
	buffer_load_dword v4, off, s[68:71], 0 offset:8 ; 4-byte Folded Reload
	buffer_load_dword v5, off, s[68:71], 0 offset:12 ; 4-byte Folded Reload
	v_mul_f32_e32 v6, s35, v0
	v_mul_f32_e32 v0, s34, v0
	v_fma_f32 v6, v14, s34, -v6
	v_fmac_f32_e32 v0, s35, v14
	s_waitcnt vmcnt(0)
	v_lshlrev_b64 v[4:5], 3, v[4:5]
	v_add_co_u32_e32 v2, vcc, v2, v4
	v_addc_co_u32_e32 v3, vcc, v3, v5, vcc
	global_load_dwordx2 v[4:5], v[2:3], off
	s_waitcnt vmcnt(0)
	v_add_f32_e32 v4, v4, v6
	v_add_f32_e32 v5, v0, v5
	global_store_dwordx2 v[2:3], v[4:5], off
	s_branch .LBB94_3
.LBB94_64:
	s_endpgm
	.section	.rodata,"a",@progbits
	.p2align	6, 0x0
	.amdhsa_kernel _ZL30rocblas_trmm_outofplace_kernelI19rocblas_complex_numIfELi32ELi2ELb0ELb1ELb1ELb1EPKS1_S2_S1_Ev17rocblas_diagonal_iiT6_lPT7_lllS7_lllPT8_llli
		.amdhsa_group_segment_fixed_size 16384
		.amdhsa_private_segment_fixed_size 36
		.amdhsa_kernarg_size 392
		.amdhsa_user_sgpr_count 6
		.amdhsa_user_sgpr_private_segment_buffer 1
		.amdhsa_user_sgpr_dispatch_ptr 0
		.amdhsa_user_sgpr_queue_ptr 0
		.amdhsa_user_sgpr_kernarg_segment_ptr 1
		.amdhsa_user_sgpr_dispatch_id 0
		.amdhsa_user_sgpr_flat_scratch_init 0
		.amdhsa_user_sgpr_private_segment_size 0
		.amdhsa_uses_dynamic_stack 0
		.amdhsa_system_sgpr_private_segment_wavefront_offset 1
		.amdhsa_system_sgpr_workgroup_id_x 1
		.amdhsa_system_sgpr_workgroup_id_y 1
		.amdhsa_system_sgpr_workgroup_id_z 1
		.amdhsa_system_sgpr_workgroup_info 0
		.amdhsa_system_vgpr_workitem_id 1
		.amdhsa_next_free_vgpr 64
		.amdhsa_next_free_sgpr 72
		.amdhsa_reserve_vcc 1
		.amdhsa_reserve_flat_scratch 0
		.amdhsa_float_round_mode_32 0
		.amdhsa_float_round_mode_16_64 0
		.amdhsa_float_denorm_mode_32 3
		.amdhsa_float_denorm_mode_16_64 3
		.amdhsa_dx10_clamp 1
		.amdhsa_ieee_mode 1
		.amdhsa_fp16_overflow 0
		.amdhsa_exception_fp_ieee_invalid_op 0
		.amdhsa_exception_fp_denorm_src 0
		.amdhsa_exception_fp_ieee_div_zero 0
		.amdhsa_exception_fp_ieee_overflow 0
		.amdhsa_exception_fp_ieee_underflow 0
		.amdhsa_exception_fp_ieee_inexact 0
		.amdhsa_exception_int_div_zero 0
	.end_amdhsa_kernel
	.section	.text._ZL30rocblas_trmm_outofplace_kernelI19rocblas_complex_numIfELi32ELi2ELb0ELb1ELb1ELb1EPKS1_S2_S1_Ev17rocblas_diagonal_iiT6_lPT7_lllS7_lllPT8_llli,"axG",@progbits,_ZL30rocblas_trmm_outofplace_kernelI19rocblas_complex_numIfELi32ELi2ELb0ELb1ELb1ELb1EPKS1_S2_S1_Ev17rocblas_diagonal_iiT6_lPT7_lllS7_lllPT8_llli,comdat
.Lfunc_end94:
	.size	_ZL30rocblas_trmm_outofplace_kernelI19rocblas_complex_numIfELi32ELi2ELb0ELb1ELb1ELb1EPKS1_S2_S1_Ev17rocblas_diagonal_iiT6_lPT7_lllS7_lllPT8_llli, .Lfunc_end94-_ZL30rocblas_trmm_outofplace_kernelI19rocblas_complex_numIfELi32ELi2ELb0ELb1ELb1ELb1EPKS1_S2_S1_Ev17rocblas_diagonal_iiT6_lPT7_lllS7_lllPT8_llli
                                        ; -- End function
	.set _ZL30rocblas_trmm_outofplace_kernelI19rocblas_complex_numIfELi32ELi2ELb0ELb1ELb1ELb1EPKS1_S2_S1_Ev17rocblas_diagonal_iiT6_lPT7_lllS7_lllPT8_llli.num_vgpr, 64
	.set _ZL30rocblas_trmm_outofplace_kernelI19rocblas_complex_numIfELi32ELi2ELb0ELb1ELb1ELb1EPKS1_S2_S1_Ev17rocblas_diagonal_iiT6_lPT7_lllS7_lllPT8_llli.num_agpr, 0
	.set _ZL30rocblas_trmm_outofplace_kernelI19rocblas_complex_numIfELi32ELi2ELb0ELb1ELb1ELb1EPKS1_S2_S1_Ev17rocblas_diagonal_iiT6_lPT7_lllS7_lllPT8_llli.numbered_sgpr, 72
	.set _ZL30rocblas_trmm_outofplace_kernelI19rocblas_complex_numIfELi32ELi2ELb0ELb1ELb1ELb1EPKS1_S2_S1_Ev17rocblas_diagonal_iiT6_lPT7_lllS7_lllPT8_llli.num_named_barrier, 0
	.set _ZL30rocblas_trmm_outofplace_kernelI19rocblas_complex_numIfELi32ELi2ELb0ELb1ELb1ELb1EPKS1_S2_S1_Ev17rocblas_diagonal_iiT6_lPT7_lllS7_lllPT8_llli.private_seg_size, 36
	.set _ZL30rocblas_trmm_outofplace_kernelI19rocblas_complex_numIfELi32ELi2ELb0ELb1ELb1ELb1EPKS1_S2_S1_Ev17rocblas_diagonal_iiT6_lPT7_lllS7_lllPT8_llli.uses_vcc, 1
	.set _ZL30rocblas_trmm_outofplace_kernelI19rocblas_complex_numIfELi32ELi2ELb0ELb1ELb1ELb1EPKS1_S2_S1_Ev17rocblas_diagonal_iiT6_lPT7_lllS7_lllPT8_llli.uses_flat_scratch, 0
	.set _ZL30rocblas_trmm_outofplace_kernelI19rocblas_complex_numIfELi32ELi2ELb0ELb1ELb1ELb1EPKS1_S2_S1_Ev17rocblas_diagonal_iiT6_lPT7_lllS7_lllPT8_llli.has_dyn_sized_stack, 0
	.set _ZL30rocblas_trmm_outofplace_kernelI19rocblas_complex_numIfELi32ELi2ELb0ELb1ELb1ELb1EPKS1_S2_S1_Ev17rocblas_diagonal_iiT6_lPT7_lllS7_lllPT8_llli.has_recursion, 0
	.set _ZL30rocblas_trmm_outofplace_kernelI19rocblas_complex_numIfELi32ELi2ELb0ELb1ELb1ELb1EPKS1_S2_S1_Ev17rocblas_diagonal_iiT6_lPT7_lllS7_lllPT8_llli.has_indirect_call, 0
	.section	.AMDGPU.csdata,"",@progbits
; Kernel info:
; codeLenInByte = 6808
; TotalNumSgprs: 76
; NumVgprs: 64
; ScratchSize: 36
; MemoryBound: 0
; FloatMode: 240
; IeeeMode: 1
; LDSByteSize: 16384 bytes/workgroup (compile time only)
; SGPRBlocks: 9
; VGPRBlocks: 15
; NumSGPRsForWavesPerEU: 76
; NumVGPRsForWavesPerEU: 64
; Occupancy: 4
; WaveLimiterHint : 0
; COMPUTE_PGM_RSRC2:SCRATCH_EN: 1
; COMPUTE_PGM_RSRC2:USER_SGPR: 6
; COMPUTE_PGM_RSRC2:TRAP_HANDLER: 0
; COMPUTE_PGM_RSRC2:TGID_X_EN: 1
; COMPUTE_PGM_RSRC2:TGID_Y_EN: 1
; COMPUTE_PGM_RSRC2:TGID_Z_EN: 1
; COMPUTE_PGM_RSRC2:TIDIG_COMP_CNT: 1
	.section	.text._ZL30rocblas_trmm_outofplace_kernelI19rocblas_complex_numIfELi32ELi2ELb0ELb1ELb1ELb1ES1_KS1_S1_Ev17rocblas_diagonal_iiT6_lPT7_lllS6_lllPT8_llli,"axG",@progbits,_ZL30rocblas_trmm_outofplace_kernelI19rocblas_complex_numIfELi32ELi2ELb0ELb1ELb1ELb1ES1_KS1_S1_Ev17rocblas_diagonal_iiT6_lPT7_lllS6_lllPT8_llli,comdat
	.globl	_ZL30rocblas_trmm_outofplace_kernelI19rocblas_complex_numIfELi32ELi2ELb0ELb1ELb1ELb1ES1_KS1_S1_Ev17rocblas_diagonal_iiT6_lPT7_lllS6_lllPT8_llli ; -- Begin function _ZL30rocblas_trmm_outofplace_kernelI19rocblas_complex_numIfELi32ELi2ELb0ELb1ELb1ELb1ES1_KS1_S1_Ev17rocblas_diagonal_iiT6_lPT7_lllS6_lllPT8_llli
	.p2align	8
	.type	_ZL30rocblas_trmm_outofplace_kernelI19rocblas_complex_numIfELi32ELi2ELb0ELb1ELb1ELb1ES1_KS1_S1_Ev17rocblas_diagonal_iiT6_lPT7_lllS6_lllPT8_llli,@function
_ZL30rocblas_trmm_outofplace_kernelI19rocblas_complex_numIfELi32ELi2ELb0ELb1ELb1ELb1ES1_KS1_S1_Ev17rocblas_diagonal_iiT6_lPT7_lllS6_lllPT8_llli: ; @_ZL30rocblas_trmm_outofplace_kernelI19rocblas_complex_numIfELi32ELi2ELb0ELb1ELb1ELb1ES1_KS1_S1_Ev17rocblas_diagonal_iiT6_lPT7_lllS6_lllPT8_llli
; %bb.0:
	s_load_dwordx4 s[28:31], s[4:5], 0x0
	s_load_dword s33, s[4:5], 0x10
	s_mov_b64 s[70:71], s[2:3]
	s_mov_b64 s[68:69], s[0:1]
	s_add_u32 s68, s68, s9
	s_addc_u32 s69, s69, 0
	s_waitcnt lgkmcnt(0)
	s_or_b32 s0, s31, s33
	s_bitset0_b32 s0, 31
	s_cmp_eq_u32 s0, 0
	s_cbranch_scc1 .LBB95_64
; %bb.1:
	s_add_i32 s0, s30, -1
	s_ashr_i32 s1, s0, 31
	s_lshr_b32 s1, s1, 27
	s_add_i32 s0, s0, s1
	s_ashr_i32 s60, s0, 5
	s_cmp_gt_i32 s7, s60
	s_cbranch_scc1 .LBB95_64
; %bb.2:
	s_load_dwordx8 s[20:27], s[4:5], 0x60
	s_load_dwordx16 s[36:51], s[4:5], 0x20
	v_lshl_add_u32 v2, s6, 5, v0
	s_load_dword s6, s[4:5], 0x8c
	v_ashrrev_i32_e32 v3, 31, v2
	s_waitcnt lgkmcnt(0)
	s_mul_i32 s1, s27, s8
	s_mul_hi_u32 s2, s26, s8
	s_mul_i32 s0, s26, s8
	s_add_i32 s1, s2, s1
	s_lshl_b64 s[0:1], s[0:1], 3
	s_add_u32 s2, s20, s0
	s_addc_u32 s3, s21, s1
	s_lshl_b64 s[0:1], s[22:23], 3
	s_add_u32 s61, s2, s0
	s_addc_u32 s62, s3, s1
	s_cmpk_eq_i32 s28, 0x84
	s_cselect_b64 s[22:23], -1, 0
	s_ashr_i32 s27, s30, 31
	s_ashr_i32 s0, s29, 31
	s_lshl_b64 s[34:35], s[40:41], 8
	s_lshl_b64 s[52:53], s[48:49], 8
	s_add_u32 s54, s30, -16
	s_addc_u32 s55, s27, -1
	s_lshl_b32 s9, s7, 5
	v_add_u32_e32 v24, s9, v0
	v_add_u32_e32 v26, s9, v1
	s_mul_i32 s9, s43, s8
	s_mul_hi_u32 s10, s42, s8
	s_add_i32 s11, s10, s9
	s_mul_i32 s10, s42, s8
	s_lshl_b32 s63, s6, 5
	s_lshl_b64 s[10:11], s[10:11], 3
	s_lshl_b64 s[12:13], s[38:39], 3
	v_mov_b32_e32 v5, s0
	v_sub_co_u32_e32 v4, vcc, s29, v2
	s_add_u32 s9, s10, s12
	v_subb_co_u32_e32 v5, vcc, v5, v3, vcc
	s_addc_u32 s10, s11, s13
	v_cmp_gt_i64_e64 s[0:1], 1, v[4:5]
	v_cmp_gt_i64_e64 s[2:3], 17, v[4:5]
	v_add_u32_e32 v4, 16, v2
	s_add_u32 s28, s36, s9
	v_cmp_gt_i32_e64 s[4:5], s29, v2
	v_cmp_gt_i32_e64 s[16:17], s29, v4
	s_addc_u32 s29, s37, s10
	s_lshl_b64 s[36:37], s[40:41], 3
	s_add_u32 s38, s44, 0x80
	s_mul_i32 s9, s51, s8
	s_mul_hi_u32 s10, s50, s8
	s_addc_u32 s39, s45, 0
	s_add_i32 s9, s10, s9
	s_mul_i32 s8, s50, s8
	v_ashrrev_i32_e32 v5, 31, v4
	s_lshl_b64 s[42:43], s[48:49], 3
	s_lshl_b64 s[8:9], s[8:9], 3
	;; [unrolled: 1-line block ×3, first 2 shown]
	v_lshlrev_b64 v[2:3], 3, v[2:3]
	buffer_store_dword v4, off, s[68:71], 0 offset:8 ; 4-byte Folded Spill
	s_nop 0
	buffer_store_dword v5, off, s[68:71], 0 offset:12 ; 4-byte Folded Spill
	s_add_u32 s8, s8, s10
	v_add_co_u32_e32 v4, vcc, s8, v2
	buffer_store_dword v2, off, s[68:71], 0 offset:16 ; 4-byte Folded Spill
	s_nop 0
	buffer_store_dword v3, off, s[68:71], 0 offset:20 ; 4-byte Folded Spill
	v_lshlrev_b32_e32 v6, 3, v0
	s_addc_u32 s9, s9, s11
	v_lshlrev_b32_e32 v56, 8, v1
	v_or_b32_e32 v58, 0x2000, v6
	v_mov_b32_e32 v0, s9
	s_mov_b32 s26, s30
	v_add_u32_e32 v57, v56, v6
	v_add_u32_e32 v59, v58, v56
	s_movk_i32 s64, 0x80
	v_mov_b32_e32 v33, 0
	v_mov_b32_e32 v32, 1.0
	v_addc_co_u32_e32 v5, vcc, v0, v3, vcc
	buffer_store_dword v4, off, s[68:71], 0 offset:24 ; 4-byte Folded Spill
	s_nop 0
	buffer_store_dword v5, off, s[68:71], 0 offset:28 ; 4-byte Folded Spill
	s_branch .LBB95_4
.LBB95_3:                               ;   in Loop: Header=BB95_4 Depth=1
	s_or_b64 exec, exec, s[8:9]
	s_add_i32 s7, s6, s7
	v_add_u32_e32 v24, s63, v24
	s_cmp_le_i32 s7, s60
	v_add_u32_e32 v26, s63, v26
	s_cbranch_scc0 .LBB95_64
.LBB95_4:                               ; =>This Loop Header: Depth=1
                                        ;     Child Loop BB95_7 Depth 2
	s_lshl_b32 s8, s7, 5
	v_add_u32_e32 v34, s8, v1
	s_sub_i32 s65, s30, s8
	v_ashrrev_i32_e32 v25, 31, v24
	v_ashrrev_i32_e32 v27, 31, v26
	s_cmp_lt_i32 s65, 1
	v_ashrrev_i32_e32 v35, 31, v34
	s_cbranch_scc1 .LBB95_55
; %bb.5:                                ;   in Loop: Header=BB95_4 Depth=1
	v_sub_co_u32_e32 v36, vcc, v26, v24
	v_lshlrev_b64 v[2:3], 3, v[24:25]
	v_subb_co_u32_e32 v37, vcc, v27, v25, vcc
	v_add_co_u32_e32 v0, vcc, 0x80, v2
	v_addc_co_u32_e32 v2, vcc, 0, v3, vcc
	v_mul_lo_u32 v4, s40, v2
	v_mov_b32_e32 v2, s28
	v_lshlrev_b64 v[38:39], 3, v[26:27]
	v_mov_b32_e32 v3, s29
	v_mad_u64_u32 v[40:41], s[8:9], s40, v0, v[2:3]
	v_mad_u64_u32 v[42:43], s[8:9], s36, v24, v[2:3]
	v_mov_b32_e32 v2, s38
	v_mov_b32_e32 v3, s39
	v_add_co_u32_e32 v9, vcc, s64, v38
	v_mad_u64_u32 v[44:45], s[8:9], s42, v26, v[2:3]
	v_addc_co_u32_e32 v2, vcc, 0, v39, vcc
	v_mul_lo_u32 v10, s48, v2
	v_mov_b32_e32 v2, s44
	v_mov_b32_e32 v3, s45
	v_mad_u64_u32 v[46:47], s[8:9], s48, v9, v[2:3]
	v_mul_lo_u32 v2, s49, v9
	v_mul_lo_u32 v5, s41, v0
	;; [unrolled: 1-line block ×4, first 2 shown]
	v_add3_u32 v47, v2, v47, v10
	v_add_co_u32_e64 v2, s[10:11], 16, v36
	v_addc_co_u32_e64 v3, s[10:11], 0, v37, s[10:11]
	buffer_store_dword v2, off, s[68:71], 0 ; 4-byte Folded Spill
	s_nop 0
	buffer_store_dword v3, off, s[68:71], 0 offset:4 ; 4-byte Folded Spill
	buffer_load_dword v54, off, s[68:71], 0 offset:24 ; 4-byte Folded Reload
	buffer_load_dword v55, off, s[68:71], 0 offset:28 ; 4-byte Folded Reload
	v_mul_lo_u32 v7, s42, v27
	v_mul_lo_u32 v8, s43, v26
	v_add_co_u32_e64 v48, s[8:9], 16, v34
	v_addc_co_u32_e64 v49, s[8:9], 0, v35, s[8:9]
	v_cmp_le_i64_e64 s[8:9], s[26:27], v[48:49]
	v_add_co_u32_e64 v52, s[10:11], -16, v36
	v_add3_u32 v41, v5, v41, v4
	v_add3_u32 v43, v6, v43, v0
	;; [unrolled: 1-line block ×3, first 2 shown]
	v_cmp_le_i32_e32 vcc, s30, v34
	v_addc_co_u32_e64 v53, s[10:11], -1, v37, s[10:11]
	v_mov_b32_e32 v0, 0
	s_mov_b64 s[46:47], 0
	v_mov_b32_e32 v14, 0
	v_mov_b32_e32 v16, 0
	;; [unrolled: 1-line block ×7, first 2 shown]
	s_branch .LBB95_7
.LBB95_6:                               ;   in Loop: Header=BB95_7 Depth=2
	s_or_b64 exec, exec, s[10:11]
	s_waitcnt lgkmcnt(0)
	s_barrier
	ds_read_b128 v[60:63], v56
	ds_read_b128 v[10:13], v56 offset:16
	ds_read_b128 v[6:9], v56 offset:32
	;; [unrolled: 1-line block ×3, first 2 shown]
	ds_read2_b64 v[28:31], v58 offset1:16
	v_add_co_u32_e64 v40, s[10:11], s34, v40
	s_add_u32 s46, s46, 32
	s_addc_u32 s47, s47, 0
	s_waitcnt lgkmcnt(0)
	v_mul_f32_e32 v21, v61, v29
	v_mul_f32_e32 v22, v60, v29
	v_fma_f32 v21, v60, v28, -v21
	v_fmac_f32_e32 v22, v61, v28
	v_add_f32_e32 v21, v19, v21
	v_add_f32_e32 v22, v20, v22
	v_mul_f32_e32 v19, v61, v31
	v_mul_f32_e32 v20, v60, v31
	v_fma_f32 v19, v60, v30, -v19
	v_fmac_f32_e32 v20, v61, v30
	v_add_f32_e32 v23, v17, v19
	v_add_f32_e32 v60, v18, v20
	ds_read_b128 v[17:20], v56 offset:4096
	s_cmp_ge_i32 s46, s65
	s_waitcnt lgkmcnt(0)
	v_mul_f32_e32 v61, v18, v29
	v_mul_f32_e32 v29, v17, v29
	v_fma_f32 v61, v17, v28, -v61
	v_fmac_f32_e32 v29, v18, v28
	v_add_f32_e32 v28, v15, v61
	v_add_f32_e32 v29, v16, v29
	v_mul_f32_e32 v15, v18, v31
	v_mul_f32_e32 v16, v17, v31
	v_fma_f32 v15, v17, v30, -v15
	v_fmac_f32_e32 v16, v18, v30
	v_add_f32_e32 v18, v14, v15
	v_add_f32_e32 v0, v0, v16
	ds_read2_b64 v[14:17], v58 offset0:32 offset1:48
	s_waitcnt lgkmcnt(0)
	v_mul_f32_e32 v30, v63, v15
	v_fma_f32 v30, v62, v14, -v30
	v_add_f32_e32 v21, v21, v30
	v_mul_f32_e32 v30, v63, v17
	v_mul_f32_e32 v31, v62, v15
	v_fma_f32 v30, v62, v16, -v30
	v_fmac_f32_e32 v31, v63, v14
	v_add_f32_e32 v23, v23, v30
	v_mul_f32_e32 v30, v20, v15
	v_mul_f32_e32 v15, v19, v15
	v_add_f32_e32 v22, v22, v31
	v_mul_f32_e32 v31, v62, v17
	v_fmac_f32_e32 v15, v20, v14
	v_fmac_f32_e32 v31, v63, v16
	v_fma_f32 v30, v19, v14, -v30
	v_add_f32_e32 v63, v29, v15
	v_mul_f32_e32 v14, v20, v17
	v_mul_f32_e32 v15, v19, v17
	v_fma_f32 v14, v19, v16, -v14
	v_fmac_f32_e32 v15, v20, v16
	v_add_f32_e32 v50, v60, v31
	v_add_f32_e32 v62, v28, v30
	;; [unrolled: 1-line block ×4, first 2 shown]
	ds_read2_b64 v[14:17], v58 offset0:64 offset1:80
	s_waitcnt lgkmcnt(0)
	v_mul_f32_e32 v0, v11, v15
	v_mul_f32_e32 v18, v10, v15
	v_fma_f32 v0, v10, v14, -v0
	v_fmac_f32_e32 v18, v11, v14
	v_add_f32_e32 v60, v21, v0
	v_add_f32_e32 v61, v22, v18
	ds_read_b128 v[18:21], v56 offset:4112
	v_mul_f32_e32 v0, v11, v17
	v_fma_f32 v0, v10, v16, -v0
	v_mul_f32_e32 v10, v10, v17
	v_fmac_f32_e32 v10, v11, v16
	s_waitcnt lgkmcnt(0)
	v_mul_f32_e32 v11, v19, v15
	v_mul_f32_e32 v15, v18, v15
	v_fmac_f32_e32 v15, v19, v14
	v_fma_f32 v11, v18, v14, -v11
	v_add_f32_e32 v22, v63, v15
	v_mul_f32_e32 v14, v19, v17
	v_mul_f32_e32 v15, v18, v17
	v_fma_f32 v14, v18, v16, -v14
	v_fmac_f32_e32 v15, v19, v16
	v_add_f32_e32 v18, v30, v14
	v_add_f32_e32 v19, v31, v15
	ds_read2_b64 v[14:17], v58 offset0:96 offset1:112
	v_add_f32_e32 v0, v23, v0
	v_add_f32_e32 v10, v50, v10
	v_add_f32_e32 v11, v62, v11
	s_waitcnt lgkmcnt(0)
	v_mul_f32_e32 v23, v13, v15
	v_mul_f32_e32 v29, v13, v17
	v_fma_f32 v23, v12, v14, -v23
	v_mul_f32_e32 v28, v12, v15
	v_fma_f32 v29, v12, v16, -v29
	v_mul_f32_e32 v12, v12, v17
	v_fmac_f32_e32 v12, v13, v16
	v_add_f32_e32 v0, v0, v29
	v_add_f32_e32 v29, v10, v12
	v_mul_f32_e32 v10, v21, v15
	v_fma_f32 v10, v20, v14, -v10
	v_mul_f32_e32 v12, v20, v15
	v_fmac_f32_e32 v28, v13, v14
	v_fmac_f32_e32 v12, v21, v14
	v_add_f32_e32 v14, v11, v10
	v_mul_f32_e32 v10, v21, v17
	v_mul_f32_e32 v11, v20, v17
	v_fma_f32 v10, v20, v16, -v10
	v_fmac_f32_e32 v11, v21, v16
	v_add_f32_e32 v15, v22, v12
	v_add_f32_e32 v20, v18, v10
	;; [unrolled: 1-line block ×3, first 2 shown]
	ds_read2_b64 v[10:13], v58 offset0:128 offset1:144
	v_add_f32_e32 v23, v60, v23
	v_add_f32_e32 v28, v61, v28
	s_waitcnt lgkmcnt(0)
	v_mul_f32_e32 v16, v7, v11
	v_fma_f32 v16, v6, v10, -v16
	v_mul_f32_e32 v17, v6, v11
	v_add_f32_e32 v22, v23, v16
	v_mul_f32_e32 v16, v7, v13
	v_fmac_f32_e32 v17, v7, v10
	v_fma_f32 v16, v6, v12, -v16
	v_add_f32_e32 v23, v28, v17
	v_add_f32_e32 v0, v0, v16
	ds_read_b128 v[16:19], v56 offset:4128
	v_mul_f32_e32 v6, v6, v13
	v_fmac_f32_e32 v6, v7, v12
	v_add_f32_e32 v6, v29, v6
	s_waitcnt lgkmcnt(0)
	v_mul_f32_e32 v7, v17, v11
	v_mul_f32_e32 v11, v16, v11
	v_fma_f32 v7, v16, v10, -v7
	v_fmac_f32_e32 v11, v17, v10
	v_add_f32_e32 v7, v14, v7
	v_add_f32_e32 v14, v15, v11
	v_mul_f32_e32 v10, v17, v13
	v_mul_f32_e32 v11, v16, v13
	v_fma_f32 v10, v16, v12, -v10
	v_fmac_f32_e32 v11, v17, v12
	v_add_f32_e32 v15, v20, v10
	v_add_f32_e32 v20, v21, v11
	ds_read2_b64 v[10:13], v58 offset0:160 offset1:176
	s_waitcnt lgkmcnt(0)
	v_mul_f32_e32 v16, v9, v11
	v_fma_f32 v16, v8, v10, -v16
	v_add_f32_e32 v21, v22, v16
	v_mul_f32_e32 v16, v9, v13
	v_mul_f32_e32 v17, v8, v11
	v_fma_f32 v16, v8, v12, -v16
	v_mul_f32_e32 v8, v8, v13
	v_fmac_f32_e32 v17, v9, v10
	v_fmac_f32_e32 v8, v9, v12
	v_add_f32_e32 v22, v23, v17
	v_add_f32_e32 v23, v6, v8
	v_mul_f32_e32 v6, v19, v11
	v_fma_f32 v6, v18, v10, -v6
	v_add_f32_e32 v0, v0, v16
	v_mul_f32_e32 v8, v18, v11
	v_add_f32_e32 v16, v7, v6
	v_mul_f32_e32 v6, v19, v13
	v_mul_f32_e32 v7, v18, v13
	v_fmac_f32_e32 v8, v19, v10
	v_fma_f32 v6, v18, v12, -v6
	v_fmac_f32_e32 v7, v19, v12
	v_add_f32_e32 v17, v14, v8
	v_add_f32_e32 v18, v15, v6
	v_add_f32_e32 v19, v20, v7
	ds_read2_b64 v[6:9], v58 offset0:192 offset1:208
	s_waitcnt lgkmcnt(0)
	v_mul_f32_e32 v10, v3, v7
	v_fma_f32 v10, v2, v6, -v10
	v_mul_f32_e32 v11, v2, v7
	v_add_f32_e32 v14, v21, v10
	v_mul_f32_e32 v10, v3, v9
	v_fmac_f32_e32 v11, v3, v6
	v_fma_f32 v10, v2, v8, -v10
	v_add_f32_e32 v15, v22, v11
	v_add_f32_e32 v0, v0, v10
	ds_read_b128 v[10:13], v56 offset:4144
	v_mul_f32_e32 v2, v2, v9
	v_fmac_f32_e32 v2, v3, v8
	v_add_f32_e32 v2, v23, v2
	s_waitcnt lgkmcnt(0)
	v_mul_f32_e32 v3, v11, v7
	v_mul_f32_e32 v7, v10, v7
	v_fma_f32 v3, v10, v6, -v3
	v_fmac_f32_e32 v7, v11, v6
	v_add_f32_e32 v3, v16, v3
	v_add_f32_e32 v16, v17, v7
	v_mul_f32_e32 v6, v11, v9
	v_mul_f32_e32 v7, v10, v9
	v_fma_f32 v6, v10, v8, -v6
	v_fmac_f32_e32 v7, v11, v8
	v_add_f32_e32 v10, v18, v6
	v_add_f32_e32 v11, v19, v7
	ds_read2_b64 v[6:9], v58 offset0:224 offset1:240
	s_waitcnt lgkmcnt(0)
	v_mul_f32_e32 v17, v5, v7
	v_fma_f32 v17, v4, v6, -v17
	v_add_f32_e32 v14, v14, v17
	v_mul_f32_e32 v17, v5, v9
	v_mul_f32_e32 v18, v4, v7
	v_fma_f32 v17, v4, v8, -v17
	v_mul_f32_e32 v4, v4, v9
	v_fmac_f32_e32 v18, v5, v6
	v_fmac_f32_e32 v4, v5, v8
	v_add_f32_e32 v17, v0, v17
	v_mul_f32_e32 v0, v13, v7
	v_add_f32_e32 v15, v15, v18
	v_add_f32_e32 v18, v2, v4
	v_fma_f32 v0, v12, v6, -v0
	v_mul_f32_e32 v2, v12, v7
	v_fmac_f32_e32 v2, v13, v6
	v_add_f32_e32 v19, v3, v0
	v_mul_f32_e32 v0, v13, v9
	v_add_f32_e32 v20, v16, v2
	v_fma_f32 v0, v12, v8, -v0
	v_mul_f32_e32 v2, v12, v9
	v_fmac_f32_e32 v2, v13, v8
	v_add_f32_e32 v10, v10, v0
	v_add_u32_e32 v0, 0x800, v58
	v_add_f32_e32 v11, v11, v2
	ds_read_b128 v[2:5], v56 offset:64
	ds_read2_b64 v[6:9], v0 offset1:16
	s_waitcnt lgkmcnt(0)
	v_mul_f32_e32 v12, v3, v7
	v_fma_f32 v12, v2, v6, -v12
	v_mul_f32_e32 v13, v2, v7
	v_add_f32_e32 v12, v14, v12
	v_mul_f32_e32 v14, v3, v9
	v_fmac_f32_e32 v13, v3, v6
	v_fma_f32 v14, v2, v8, -v14
	v_mul_f32_e32 v2, v2, v9
	v_add_f32_e32 v13, v15, v13
	v_fmac_f32_e32 v2, v3, v8
	v_add_f32_e32 v3, v17, v14
	ds_read_b128 v[14:17], v56 offset:4160
	v_add_f32_e32 v2, v18, v2
	s_waitcnt lgkmcnt(0)
	v_mul_f32_e32 v18, v15, v7
	v_mul_f32_e32 v7, v14, v7
	v_fma_f32 v18, v14, v6, -v18
	v_fmac_f32_e32 v7, v15, v6
	v_add_f32_e32 v18, v19, v18
	v_add_f32_e32 v19, v20, v7
	v_mul_f32_e32 v6, v15, v9
	v_mul_f32_e32 v7, v14, v9
	v_fma_f32 v6, v14, v8, -v6
	v_fmac_f32_e32 v7, v15, v8
	v_add_f32_e32 v20, v10, v6
	v_add_f32_e32 v21, v11, v7
	ds_read2_b64 v[6:9], v0 offset0:32 offset1:48
	s_waitcnt lgkmcnt(0)
	v_mul_f32_e32 v10, v5, v7
	v_fma_f32 v10, v4, v6, -v10
	v_add_f32_e32 v10, v12, v10
	v_mul_f32_e32 v12, v5, v9
	v_mul_f32_e32 v11, v4, v7
	v_fma_f32 v12, v4, v8, -v12
	v_mul_f32_e32 v4, v4, v9
	v_fmac_f32_e32 v11, v5, v6
	v_fmac_f32_e32 v4, v5, v8
	v_add_f32_e32 v11, v13, v11
	v_add_f32_e32 v12, v3, v12
	;; [unrolled: 1-line block ×3, first 2 shown]
	v_mul_f32_e32 v2, v17, v7
	v_mul_f32_e32 v3, v16, v7
	v_fma_f32 v2, v16, v6, -v2
	v_fmac_f32_e32 v3, v17, v6
	v_add_f32_e32 v14, v18, v2
	v_add_f32_e32 v15, v19, v3
	v_mul_f32_e32 v2, v17, v9
	v_mul_f32_e32 v3, v16, v9
	v_fma_f32 v2, v16, v8, -v2
	v_fmac_f32_e32 v3, v17, v8
	v_add_f32_e32 v16, v20, v2
	v_add_f32_e32 v17, v21, v3
	ds_read_b128 v[2:5], v56 offset:80
	ds_read2_b64 v[6:9], v0 offset0:64 offset1:80
	s_waitcnt lgkmcnt(0)
	v_mul_f32_e32 v18, v3, v7
	v_mul_f32_e32 v19, v2, v7
	v_fma_f32 v18, v2, v6, -v18
	v_fmac_f32_e32 v19, v3, v6
	v_add_f32_e32 v18, v10, v18
	v_add_f32_e32 v19, v11, v19
	v_mul_f32_e32 v10, v3, v9
	v_mul_f32_e32 v11, v2, v9
	v_fma_f32 v10, v2, v8, -v10
	v_fmac_f32_e32 v11, v3, v8
	v_add_f32_e32 v2, v12, v10
	v_add_f32_e32 v3, v13, v11
	ds_read_b128 v[10:13], v56 offset:4176
	s_waitcnt lgkmcnt(0)
	v_mul_f32_e32 v20, v11, v7
	v_mul_f32_e32 v7, v10, v7
	v_fmac_f32_e32 v7, v11, v6
	v_fma_f32 v20, v10, v6, -v20
	v_add_f32_e32 v15, v15, v7
	v_mul_f32_e32 v6, v11, v9
	v_mul_f32_e32 v7, v10, v9
	v_fma_f32 v6, v10, v8, -v6
	v_fmac_f32_e32 v7, v11, v8
	v_add_f32_e32 v10, v16, v6
	v_add_f32_e32 v11, v17, v7
	ds_read2_b64 v[6:9], v0 offset0:96 offset1:112
	v_add_f32_e32 v14, v14, v20
	s_waitcnt lgkmcnt(0)
	v_mul_f32_e32 v16, v5, v7
	v_fma_f32 v16, v4, v6, -v16
	v_add_f32_e32 v16, v18, v16
	v_mul_f32_e32 v18, v5, v9
	v_mul_f32_e32 v17, v4, v7
	v_fma_f32 v18, v4, v8, -v18
	v_mul_f32_e32 v4, v4, v9
	v_fmac_f32_e32 v17, v5, v6
	v_fmac_f32_e32 v4, v5, v8
	v_add_f32_e32 v17, v19, v17
	v_add_f32_e32 v18, v2, v18
	v_add_f32_e32 v19, v3, v4
	v_mul_f32_e32 v2, v13, v7
	v_mul_f32_e32 v3, v12, v7
	v_fma_f32 v2, v12, v6, -v2
	v_fmac_f32_e32 v3, v13, v6
	v_add_f32_e32 v20, v14, v2
	v_add_f32_e32 v21, v15, v3
	v_mul_f32_e32 v2, v13, v9
	v_mul_f32_e32 v3, v12, v9
	v_fma_f32 v2, v12, v8, -v2
	v_fmac_f32_e32 v3, v13, v8
	v_add_f32_e32 v10, v10, v2
	v_add_f32_e32 v11, v11, v3
	ds_read_b128 v[2:5], v56 offset:96
	ds_read2_b64 v[6:9], v0 offset0:128 offset1:144
	s_waitcnt lgkmcnt(0)
	v_mul_f32_e32 v12, v3, v7
	v_mul_f32_e32 v13, v2, v7
	v_mul_f32_e32 v14, v3, v9
	v_fma_f32 v12, v2, v6, -v12
	v_fmac_f32_e32 v13, v3, v6
	v_fma_f32 v14, v2, v8, -v14
	v_mul_f32_e32 v2, v2, v9
	v_add_f32_e32 v12, v16, v12
	v_add_f32_e32 v13, v17, v13
	v_fmac_f32_e32 v2, v3, v8
	v_add_f32_e32 v3, v18, v14
	ds_read_b128 v[14:17], v56 offset:4192
	v_add_f32_e32 v2, v19, v2
	s_waitcnt lgkmcnt(0)
	v_mul_f32_e32 v18, v15, v7
	v_mul_f32_e32 v7, v14, v7
	v_fmac_f32_e32 v7, v15, v6
	v_fma_f32 v18, v14, v6, -v18
	v_add_f32_e32 v19, v21, v7
	v_mul_f32_e32 v6, v15, v9
	v_mul_f32_e32 v7, v14, v9
	v_fma_f32 v6, v14, v8, -v6
	v_fmac_f32_e32 v7, v15, v8
	v_add_f32_e32 v18, v20, v18
	v_add_f32_e32 v20, v10, v6
	;; [unrolled: 1-line block ×3, first 2 shown]
	ds_read2_b64 v[6:9], v0 offset0:160 offset1:176
	s_waitcnt lgkmcnt(0)
	v_mul_f32_e32 v10, v5, v7
	v_fma_f32 v10, v4, v6, -v10
	v_add_f32_e32 v10, v12, v10
	v_mul_f32_e32 v12, v5, v9
	v_mul_f32_e32 v11, v4, v7
	v_fma_f32 v12, v4, v8, -v12
	v_mul_f32_e32 v4, v4, v9
	v_fmac_f32_e32 v11, v5, v6
	v_fmac_f32_e32 v4, v5, v8
	v_add_f32_e32 v11, v13, v11
	v_add_f32_e32 v12, v3, v12
	;; [unrolled: 1-line block ×3, first 2 shown]
	v_mul_f32_e32 v2, v17, v7
	v_mul_f32_e32 v3, v16, v7
	v_fma_f32 v2, v16, v6, -v2
	v_fmac_f32_e32 v3, v17, v6
	v_add_f32_e32 v14, v18, v2
	v_add_f32_e32 v15, v19, v3
	v_mul_f32_e32 v2, v17, v9
	v_mul_f32_e32 v3, v16, v9
	v_fma_f32 v2, v16, v8, -v2
	v_fmac_f32_e32 v3, v17, v8
	v_add_f32_e32 v16, v20, v2
	v_add_f32_e32 v17, v21, v3
	ds_read_b128 v[2:5], v56 offset:112
	ds_read2_b64 v[6:9], v0 offset0:192 offset1:208
	s_waitcnt lgkmcnt(0)
	v_mul_f32_e32 v18, v3, v7
	v_mul_f32_e32 v19, v2, v7
	v_fma_f32 v18, v2, v6, -v18
	v_fmac_f32_e32 v19, v3, v6
	v_add_f32_e32 v18, v10, v18
	v_add_f32_e32 v19, v11, v19
	v_mul_f32_e32 v10, v3, v9
	v_mul_f32_e32 v11, v2, v9
	v_fma_f32 v10, v2, v8, -v10
	v_fmac_f32_e32 v11, v3, v8
	v_add_f32_e32 v2, v12, v10
	v_add_f32_e32 v3, v13, v11
	ds_read_b128 v[10:13], v56 offset:4208
	s_waitcnt lgkmcnt(0)
	v_mul_f32_e32 v20, v11, v7
	v_mul_f32_e32 v7, v10, v7
	v_fmac_f32_e32 v7, v11, v6
	v_fma_f32 v20, v10, v6, -v20
	v_add_f32_e32 v15, v15, v7
	v_mul_f32_e32 v6, v11, v9
	v_mul_f32_e32 v7, v10, v9
	v_fma_f32 v6, v10, v8, -v6
	v_fmac_f32_e32 v7, v11, v8
	v_add_f32_e32 v10, v16, v6
	v_add_f32_e32 v11, v17, v7
	ds_read2_b64 v[6:9], v0 offset0:224 offset1:240
	v_add_f32_e32 v14, v14, v20
	s_waitcnt lgkmcnt(0)
	v_mul_f32_e32 v0, v5, v7
	v_fma_f32 v0, v4, v6, -v0
	v_add_f32_e32 v17, v18, v0
	v_mul_f32_e32 v0, v5, v9
	v_fma_f32 v0, v4, v8, -v0
	v_add_f32_e32 v18, v2, v0
	v_mul_f32_e32 v0, v13, v7
	v_fma_f32 v0, v12, v6, -v0
	v_mul_f32_e32 v2, v12, v7
	v_fmac_f32_e32 v2, v13, v6
	v_add_f32_e32 v20, v14, v0
	v_mul_f32_e32 v0, v13, v9
	v_mul_f32_e32 v16, v4, v7
	;; [unrolled: 1-line block ×3, first 2 shown]
	v_add_f32_e32 v21, v15, v2
	v_fma_f32 v0, v12, v8, -v0
	v_mul_f32_e32 v2, v12, v9
	v_fmac_f32_e32 v16, v5, v6
	v_fmac_f32_e32 v4, v5, v8
	;; [unrolled: 1-line block ×3, first 2 shown]
	v_add_f32_e32 v10, v10, v0
	v_add_u32_e32 v0, 0x1000, v58
	v_add_f32_e32 v16, v19, v16
	v_add_f32_e32 v19, v3, v4
	;; [unrolled: 1-line block ×3, first 2 shown]
	ds_read_b128 v[2:5], v56 offset:128
	ds_read2_b64 v[6:9], v0 offset1:16
	s_waitcnt lgkmcnt(0)
	v_mul_f32_e32 v12, v3, v7
	v_mul_f32_e32 v13, v2, v7
	;; [unrolled: 1-line block ×3, first 2 shown]
	v_fma_f32 v12, v2, v6, -v12
	v_fmac_f32_e32 v13, v3, v6
	v_fma_f32 v14, v2, v8, -v14
	v_mul_f32_e32 v2, v2, v9
	v_add_f32_e32 v12, v17, v12
	v_add_f32_e32 v13, v16, v13
	v_fmac_f32_e32 v2, v3, v8
	v_add_f32_e32 v3, v18, v14
	ds_read_b128 v[14:17], v56 offset:4224
	v_add_f32_e32 v2, v19, v2
	s_waitcnt lgkmcnt(0)
	v_mul_f32_e32 v18, v15, v7
	v_mul_f32_e32 v7, v14, v7
	v_fmac_f32_e32 v7, v15, v6
	v_fma_f32 v18, v14, v6, -v18
	v_add_f32_e32 v19, v21, v7
	v_mul_f32_e32 v6, v15, v9
	v_mul_f32_e32 v7, v14, v9
	v_fma_f32 v6, v14, v8, -v6
	v_fmac_f32_e32 v7, v15, v8
	v_add_f32_e32 v18, v20, v18
	v_add_f32_e32 v20, v10, v6
	;; [unrolled: 1-line block ×3, first 2 shown]
	ds_read2_b64 v[6:9], v0 offset0:32 offset1:48
	s_waitcnt lgkmcnt(0)
	v_mul_f32_e32 v10, v5, v7
	v_fma_f32 v10, v4, v6, -v10
	v_add_f32_e32 v10, v12, v10
	v_mul_f32_e32 v12, v5, v9
	v_mul_f32_e32 v11, v4, v7
	v_fma_f32 v12, v4, v8, -v12
	v_mul_f32_e32 v4, v4, v9
	v_fmac_f32_e32 v11, v5, v6
	v_fmac_f32_e32 v4, v5, v8
	v_add_f32_e32 v11, v13, v11
	v_add_f32_e32 v12, v3, v12
	;; [unrolled: 1-line block ×3, first 2 shown]
	v_mul_f32_e32 v2, v17, v7
	v_mul_f32_e32 v3, v16, v7
	v_fma_f32 v2, v16, v6, -v2
	v_fmac_f32_e32 v3, v17, v6
	v_add_f32_e32 v14, v18, v2
	v_add_f32_e32 v15, v19, v3
	v_mul_f32_e32 v2, v17, v9
	v_mul_f32_e32 v3, v16, v9
	v_fma_f32 v2, v16, v8, -v2
	v_fmac_f32_e32 v3, v17, v8
	v_add_f32_e32 v16, v20, v2
	v_add_f32_e32 v17, v21, v3
	ds_read_b128 v[2:5], v56 offset:144
	ds_read2_b64 v[6:9], v0 offset0:64 offset1:80
	s_waitcnt lgkmcnt(0)
	v_mul_f32_e32 v18, v3, v7
	v_mul_f32_e32 v19, v2, v7
	v_fma_f32 v18, v2, v6, -v18
	v_fmac_f32_e32 v19, v3, v6
	v_add_f32_e32 v18, v10, v18
	v_add_f32_e32 v19, v11, v19
	v_mul_f32_e32 v10, v3, v9
	v_mul_f32_e32 v11, v2, v9
	v_fma_f32 v10, v2, v8, -v10
	v_fmac_f32_e32 v11, v3, v8
	v_add_f32_e32 v2, v12, v10
	v_add_f32_e32 v3, v13, v11
	ds_read_b128 v[10:13], v56 offset:4240
	s_waitcnt lgkmcnt(0)
	v_mul_f32_e32 v20, v11, v7
	v_mul_f32_e32 v7, v10, v7
	v_fmac_f32_e32 v7, v11, v6
	v_fma_f32 v20, v10, v6, -v20
	v_add_f32_e32 v15, v15, v7
	v_mul_f32_e32 v6, v11, v9
	v_mul_f32_e32 v7, v10, v9
	v_fma_f32 v6, v10, v8, -v6
	v_fmac_f32_e32 v7, v11, v8
	v_add_f32_e32 v10, v16, v6
	v_add_f32_e32 v11, v17, v7
	ds_read2_b64 v[6:9], v0 offset0:96 offset1:112
	v_add_f32_e32 v14, v14, v20
	s_waitcnt lgkmcnt(0)
	v_mul_f32_e32 v16, v5, v7
	v_fma_f32 v16, v4, v6, -v16
	v_add_f32_e32 v16, v18, v16
	v_mul_f32_e32 v18, v5, v9
	v_mul_f32_e32 v17, v4, v7
	v_fma_f32 v18, v4, v8, -v18
	v_mul_f32_e32 v4, v4, v9
	v_fmac_f32_e32 v17, v5, v6
	v_fmac_f32_e32 v4, v5, v8
	v_add_f32_e32 v17, v19, v17
	v_add_f32_e32 v18, v2, v18
	;; [unrolled: 1-line block ×3, first 2 shown]
	v_mul_f32_e32 v2, v13, v7
	v_mul_f32_e32 v3, v12, v7
	v_fma_f32 v2, v12, v6, -v2
	v_fmac_f32_e32 v3, v13, v6
	v_add_f32_e32 v20, v14, v2
	v_add_f32_e32 v21, v15, v3
	v_mul_f32_e32 v2, v13, v9
	v_mul_f32_e32 v3, v12, v9
	v_fma_f32 v2, v12, v8, -v2
	v_fmac_f32_e32 v3, v13, v8
	v_add_f32_e32 v10, v10, v2
	v_add_f32_e32 v11, v11, v3
	ds_read_b128 v[2:5], v56 offset:160
	ds_read2_b64 v[6:9], v0 offset0:128 offset1:144
	s_waitcnt lgkmcnt(0)
	v_mul_f32_e32 v12, v3, v7
	v_mul_f32_e32 v13, v2, v7
	v_mul_f32_e32 v14, v3, v9
	v_fma_f32 v12, v2, v6, -v12
	v_fmac_f32_e32 v13, v3, v6
	v_fma_f32 v14, v2, v8, -v14
	v_mul_f32_e32 v2, v2, v9
	v_add_f32_e32 v12, v16, v12
	v_add_f32_e32 v13, v17, v13
	v_fmac_f32_e32 v2, v3, v8
	v_add_f32_e32 v3, v18, v14
	ds_read_b128 v[14:17], v56 offset:4256
	v_add_f32_e32 v2, v19, v2
	s_waitcnt lgkmcnt(0)
	v_mul_f32_e32 v18, v15, v7
	v_mul_f32_e32 v7, v14, v7
	v_fmac_f32_e32 v7, v15, v6
	v_fma_f32 v18, v14, v6, -v18
	v_add_f32_e32 v19, v21, v7
	v_mul_f32_e32 v6, v15, v9
	v_mul_f32_e32 v7, v14, v9
	v_fma_f32 v6, v14, v8, -v6
	v_fmac_f32_e32 v7, v15, v8
	v_add_f32_e32 v18, v20, v18
	v_add_f32_e32 v20, v10, v6
	;; [unrolled: 1-line block ×3, first 2 shown]
	ds_read2_b64 v[6:9], v0 offset0:160 offset1:176
	s_waitcnt lgkmcnt(0)
	v_mul_f32_e32 v10, v5, v7
	v_fma_f32 v10, v4, v6, -v10
	v_add_f32_e32 v10, v12, v10
	v_mul_f32_e32 v12, v5, v9
	v_mul_f32_e32 v11, v4, v7
	v_fma_f32 v12, v4, v8, -v12
	v_mul_f32_e32 v4, v4, v9
	v_fmac_f32_e32 v11, v5, v6
	v_fmac_f32_e32 v4, v5, v8
	v_add_f32_e32 v11, v13, v11
	v_add_f32_e32 v12, v3, v12
	;; [unrolled: 1-line block ×3, first 2 shown]
	v_mul_f32_e32 v2, v17, v7
	v_mul_f32_e32 v3, v16, v7
	v_fma_f32 v2, v16, v6, -v2
	v_fmac_f32_e32 v3, v17, v6
	v_add_f32_e32 v14, v18, v2
	v_add_f32_e32 v15, v19, v3
	v_mul_f32_e32 v2, v17, v9
	v_mul_f32_e32 v3, v16, v9
	v_fma_f32 v2, v16, v8, -v2
	v_fmac_f32_e32 v3, v17, v8
	v_add_f32_e32 v16, v20, v2
	v_add_f32_e32 v17, v21, v3
	ds_read_b128 v[2:5], v56 offset:176
	ds_read2_b64 v[6:9], v0 offset0:192 offset1:208
	s_waitcnt lgkmcnt(0)
	v_mul_f32_e32 v18, v3, v7
	v_mul_f32_e32 v19, v2, v7
	v_fma_f32 v18, v2, v6, -v18
	v_fmac_f32_e32 v19, v3, v6
	v_add_f32_e32 v18, v10, v18
	v_add_f32_e32 v19, v11, v19
	v_mul_f32_e32 v10, v3, v9
	v_mul_f32_e32 v11, v2, v9
	v_fma_f32 v10, v2, v8, -v10
	v_fmac_f32_e32 v11, v3, v8
	v_add_f32_e32 v2, v12, v10
	v_add_f32_e32 v3, v13, v11
	ds_read_b128 v[10:13], v56 offset:4272
	s_waitcnt lgkmcnt(0)
	v_mul_f32_e32 v20, v11, v7
	v_mul_f32_e32 v7, v10, v7
	v_fmac_f32_e32 v7, v11, v6
	v_fma_f32 v20, v10, v6, -v20
	v_add_f32_e32 v15, v15, v7
	v_mul_f32_e32 v6, v11, v9
	v_mul_f32_e32 v7, v10, v9
	v_fma_f32 v6, v10, v8, -v6
	v_fmac_f32_e32 v7, v11, v8
	v_add_f32_e32 v10, v16, v6
	v_add_f32_e32 v11, v17, v7
	ds_read2_b64 v[6:9], v0 offset0:224 offset1:240
	v_add_f32_e32 v14, v14, v20
	s_waitcnt lgkmcnt(0)
	v_mul_f32_e32 v0, v5, v7
	v_fma_f32 v0, v4, v6, -v0
	v_add_f32_e32 v17, v18, v0
	v_mul_f32_e32 v0, v5, v9
	v_fma_f32 v0, v4, v8, -v0
	v_add_f32_e32 v18, v2, v0
	v_mul_f32_e32 v0, v13, v7
	v_fma_f32 v0, v12, v6, -v0
	v_mul_f32_e32 v2, v12, v7
	v_fmac_f32_e32 v2, v13, v6
	v_add_f32_e32 v20, v14, v0
	v_mul_f32_e32 v0, v13, v9
	v_mul_f32_e32 v16, v4, v7
	;; [unrolled: 1-line block ×3, first 2 shown]
	v_add_f32_e32 v21, v15, v2
	v_fma_f32 v0, v12, v8, -v0
	v_mul_f32_e32 v2, v12, v9
	v_fmac_f32_e32 v16, v5, v6
	v_fmac_f32_e32 v4, v5, v8
	;; [unrolled: 1-line block ×3, first 2 shown]
	v_add_f32_e32 v10, v10, v0
	v_add_u32_e32 v0, 0x1800, v58
	v_add_f32_e32 v16, v19, v16
	v_add_f32_e32 v19, v3, v4
	;; [unrolled: 1-line block ×3, first 2 shown]
	ds_read_b128 v[2:5], v56 offset:192
	ds_read2_b64 v[6:9], v0 offset1:16
	s_waitcnt lgkmcnt(0)
	v_mul_f32_e32 v12, v3, v7
	v_mul_f32_e32 v13, v2, v7
	;; [unrolled: 1-line block ×3, first 2 shown]
	v_fma_f32 v12, v2, v6, -v12
	v_fmac_f32_e32 v13, v3, v6
	v_fma_f32 v14, v2, v8, -v14
	v_mul_f32_e32 v2, v2, v9
	v_add_f32_e32 v12, v17, v12
	v_add_f32_e32 v13, v16, v13
	v_fmac_f32_e32 v2, v3, v8
	v_add_f32_e32 v3, v18, v14
	ds_read_b128 v[14:17], v56 offset:4288
	v_add_f32_e32 v2, v19, v2
	s_waitcnt lgkmcnt(0)
	v_mul_f32_e32 v18, v15, v7
	v_mul_f32_e32 v7, v14, v7
	v_fmac_f32_e32 v7, v15, v6
	v_fma_f32 v18, v14, v6, -v18
	v_add_f32_e32 v19, v21, v7
	v_mul_f32_e32 v6, v15, v9
	v_mul_f32_e32 v7, v14, v9
	v_fma_f32 v6, v14, v8, -v6
	v_fmac_f32_e32 v7, v15, v8
	v_add_f32_e32 v18, v20, v18
	v_add_f32_e32 v20, v10, v6
	;; [unrolled: 1-line block ×3, first 2 shown]
	ds_read2_b64 v[6:9], v0 offset0:32 offset1:48
	s_waitcnt lgkmcnt(0)
	v_mul_f32_e32 v10, v5, v7
	v_fma_f32 v10, v4, v6, -v10
	v_add_f32_e32 v10, v12, v10
	v_mul_f32_e32 v12, v5, v9
	v_mul_f32_e32 v11, v4, v7
	v_fma_f32 v12, v4, v8, -v12
	v_mul_f32_e32 v4, v4, v9
	v_fmac_f32_e32 v11, v5, v6
	v_fmac_f32_e32 v4, v5, v8
	v_add_f32_e32 v11, v13, v11
	v_add_f32_e32 v12, v3, v12
	v_add_f32_e32 v13, v2, v4
	v_mul_f32_e32 v2, v17, v7
	v_mul_f32_e32 v3, v16, v7
	v_fma_f32 v2, v16, v6, -v2
	v_fmac_f32_e32 v3, v17, v6
	v_add_f32_e32 v14, v18, v2
	v_add_f32_e32 v15, v19, v3
	v_mul_f32_e32 v2, v17, v9
	v_mul_f32_e32 v3, v16, v9
	v_fma_f32 v2, v16, v8, -v2
	v_fmac_f32_e32 v3, v17, v8
	v_add_f32_e32 v16, v20, v2
	v_add_f32_e32 v17, v21, v3
	ds_read_b128 v[2:5], v56 offset:208
	ds_read2_b64 v[6:9], v0 offset0:64 offset1:80
	s_waitcnt lgkmcnt(0)
	v_mul_f32_e32 v18, v3, v7
	v_mul_f32_e32 v19, v2, v7
	v_fma_f32 v18, v2, v6, -v18
	v_fmac_f32_e32 v19, v3, v6
	v_add_f32_e32 v18, v10, v18
	v_add_f32_e32 v19, v11, v19
	v_mul_f32_e32 v10, v3, v9
	v_mul_f32_e32 v11, v2, v9
	v_fma_f32 v10, v2, v8, -v10
	v_fmac_f32_e32 v11, v3, v8
	v_add_f32_e32 v2, v12, v10
	v_add_f32_e32 v3, v13, v11
	ds_read_b128 v[10:13], v56 offset:4304
	s_waitcnt lgkmcnt(0)
	v_mul_f32_e32 v20, v11, v7
	v_mul_f32_e32 v7, v10, v7
	v_fmac_f32_e32 v7, v11, v6
	v_fma_f32 v20, v10, v6, -v20
	v_add_f32_e32 v15, v15, v7
	v_mul_f32_e32 v6, v11, v9
	v_mul_f32_e32 v7, v10, v9
	v_fma_f32 v6, v10, v8, -v6
	v_fmac_f32_e32 v7, v11, v8
	v_add_f32_e32 v10, v16, v6
	v_add_f32_e32 v11, v17, v7
	ds_read2_b64 v[6:9], v0 offset0:96 offset1:112
	v_add_f32_e32 v14, v14, v20
	s_waitcnt lgkmcnt(0)
	v_mul_f32_e32 v16, v5, v7
	v_fma_f32 v16, v4, v6, -v16
	v_add_f32_e32 v16, v18, v16
	v_mul_f32_e32 v18, v5, v9
	v_mul_f32_e32 v17, v4, v7
	v_fma_f32 v18, v4, v8, -v18
	v_mul_f32_e32 v4, v4, v9
	v_fmac_f32_e32 v17, v5, v6
	v_fmac_f32_e32 v4, v5, v8
	v_add_f32_e32 v17, v19, v17
	v_add_f32_e32 v18, v2, v18
	;; [unrolled: 1-line block ×3, first 2 shown]
	v_mul_f32_e32 v2, v13, v7
	v_mul_f32_e32 v3, v12, v7
	v_fma_f32 v2, v12, v6, -v2
	v_fmac_f32_e32 v3, v13, v6
	v_add_f32_e32 v20, v14, v2
	v_add_f32_e32 v21, v15, v3
	v_mul_f32_e32 v2, v13, v9
	v_mul_f32_e32 v3, v12, v9
	v_fma_f32 v2, v12, v8, -v2
	v_fmac_f32_e32 v3, v13, v8
	v_add_f32_e32 v10, v10, v2
	v_add_f32_e32 v11, v11, v3
	ds_read_b128 v[2:5], v56 offset:224
	ds_read2_b64 v[6:9], v0 offset0:128 offset1:144
	s_waitcnt lgkmcnt(0)
	v_mul_f32_e32 v12, v3, v7
	v_mul_f32_e32 v13, v2, v7
	v_mul_f32_e32 v14, v3, v9
	v_fma_f32 v12, v2, v6, -v12
	v_fmac_f32_e32 v13, v3, v6
	v_fma_f32 v14, v2, v8, -v14
	v_mul_f32_e32 v2, v2, v9
	v_add_f32_e32 v12, v16, v12
	v_add_f32_e32 v13, v17, v13
	v_fmac_f32_e32 v2, v3, v8
	v_add_f32_e32 v3, v18, v14
	ds_read_b128 v[14:17], v56 offset:4320
	v_add_f32_e32 v2, v19, v2
	s_waitcnt lgkmcnt(0)
	v_mul_f32_e32 v18, v15, v7
	v_mul_f32_e32 v7, v14, v7
	v_fmac_f32_e32 v7, v15, v6
	v_fma_f32 v18, v14, v6, -v18
	v_add_f32_e32 v19, v21, v7
	v_mul_f32_e32 v6, v15, v9
	v_mul_f32_e32 v7, v14, v9
	v_fma_f32 v6, v14, v8, -v6
	v_fmac_f32_e32 v7, v15, v8
	v_add_f32_e32 v18, v20, v18
	v_add_f32_e32 v20, v10, v6
	v_add_f32_e32 v21, v11, v7
	ds_read2_b64 v[6:9], v0 offset0:160 offset1:176
	s_waitcnt lgkmcnt(0)
	v_mul_f32_e32 v10, v5, v7
	v_fma_f32 v10, v4, v6, -v10
	v_add_f32_e32 v10, v12, v10
	v_mul_f32_e32 v12, v5, v9
	v_mul_f32_e32 v11, v4, v7
	v_fma_f32 v12, v4, v8, -v12
	v_mul_f32_e32 v4, v4, v9
	v_fmac_f32_e32 v11, v5, v6
	v_fmac_f32_e32 v4, v5, v8
	v_add_f32_e32 v11, v13, v11
	v_add_f32_e32 v12, v3, v12
	;; [unrolled: 1-line block ×3, first 2 shown]
	v_mul_f32_e32 v2, v17, v7
	v_mul_f32_e32 v3, v16, v7
	v_fma_f32 v2, v16, v6, -v2
	v_fmac_f32_e32 v3, v17, v6
	v_add_f32_e32 v14, v18, v2
	v_add_f32_e32 v15, v19, v3
	v_mul_f32_e32 v2, v17, v9
	v_mul_f32_e32 v3, v16, v9
	v_fma_f32 v2, v16, v8, -v2
	v_fmac_f32_e32 v3, v17, v8
	v_add_f32_e32 v16, v20, v2
	v_add_f32_e32 v17, v21, v3
	ds_read_b128 v[2:5], v56 offset:240
	ds_read2_b64 v[6:9], v0 offset0:192 offset1:208
	s_waitcnt lgkmcnt(0)
	v_mul_f32_e32 v18, v3, v7
	v_mul_f32_e32 v19, v2, v7
	v_fma_f32 v18, v2, v6, -v18
	v_fmac_f32_e32 v19, v3, v6
	v_add_f32_e32 v18, v10, v18
	v_add_f32_e32 v20, v11, v19
	v_mul_f32_e32 v10, v3, v9
	v_mul_f32_e32 v11, v2, v9
	v_fma_f32 v10, v2, v8, -v10
	v_fmac_f32_e32 v11, v3, v8
	v_add_f32_e32 v2, v12, v10
	v_add_f32_e32 v3, v13, v11
	ds_read_b128 v[10:13], v56 offset:4336
	s_waitcnt lgkmcnt(0)
	v_mul_f32_e32 v19, v11, v7
	v_mul_f32_e32 v7, v10, v7
	v_fmac_f32_e32 v7, v11, v6
	v_fma_f32 v19, v10, v6, -v19
	v_add_f32_e32 v21, v15, v7
	v_mul_f32_e32 v6, v11, v9
	v_mul_f32_e32 v7, v10, v9
	v_fma_f32 v6, v10, v8, -v6
	v_fmac_f32_e32 v7, v11, v8
	v_add_f32_e32 v10, v16, v6
	v_add_f32_e32 v11, v17, v7
	ds_read2_b64 v[6:9], v0 offset0:224 offset1:240
	v_add_f32_e32 v14, v14, v19
	s_waitcnt lgkmcnt(0)
	s_barrier
	v_mul_f32_e32 v0, v5, v7
	v_fma_f32 v0, v4, v6, -v0
	v_add_f32_e32 v19, v18, v0
	v_mul_f32_e32 v0, v5, v9
	v_fma_f32 v0, v4, v8, -v0
	v_mul_f32_e32 v15, v4, v7
	v_add_f32_e32 v17, v2, v0
	v_mul_f32_e32 v0, v13, v7
	v_mul_f32_e32 v2, v12, v7
	v_fmac_f32_e32 v15, v5, v6
	v_fma_f32 v0, v12, v6, -v0
	v_fmac_f32_e32 v2, v13, v6
	v_add_f32_e32 v20, v20, v15
	v_add_f32_e32 v15, v14, v0
	;; [unrolled: 1-line block ×3, first 2 shown]
	v_mul_f32_e32 v0, v13, v9
	v_mul_f32_e32 v2, v12, v9
	v_fma_f32 v0, v12, v8, -v0
	v_fmac_f32_e32 v2, v13, v8
	v_add_f32_e32 v14, v10, v0
	v_add_f32_e32 v0, v11, v2
	v_mov_b32_e32 v2, s35
	v_addc_co_u32_e64 v41, s[10:11], v41, v2, s[10:11]
	v_add_co_u32_e64 v42, s[10:11], s34, v42
	v_mul_f32_e32 v4, v4, v9
	v_addc_co_u32_e64 v43, s[10:11], v43, v2, s[10:11]
	v_fmac_f32_e32 v4, v5, v8
	v_add_co_u32_e64 v54, s[10:11], s52, v54
	v_mov_b32_e32 v2, s53
	v_add_f32_e32 v18, v3, v4
	v_addc_co_u32_e64 v55, s[10:11], v55, v2, s[10:11]
	s_cbranch_scc1 .LBB95_56
.LBB95_7:                               ;   Parent Loop BB95_4 Depth=1
                                        ; =>  This Inner Loop Header: Depth=2
	v_mov_b32_e32 v2, s47
	v_add_co_u32_e64 v4, s[10:11], s46, v24
	v_addc_co_u32_e64 v5, s[10:11], v25, v2, s[10:11]
	v_cmp_eq_u64_e64 s[10:11], s[46:47], v[36:37]
	v_add_co_u32_e64 v2, s[12:13], v42, v38
	v_addc_co_u32_e64 v3, s[12:13], v43, v39, s[12:13]
	s_and_b64 s[56:57], s[22:23], s[10:11]
	v_cmp_lt_i64_e64 s[10:11], v[4:5], v[34:35]
	v_cmp_le_i64_e64 s[12:13], s[26:27], v[4:5]
	s_or_b64 s[14:15], vcc, s[10:11]
	s_or_b64 s[14:15], s[12:13], s[14:15]
	s_nor_b64 s[14:15], s[14:15], s[56:57]
	s_and_saveexec_b64 s[18:19], s[14:15]
	s_xor_b64 s[14:15], exec, s[18:19]
	s_cbranch_execz .LBB95_9
; %bb.8:                                ;   in Loop: Header=BB95_7 Depth=2
	global_load_dwordx2 v[6:7], v[2:3], off
	s_waitcnt vmcnt(0)
	v_xor_b32_e32 v7, 0x80000000, v7
	ds_write_b64 v57, v[6:7]
.LBB95_9:                               ;   in Loop: Header=BB95_7 Depth=2
	s_or_saveexec_b64 s[14:15], s[14:15]
	s_xor_b64 s[50:51], s[56:57], -1
	s_xor_b64 exec, exec, s[14:15]
	s_cbranch_execz .LBB95_15
; %bb.10:                               ;   in Loop: Header=BB95_7 Depth=2
	s_and_saveexec_b64 s[18:19], s[50:51]
	s_xor_b64 s[18:19], exec, s[18:19]
; %bb.11:                               ;   in Loop: Header=BB95_7 Depth=2
	v_mov_b32_e32 v6, v33
	v_mov_b32_e32 v7, v33
	ds_write_b64 v57, v[6:7]
; %bb.12:                               ;   in Loop: Header=BB95_7 Depth=2
	s_andn2_saveexec_b64 s[18:19], s[18:19]
; %bb.13:                               ;   in Loop: Header=BB95_7 Depth=2
	ds_write_b64 v57, v[32:33]
; %bb.14:                               ;   in Loop: Header=BB95_7 Depth=2
	s_or_b64 exec, exec, s[18:19]
.LBB95_15:                              ;   in Loop: Header=BB95_7 Depth=2
	s_or_b64 exec, exec, s[14:15]
	v_add_co_u32_e64 v6, s[18:19], 16, v4
	v_cmp_eq_u64_e64 s[14:15], s[46:47], v[52:53]
	v_addc_co_u32_e64 v7, s[18:19], 0, v5, s[18:19]
	v_cmp_lt_i64_e64 s[18:19], v[6:7], v[34:35]
	s_and_b64 s[20:21], s[22:23], s[14:15]
	v_cmp_le_i64_e64 s[14:15], s[26:27], v[6:7]
	s_or_b64 s[18:19], vcc, s[18:19]
	s_or_b64 s[18:19], s[14:15], s[18:19]
	s_nor_b64 s[18:19], s[18:19], s[20:21]
	s_and_saveexec_b64 s[58:59], s[18:19]
	s_xor_b64 s[58:59], exec, s[58:59]
	s_cbranch_execz .LBB95_17
; %bb.16:                               ;   in Loop: Header=BB95_7 Depth=2
	v_add_co_u32_e64 v6, s[18:19], v40, v38
	v_addc_co_u32_e64 v7, s[18:19], v41, v39, s[18:19]
	global_load_dwordx2 v[6:7], v[6:7], off
	s_waitcnt vmcnt(0)
	v_xor_b32_e32 v7, 0x80000000, v7
	ds_write_b64 v57, v[6:7] offset:128
.LBB95_17:                              ;   in Loop: Header=BB95_7 Depth=2
	s_andn2_saveexec_b64 s[18:19], s[58:59]
	s_cbranch_execz .LBB95_23
; %bb.18:                               ;   in Loop: Header=BB95_7 Depth=2
	s_xor_b64 s[20:21], s[20:21], -1
	s_and_saveexec_b64 s[58:59], s[20:21]
	s_xor_b64 s[20:21], exec, s[58:59]
; %bb.19:                               ;   in Loop: Header=BB95_7 Depth=2
	v_mov_b32_e32 v6, v33
	v_mov_b32_e32 v7, v33
	ds_write_b64 v57, v[6:7] offset:128
; %bb.20:                               ;   in Loop: Header=BB95_7 Depth=2
	s_andn2_saveexec_b64 s[20:21], s[20:21]
; %bb.21:                               ;   in Loop: Header=BB95_7 Depth=2
	ds_write_b64 v57, v[32:33] offset:128
; %bb.22:                               ;   in Loop: Header=BB95_7 Depth=2
	s_or_b64 exec, exec, s[20:21]
.LBB95_23:                              ;   in Loop: Header=BB95_7 Depth=2
	s_or_b64 exec, exec, s[18:19]
	buffer_load_dword v6, off, s[68:71], 0  ; 4-byte Folded Reload
	buffer_load_dword v7, off, s[68:71], 0 offset:4 ; 4-byte Folded Reload
	v_cmp_lt_i64_e64 s[20:21], v[4:5], v[48:49]
	s_or_b64 s[20:21], s[8:9], s[20:21]
	s_waitcnt vmcnt(0)
	v_cmp_eq_u64_e64 s[18:19], s[46:47], v[6:7]
	s_and_b64 s[18:19], s[22:23], s[18:19]
	s_or_b64 s[20:21], s[20:21], s[18:19]
	s_nor_b64 s[12:13], s[12:13], s[20:21]
	s_and_saveexec_b64 s[20:21], s[12:13]
	s_xor_b64 s[12:13], exec, s[20:21]
	s_cbranch_execz .LBB95_25
; %bb.24:                               ;   in Loop: Header=BB95_7 Depth=2
	global_load_dwordx2 v[2:3], v[2:3], off offset:128
	s_waitcnt vmcnt(0)
	v_xor_b32_e32 v3, 0x80000000, v3
	ds_write_b64 v57, v[2:3] offset:4096
.LBB95_25:                              ;   in Loop: Header=BB95_7 Depth=2
	s_andn2_saveexec_b64 s[12:13], s[12:13]
	s_cbranch_execz .LBB95_31
; %bb.26:                               ;   in Loop: Header=BB95_7 Depth=2
	s_xor_b64 s[18:19], s[18:19], -1
	s_and_saveexec_b64 s[20:21], s[18:19]
	s_xor_b64 s[18:19], exec, s[20:21]
; %bb.27:                               ;   in Loop: Header=BB95_7 Depth=2
	v_mov_b32_e32 v2, v33
	v_mov_b32_e32 v3, v33
	ds_write_b64 v57, v[2:3] offset:4096
; %bb.28:                               ;   in Loop: Header=BB95_7 Depth=2
	s_andn2_saveexec_b64 s[18:19], s[18:19]
; %bb.29:                               ;   in Loop: Header=BB95_7 Depth=2
	ds_write_b64 v57, v[32:33] offset:4096
; %bb.30:                               ;   in Loop: Header=BB95_7 Depth=2
	s_or_b64 exec, exec, s[18:19]
.LBB95_31:                              ;   in Loop: Header=BB95_7 Depth=2
	s_or_b64 exec, exec, s[12:13]
	s_or_b64 s[10:11], s[8:9], s[10:11]
	s_or_b64 s[10:11], s[14:15], s[10:11]
	s_nor_b64 s[10:11], s[10:11], s[56:57]
	s_and_saveexec_b64 s[12:13], s[10:11]
	s_xor_b64 s[12:13], exec, s[12:13]
	s_cbranch_execz .LBB95_33
; %bb.32:                               ;   in Loop: Header=BB95_7 Depth=2
	v_add_co_u32_e64 v2, s[10:11], v40, v38
	v_addc_co_u32_e64 v3, s[10:11], v41, v39, s[10:11]
	global_load_dwordx2 v[2:3], v[2:3], off offset:128
	s_waitcnt vmcnt(0)
	v_xor_b32_e32 v3, 0x80000000, v3
	ds_write_b64 v57, v[2:3] offset:4224
.LBB95_33:                              ;   in Loop: Header=BB95_7 Depth=2
	s_andn2_saveexec_b64 s[10:11], s[12:13]
	s_cbranch_execz .LBB95_39
; %bb.34:                               ;   in Loop: Header=BB95_7 Depth=2
	s_and_saveexec_b64 s[12:13], s[50:51]
	s_xor_b64 s[12:13], exec, s[12:13]
; %bb.35:                               ;   in Loop: Header=BB95_7 Depth=2
	v_mov_b32_e32 v2, v33
	v_mov_b32_e32 v3, v33
	ds_write_b64 v57, v[2:3] offset:4224
; %bb.36:                               ;   in Loop: Header=BB95_7 Depth=2
	s_andn2_saveexec_b64 s[12:13], s[12:13]
; %bb.37:                               ;   in Loop: Header=BB95_7 Depth=2
	ds_write_b64 v57, v[32:33] offset:4224
; %bb.38:                               ;   in Loop: Header=BB95_7 Depth=2
	s_or_b64 exec, exec, s[12:13]
.LBB95_39:                              ;   in Loop: Header=BB95_7 Depth=2
	s_or_b64 exec, exec, s[10:11]
	v_mov_b32_e32 v3, s47
	v_add_co_u32_e64 v2, s[10:11], s46, v26
	v_addc_co_u32_e64 v3, s[10:11], v27, v3, s[10:11]
	v_cmp_le_i64_e64 s[10:11], s[26:27], v[2:3]
	v_add_co_u32_e64 v4, s[12:13], v44, v54
	v_addc_co_u32_e64 v5, s[12:13], v45, v55, s[12:13]
	s_nor_b64 s[12:13], s[10:11], s[0:1]
	s_and_saveexec_b64 s[14:15], s[12:13]
	s_xor_b64 s[12:13], exec, s[14:15]
	s_cbranch_execz .LBB95_41
; %bb.40:                               ;   in Loop: Header=BB95_7 Depth=2
	global_load_dwordx2 v[6:7], v[4:5], off offset:-128
	s_waitcnt vmcnt(0)
	ds_write_b64 v59, v[6:7]
.LBB95_41:                              ;   in Loop: Header=BB95_7 Depth=2
	s_andn2_saveexec_b64 s[12:13], s[12:13]
; %bb.42:                               ;   in Loop: Header=BB95_7 Depth=2
	v_mov_b32_e32 v6, v33
	v_mov_b32_e32 v7, v33
	ds_write_b64 v59, v[6:7]
; %bb.43:                               ;   in Loop: Header=BB95_7 Depth=2
	s_or_b64 exec, exec, s[12:13]
	s_nor_b64 s[10:11], s[10:11], s[2:3]
	s_and_saveexec_b64 s[12:13], s[10:11]
	s_xor_b64 s[10:11], exec, s[12:13]
	s_cbranch_execz .LBB95_45
; %bb.44:                               ;   in Loop: Header=BB95_7 Depth=2
	global_load_dwordx2 v[4:5], v[4:5], off
	s_waitcnt vmcnt(0)
	ds_write_b64 v59, v[4:5] offset:128
.LBB95_45:                              ;   in Loop: Header=BB95_7 Depth=2
	s_andn2_saveexec_b64 s[10:11], s[10:11]
; %bb.46:                               ;   in Loop: Header=BB95_7 Depth=2
	v_mov_b32_e32 v4, v33
	v_mov_b32_e32 v5, v33
	ds_write_b64 v59, v[4:5] offset:128
; %bb.47:                               ;   in Loop: Header=BB95_7 Depth=2
	s_or_b64 exec, exec, s[10:11]
	v_cmp_le_i64_e64 s[10:11], s[54:55], v[2:3]
	v_add_co_u32_e64 v2, s[12:13], v46, v54
	v_addc_co_u32_e64 v3, s[12:13], v47, v55, s[12:13]
	s_nor_b64 s[12:13], s[10:11], s[0:1]
	s_and_saveexec_b64 s[14:15], s[12:13]
	s_xor_b64 s[12:13], exec, s[14:15]
	s_cbranch_execz .LBB95_49
; %bb.48:                               ;   in Loop: Header=BB95_7 Depth=2
	global_load_dwordx2 v[4:5], v[2:3], off
	s_waitcnt vmcnt(0)
	ds_write_b64 v59, v[4:5] offset:4096
.LBB95_49:                              ;   in Loop: Header=BB95_7 Depth=2
	s_andn2_saveexec_b64 s[12:13], s[12:13]
; %bb.50:                               ;   in Loop: Header=BB95_7 Depth=2
	v_mov_b32_e32 v4, v33
	v_mov_b32_e32 v5, v33
	ds_write_b64 v59, v[4:5] offset:4096
; %bb.51:                               ;   in Loop: Header=BB95_7 Depth=2
	s_or_b64 exec, exec, s[12:13]
	s_nor_b64 s[10:11], s[10:11], s[2:3]
	s_and_saveexec_b64 s[12:13], s[10:11]
	s_xor_b64 s[10:11], exec, s[12:13]
	s_cbranch_execz .LBB95_53
; %bb.52:                               ;   in Loop: Header=BB95_7 Depth=2
	global_load_dwordx2 v[2:3], v[2:3], off offset:128
	s_waitcnt vmcnt(0)
	ds_write_b64 v59, v[2:3] offset:4224
.LBB95_53:                              ;   in Loop: Header=BB95_7 Depth=2
	s_andn2_saveexec_b64 s[10:11], s[10:11]
	s_cbranch_execz .LBB95_6
; %bb.54:                               ;   in Loop: Header=BB95_7 Depth=2
	v_mov_b32_e32 v2, v33
	v_mov_b32_e32 v3, v33
	ds_write_b64 v59, v[2:3] offset:4224
	s_branch .LBB95_6
.LBB95_55:                              ;   in Loop: Header=BB95_4 Depth=1
	v_mov_b32_e32 v19, 0
	v_mov_b32_e32 v20, 0
	;; [unrolled: 1-line block ×8, first 2 shown]
.LBB95_56:                              ;   in Loop: Header=BB95_4 Depth=1
	v_mul_lo_u32 v4, s25, v34
	v_mul_lo_u32 v5, s24, v35
	v_mad_u64_u32 v[2:3], s[8:9], s24, v34, 0
	v_cmp_gt_i32_e32 vcc, s30, v34
	v_add3_u32 v3, v3, v5, v4
	v_lshlrev_b64 v[2:3], 3, v[2:3]
	v_mov_b32_e32 v4, s62
	v_add_co_u32_e64 v2, s[8:9], s61, v2
	v_addc_co_u32_e64 v3, s[8:9], v4, v3, s[8:9]
	s_and_b64 s[8:9], s[4:5], vcc
	s_and_saveexec_b64 s[10:11], s[8:9]
	s_cbranch_execz .LBB95_58
; %bb.57:                               ;   in Loop: Header=BB95_4 Depth=1
	buffer_load_dword v4, off, s[68:71], 0 offset:16 ; 4-byte Folded Reload
	buffer_load_dword v5, off, s[68:71], 0 offset:20 ; 4-byte Folded Reload
	v_mul_f32_e32 v8, s33, v20
	v_mul_f32_e32 v9, s31, v20
	v_fma_f32 v8, v19, s31, -v8
	v_fmac_f32_e32 v9, s33, v19
	s_waitcnt vmcnt(1)
	v_add_co_u32_e64 v4, s[8:9], v2, v4
	s_waitcnt vmcnt(0)
	v_addc_co_u32_e64 v5, s[8:9], v3, v5, s[8:9]
	global_load_dwordx2 v[6:7], v[4:5], off
	s_waitcnt vmcnt(0)
	v_add_f32_e32 v6, v6, v8
	v_add_f32_e32 v7, v9, v7
	global_store_dwordx2 v[4:5], v[6:7], off
.LBB95_58:                              ;   in Loop: Header=BB95_4 Depth=1
	s_or_b64 exec, exec, s[10:11]
	s_and_b64 s[10:11], s[16:17], vcc
	s_and_saveexec_b64 s[8:9], s[10:11]
	s_cbranch_execz .LBB95_60
; %bb.59:                               ;   in Loop: Header=BB95_4 Depth=1
	buffer_load_dword v4, off, s[68:71], 0 offset:8 ; 4-byte Folded Reload
	buffer_load_dword v5, off, s[68:71], 0 offset:12 ; 4-byte Folded Reload
	v_mul_f32_e32 v6, s33, v18
	v_mul_f32_e32 v7, s31, v18
	v_fma_f32 v6, v17, s31, -v6
	v_fmac_f32_e32 v7, s33, v17
	s_waitcnt vmcnt(0)
	v_lshlrev_b64 v[4:5], 3, v[4:5]
	v_add_co_u32_e32 v2, vcc, v2, v4
	v_addc_co_u32_e32 v3, vcc, v3, v5, vcc
	global_load_dwordx2 v[4:5], v[2:3], off
	s_waitcnt vmcnt(0)
	v_add_f32_e32 v4, v4, v6
	v_add_f32_e32 v5, v7, v5
	global_store_dwordx2 v[2:3], v[4:5], off
.LBB95_60:                              ;   in Loop: Header=BB95_4 Depth=1
	s_or_b64 exec, exec, s[8:9]
	v_add_u32_e32 v4, 16, v34
	v_ashrrev_i32_e32 v2, 31, v4
	v_mul_lo_u32 v5, s24, v2
	v_mul_lo_u32 v6, s25, v4
	v_mad_u64_u32 v[2:3], s[8:9], s24, v4, 0
	v_cmp_gt_i32_e32 vcc, s30, v4
	v_mov_b32_e32 v4, s62
	v_add3_u32 v3, v3, v5, v6
	v_lshlrev_b64 v[2:3], 3, v[2:3]
	v_add_co_u32_e64 v2, s[8:9], s61, v2
	v_addc_co_u32_e64 v3, s[8:9], v4, v3, s[8:9]
	s_and_b64 s[8:9], s[4:5], vcc
	s_and_saveexec_b64 s[10:11], s[8:9]
	s_cbranch_execz .LBB95_62
; %bb.61:                               ;   in Loop: Header=BB95_4 Depth=1
	buffer_load_dword v4, off, s[68:71], 0 offset:16 ; 4-byte Folded Reload
	buffer_load_dword v5, off, s[68:71], 0 offset:20 ; 4-byte Folded Reload
	v_mul_f32_e32 v8, s33, v16
	v_mul_f32_e32 v9, s31, v16
	v_fma_f32 v8, v15, s31, -v8
	v_fmac_f32_e32 v9, s33, v15
	s_waitcnt vmcnt(1)
	v_add_co_u32_e64 v4, s[8:9], v2, v4
	s_waitcnt vmcnt(0)
	v_addc_co_u32_e64 v5, s[8:9], v3, v5, s[8:9]
	global_load_dwordx2 v[6:7], v[4:5], off
	s_waitcnt vmcnt(0)
	v_add_f32_e32 v6, v6, v8
	v_add_f32_e32 v7, v9, v7
	global_store_dwordx2 v[4:5], v[6:7], off
.LBB95_62:                              ;   in Loop: Header=BB95_4 Depth=1
	s_or_b64 exec, exec, s[10:11]
	s_and_b64 s[10:11], s[16:17], vcc
	s_and_saveexec_b64 s[8:9], s[10:11]
	s_cbranch_execz .LBB95_3
; %bb.63:                               ;   in Loop: Header=BB95_4 Depth=1
	buffer_load_dword v4, off, s[68:71], 0 offset:8 ; 4-byte Folded Reload
	buffer_load_dword v5, off, s[68:71], 0 offset:12 ; 4-byte Folded Reload
	v_mul_f32_e32 v6, s33, v0
	v_mul_f32_e32 v0, s31, v0
	v_fma_f32 v6, v14, s31, -v6
	v_fmac_f32_e32 v0, s33, v14
	s_waitcnt vmcnt(0)
	v_lshlrev_b64 v[4:5], 3, v[4:5]
	v_add_co_u32_e32 v2, vcc, v2, v4
	v_addc_co_u32_e32 v3, vcc, v3, v5, vcc
	global_load_dwordx2 v[4:5], v[2:3], off
	s_waitcnt vmcnt(0)
	v_add_f32_e32 v4, v4, v6
	v_add_f32_e32 v5, v0, v5
	global_store_dwordx2 v[2:3], v[4:5], off
	s_branch .LBB95_3
.LBB95_64:
	s_endpgm
	.section	.rodata,"a",@progbits
	.p2align	6, 0x0
	.amdhsa_kernel _ZL30rocblas_trmm_outofplace_kernelI19rocblas_complex_numIfELi32ELi2ELb0ELb1ELb1ELb1ES1_KS1_S1_Ev17rocblas_diagonal_iiT6_lPT7_lllS6_lllPT8_llli
		.amdhsa_group_segment_fixed_size 16384
		.amdhsa_private_segment_fixed_size 36
		.amdhsa_kernarg_size 392
		.amdhsa_user_sgpr_count 6
		.amdhsa_user_sgpr_private_segment_buffer 1
		.amdhsa_user_sgpr_dispatch_ptr 0
		.amdhsa_user_sgpr_queue_ptr 0
		.amdhsa_user_sgpr_kernarg_segment_ptr 1
		.amdhsa_user_sgpr_dispatch_id 0
		.amdhsa_user_sgpr_flat_scratch_init 0
		.amdhsa_user_sgpr_private_segment_size 0
		.amdhsa_uses_dynamic_stack 0
		.amdhsa_system_sgpr_private_segment_wavefront_offset 1
		.amdhsa_system_sgpr_workgroup_id_x 1
		.amdhsa_system_sgpr_workgroup_id_y 1
		.amdhsa_system_sgpr_workgroup_id_z 1
		.amdhsa_system_sgpr_workgroup_info 0
		.amdhsa_system_vgpr_workitem_id 1
		.amdhsa_next_free_vgpr 64
		.amdhsa_next_free_sgpr 72
		.amdhsa_reserve_vcc 1
		.amdhsa_reserve_flat_scratch 0
		.amdhsa_float_round_mode_32 0
		.amdhsa_float_round_mode_16_64 0
		.amdhsa_float_denorm_mode_32 3
		.amdhsa_float_denorm_mode_16_64 3
		.amdhsa_dx10_clamp 1
		.amdhsa_ieee_mode 1
		.amdhsa_fp16_overflow 0
		.amdhsa_exception_fp_ieee_invalid_op 0
		.amdhsa_exception_fp_denorm_src 0
		.amdhsa_exception_fp_ieee_div_zero 0
		.amdhsa_exception_fp_ieee_overflow 0
		.amdhsa_exception_fp_ieee_underflow 0
		.amdhsa_exception_fp_ieee_inexact 0
		.amdhsa_exception_int_div_zero 0
	.end_amdhsa_kernel
	.section	.text._ZL30rocblas_trmm_outofplace_kernelI19rocblas_complex_numIfELi32ELi2ELb0ELb1ELb1ELb1ES1_KS1_S1_Ev17rocblas_diagonal_iiT6_lPT7_lllS6_lllPT8_llli,"axG",@progbits,_ZL30rocblas_trmm_outofplace_kernelI19rocblas_complex_numIfELi32ELi2ELb0ELb1ELb1ELb1ES1_KS1_S1_Ev17rocblas_diagonal_iiT6_lPT7_lllS6_lllPT8_llli,comdat
.Lfunc_end95:
	.size	_ZL30rocblas_trmm_outofplace_kernelI19rocblas_complex_numIfELi32ELi2ELb0ELb1ELb1ELb1ES1_KS1_S1_Ev17rocblas_diagonal_iiT6_lPT7_lllS6_lllPT8_llli, .Lfunc_end95-_ZL30rocblas_trmm_outofplace_kernelI19rocblas_complex_numIfELi32ELi2ELb0ELb1ELb1ELb1ES1_KS1_S1_Ev17rocblas_diagonal_iiT6_lPT7_lllS6_lllPT8_llli
                                        ; -- End function
	.set _ZL30rocblas_trmm_outofplace_kernelI19rocblas_complex_numIfELi32ELi2ELb0ELb1ELb1ELb1ES1_KS1_S1_Ev17rocblas_diagonal_iiT6_lPT7_lllS6_lllPT8_llli.num_vgpr, 64
	.set _ZL30rocblas_trmm_outofplace_kernelI19rocblas_complex_numIfELi32ELi2ELb0ELb1ELb1ELb1ES1_KS1_S1_Ev17rocblas_diagonal_iiT6_lPT7_lllS6_lllPT8_llli.num_agpr, 0
	.set _ZL30rocblas_trmm_outofplace_kernelI19rocblas_complex_numIfELi32ELi2ELb0ELb1ELb1ELb1ES1_KS1_S1_Ev17rocblas_diagonal_iiT6_lPT7_lllS6_lllPT8_llli.numbered_sgpr, 72
	.set _ZL30rocblas_trmm_outofplace_kernelI19rocblas_complex_numIfELi32ELi2ELb0ELb1ELb1ELb1ES1_KS1_S1_Ev17rocblas_diagonal_iiT6_lPT7_lllS6_lllPT8_llli.num_named_barrier, 0
	.set _ZL30rocblas_trmm_outofplace_kernelI19rocblas_complex_numIfELi32ELi2ELb0ELb1ELb1ELb1ES1_KS1_S1_Ev17rocblas_diagonal_iiT6_lPT7_lllS6_lllPT8_llli.private_seg_size, 36
	.set _ZL30rocblas_trmm_outofplace_kernelI19rocblas_complex_numIfELi32ELi2ELb0ELb1ELb1ELb1ES1_KS1_S1_Ev17rocblas_diagonal_iiT6_lPT7_lllS6_lllPT8_llli.uses_vcc, 1
	.set _ZL30rocblas_trmm_outofplace_kernelI19rocblas_complex_numIfELi32ELi2ELb0ELb1ELb1ELb1ES1_KS1_S1_Ev17rocblas_diagonal_iiT6_lPT7_lllS6_lllPT8_llli.uses_flat_scratch, 0
	.set _ZL30rocblas_trmm_outofplace_kernelI19rocblas_complex_numIfELi32ELi2ELb0ELb1ELb1ELb1ES1_KS1_S1_Ev17rocblas_diagonal_iiT6_lPT7_lllS6_lllPT8_llli.has_dyn_sized_stack, 0
	.set _ZL30rocblas_trmm_outofplace_kernelI19rocblas_complex_numIfELi32ELi2ELb0ELb1ELb1ELb1ES1_KS1_S1_Ev17rocblas_diagonal_iiT6_lPT7_lllS6_lllPT8_llli.has_recursion, 0
	.set _ZL30rocblas_trmm_outofplace_kernelI19rocblas_complex_numIfELi32ELi2ELb0ELb1ELb1ELb1ES1_KS1_S1_Ev17rocblas_diagonal_iiT6_lPT7_lllS6_lllPT8_llli.has_indirect_call, 0
	.section	.AMDGPU.csdata,"",@progbits
; Kernel info:
; codeLenInByte = 6768
; TotalNumSgprs: 76
; NumVgprs: 64
; ScratchSize: 36
; MemoryBound: 0
; FloatMode: 240
; IeeeMode: 1
; LDSByteSize: 16384 bytes/workgroup (compile time only)
; SGPRBlocks: 9
; VGPRBlocks: 15
; NumSGPRsForWavesPerEU: 76
; NumVGPRsForWavesPerEU: 64
; Occupancy: 4
; WaveLimiterHint : 0
; COMPUTE_PGM_RSRC2:SCRATCH_EN: 1
; COMPUTE_PGM_RSRC2:USER_SGPR: 6
; COMPUTE_PGM_RSRC2:TRAP_HANDLER: 0
; COMPUTE_PGM_RSRC2:TGID_X_EN: 1
; COMPUTE_PGM_RSRC2:TGID_Y_EN: 1
; COMPUTE_PGM_RSRC2:TGID_Z_EN: 1
; COMPUTE_PGM_RSRC2:TIDIG_COMP_CNT: 1
	.section	.text._ZL23rocblas_trmm_lNx_kernelILi16E19rocblas_complex_numIfEPKS1_S2_S1_Ev13rocblas_fill_17rocblas_diagonal_iiT1_lPT2_llS8_llPT3_lli,"axG",@progbits,_ZL23rocblas_trmm_lNx_kernelILi16E19rocblas_complex_numIfEPKS1_S2_S1_Ev13rocblas_fill_17rocblas_diagonal_iiT1_lPT2_llS8_llPT3_lli,comdat
	.globl	_ZL23rocblas_trmm_lNx_kernelILi16E19rocblas_complex_numIfEPKS1_S2_S1_Ev13rocblas_fill_17rocblas_diagonal_iiT1_lPT2_llS8_llPT3_lli ; -- Begin function _ZL23rocblas_trmm_lNx_kernelILi16E19rocblas_complex_numIfEPKS1_S2_S1_Ev13rocblas_fill_17rocblas_diagonal_iiT1_lPT2_llS8_llPT3_lli
	.p2align	8
	.type	_ZL23rocblas_trmm_lNx_kernelILi16E19rocblas_complex_numIfEPKS1_S2_S1_Ev13rocblas_fill_17rocblas_diagonal_iiT1_lPT2_llS8_llPT3_lli,@function
_ZL23rocblas_trmm_lNx_kernelILi16E19rocblas_complex_numIfEPKS1_S2_S1_Ev13rocblas_fill_17rocblas_diagonal_iiT1_lPT2_llS8_llPT3_lli: ; @_ZL23rocblas_trmm_lNx_kernelILi16E19rocblas_complex_numIfEPKS1_S2_S1_Ev13rocblas_fill_17rocblas_diagonal_iiT1_lPT2_llS8_llPT3_lli
; %bb.0:
	s_load_dwordx16 s[8:23], s[4:5], 0x10
	s_waitcnt lgkmcnt(0)
	s_mul_i32 s0, s11, s7
	s_mul_hi_u32 s1, s10, s7
	s_add_i32 s1, s1, s0
	s_mul_i32 s0, s10, s7
	s_lshl_b64 s[0:1], s[0:1], 3
	s_add_u32 s0, s8, s0
	s_addc_u32 s1, s9, s1
	s_load_dwordx2 s[2:3], s[0:1], 0x0
	s_waitcnt lgkmcnt(0)
	v_cmp_neq_f32_e64 s[0:1], s2, 0
	v_cmp_neq_f32_e64 s[8:9], s3, 0
	s_or_b64 s[0:1], s[0:1], s[8:9]
	s_andn2_b64 vcc, exec, s[0:1]
	s_mov_b32 s0, 0
	s_cbranch_vccnz .LBB96_15
; %bb.1:
	s_load_dwordx4 s[8:11], s[4:5], 0x0
	s_mov_b32 s1, s0
	v_mov_b32_e32 v6, s1
	v_lshlrev_b32_e32 v3, 4, v1
	v_mov_b32_e32 v5, s0
	s_waitcnt lgkmcnt(0)
	v_cmp_gt_i32_e64 s[0:1], s10, v1
	v_cmp_gt_i32_e32 vcc, s10, v0
	v_add_lshl_u32 v4, v3, v0, 3
	s_and_b64 s[0:1], s[0:1], vcc
	v_lshlrev_b32_e32 v2, 3, v0
	ds_write2st64_b64 v4, v[5:6], v[5:6] offset1:4
	s_and_saveexec_b64 s[24:25], s[0:1]
	s_cbranch_execz .LBB96_3
; %bb.2:
	v_mad_u64_u32 v[5:6], s[0:1], s14, v1, 0
	s_mul_i32 s10, s17, s7
	s_mul_hi_u32 s0, s16, s7
	v_mad_u64_u32 v[6:7], s[14:15], s15, v1, v[6:7]
	s_add_i32 s1, s0, s10
	s_mul_i32 s0, s16, s7
	s_lshl_b64 s[0:1], s[0:1], 3
	s_add_u32 s0, s12, s0
	v_lshlrev_b64 v[5:6], 3, v[5:6]
	s_addc_u32 s1, s13, s1
	v_mov_b32_e32 v7, s1
	v_add_co_u32_e64 v5, s[0:1], s0, v5
	v_addc_co_u32_e64 v6, s[0:1], v7, v6, s[0:1]
	v_add_co_u32_e64 v5, s[0:1], v5, v2
	v_addc_co_u32_e64 v6, s[0:1], 0, v6, s[0:1]
	global_load_dwordx2 v[5:6], v[5:6], off
	s_waitcnt vmcnt(0)
	ds_write_b64 v4, v[5:6]
.LBB96_3:
	s_or_b64 exec, exec, s[24:25]
	s_add_i32 s0, s11, -1
	s_ashr_i32 s1, s0, 31
	s_lshr_b32 s1, s1, 28
	s_add_i32 s0, s0, s1
	s_ashr_i32 s1, s0, 4
	s_and_b32 s0, s0, -16
	s_sub_i32 s0, s11, s0
	s_cmp_ge_i32 s6, s1
	s_cselect_b32 s0, s0, 16
	s_lshl_b32 s6, s6, 4
	v_cmp_gt_i32_e64 s[0:1], s0, v1
	s_ashr_i32 s12, s6, 31
	s_and_b64 s[0:1], vcc, s[0:1]
	s_and_saveexec_b64 s[10:11], s[0:1]
	s_cbranch_execz .LBB96_5
; %bb.4:
	s_mul_i32 s13, s23, s7
	s_mul_hi_u32 s14, s22, s7
	s_add_i32 s15, s14, s13
	s_mul_i32 s14, s22, s7
	s_lshl_b64 s[14:15], s[14:15], 3
	s_add_u32 s13, s18, s14
	s_addc_u32 s18, s19, s15
	s_mul_i32 s14, s20, s12
	s_mul_hi_u32 s15, s20, s6
	s_add_i32 s16, s15, s14
	v_mad_u64_u32 v[5:6], s[14:15], s20, v1, 0
	s_mul_i32 s14, s21, s6
	s_add_i32 s15, s16, s14
	v_mad_u64_u32 v[6:7], s[16:17], s21, v1, v[6:7]
	s_mul_i32 s14, s20, s6
	s_lshl_b64 s[14:15], s[14:15], 3
	s_add_u32 s13, s13, s14
	v_lshlrev_b64 v[5:6], 3, v[5:6]
	s_addc_u32 s14, s18, s15
	v_mov_b32_e32 v7, s14
	v_add_co_u32_e32 v5, vcc, s13, v5
	v_addc_co_u32_e32 v6, vcc, v7, v6, vcc
	v_add_co_u32_e32 v5, vcc, v5, v2
	v_addc_co_u32_e32 v6, vcc, 0, v6, vcc
	global_load_dwordx2 v[5:6], v[5:6], off
	v_add_u32_e32 v7, 0x800, v4
	s_waitcnt vmcnt(0)
	ds_write_b64 v7, v[5:6]
.LBB96_5:
	s_or_b64 exec, exec, s[10:11]
	s_cmpk_eq_i32 s9, 0x84
	s_cselect_b64 s[10:11], -1, 0
	v_cmp_eq_u32_e32 vcc, v1, v0
	s_and_b64 s[14:15], vcc, s[10:11]
	s_and_saveexec_b64 s[10:11], s[14:15]
; %bb.6:
	v_mov_b32_e32 v5, 1.0
	v_mov_b32_e32 v6, 0
	ds_write_b64 v4, v[5:6]
; %bb.7:
	s_or_b64 exec, exec, s[10:11]
	s_cmpk_lg_i32 s8, 0x79
	s_cbranch_scc0 .LBB96_9
; %bb.8:
	v_cmp_lt_u32_e32 vcc, v0, v1
	s_and_b64 s[8:9], vcc, exec
	s_cbranch_execz .LBB96_10
	s_branch .LBB96_11
.LBB96_9:
	s_mov_b64 s[8:9], 0
.LBB96_10:
	v_cmp_gt_u32_e32 vcc, v0, v1
	s_andn2_b64 s[8:9], s[8:9], exec
	s_and_b64 s[10:11], vcc, exec
	s_or_b64 s[8:9], s[8:9], s[10:11]
.LBB96_11:
	s_and_saveexec_b64 s[10:11], s[8:9]
; %bb.12:
	v_mov_b32_e32 v5, 0
	v_mov_b32_e32 v6, v5
	ds_write_b64 v4, v[5:6]
; %bb.13:
	s_or_b64 exec, exec, s[10:11]
	s_waitcnt lgkmcnt(0)
	s_barrier
	s_and_saveexec_b64 s[8:9], s[0:1]
	s_cbranch_execz .LBB96_15
; %bb.14:
	v_lshlrev_b32_e32 v0, 3, v3
	ds_read2_b64 v[3:6], v2 offset1:16
	ds_read_b128 v[7:10], v0 offset:2048
	ds_read_b128 v[11:14], v0 offset:2064
	ds_read2_b64 v[15:18], v2 offset0:32 offset1:48
	s_load_dwordx2 s[0:1], s[4:5], 0x60
	s_load_dwordx4 s[8:11], s[4:5], 0x50
	s_waitcnt lgkmcnt(0)
	v_mul_f32_e32 v19, v7, v4
	v_mul_f32_e32 v4, v8, v4
	;; [unrolled: 1-line block ×3, first 2 shown]
	v_fmac_f32_e32 v19, v8, v3
	v_fma_f32 v21, v7, v3, -v4
	v_mul_f32_e32 v3, v10, v6
	v_fmac_f32_e32 v20, v10, v5
	v_fma_f32 v22, v9, v5, -v3
	ds_read2_b64 v[3:6], v2 offset0:64 offset1:80
	ds_read_b128 v[7:10], v0 offset:2080
	v_mul_f32_e32 v23, v11, v16
	v_fmac_f32_e32 v23, v12, v15
	v_mul_f32_e32 v12, v12, v16
	v_mul_f32_e32 v24, v13, v18
	v_fma_f32 v15, v11, v15, -v12
	v_mul_f32_e32 v11, v14, v18
	v_fmac_f32_e32 v24, v14, v17
	v_fma_f32 v16, v13, v17, -v11
	s_waitcnt lgkmcnt(0)
	v_mul_f32_e32 v17, v7, v4
	v_mul_f32_e32 v4, v8, v4
	v_fmac_f32_e32 v17, v8, v3
	v_mul_f32_e32 v18, v9, v6
	v_fma_f32 v25, v7, v3, -v4
	v_mul_f32_e32 v3, v10, v6
	ds_read_b128 v[11:14], v0 offset:2096
	v_fmac_f32_e32 v18, v10, v5
	v_fma_f32 v26, v9, v5, -v3
	ds_read2_b64 v[3:6], v2 offset0:96 offset1:112
	s_mul_i32 s1, s1, s7
	s_mul_hi_u32 s4, s0, s7
	s_add_i32 s1, s4, s1
	s_mul_i32 s0, s0, s7
	s_waitcnt lgkmcnt(0)
	v_mul_f32_e32 v27, v11, v4
	v_mul_f32_e32 v4, v12, v4
	v_fmac_f32_e32 v27, v12, v3
	v_mul_f32_e32 v28, v13, v6
	v_fma_f32 v11, v11, v3, -v4
	v_mul_f32_e32 v3, v14, v6
	v_fmac_f32_e32 v28, v14, v5
	v_fma_f32 v12, v13, v5, -v3
	ds_read2_b64 v[3:6], v2 offset0:128 offset1:144
	ds_read_b128 v[7:10], v0 offset:2112
	s_lshl_b64 s[0:1], s[0:1], 3
	s_add_u32 s4, s8, s0
	s_addc_u32 s5, s9, s1
	s_mul_i32 s0, s10, s12
	s_waitcnt lgkmcnt(0)
	v_mul_f32_e32 v13, v7, v4
	v_mul_f32_e32 v4, v8, v4
	v_fmac_f32_e32 v13, v8, v3
	v_mul_f32_e32 v14, v9, v6
	v_fma_f32 v29, v7, v3, -v4
	v_mul_f32_e32 v3, v10, v6
	v_fmac_f32_e32 v14, v10, v5
	v_fma_f32 v30, v9, v5, -v3
	ds_read_b128 v[3:6], v0 offset:2128
	ds_read2_b64 v[7:10], v2 offset0:160 offset1:176
	s_mul_hi_u32 s1, s10, s6
	s_add_i32 s0, s1, s0
	s_mul_i32 s1, s11, s6
	s_add_i32 s1, s0, s1
	s_waitcnt lgkmcnt(0)
	v_mul_f32_e32 v31, v3, v8
	v_fmac_f32_e32 v31, v4, v7
	v_mul_f32_e32 v4, v4, v8
	v_mul_f32_e32 v32, v5, v10
	v_fma_f32 v33, v3, v7, -v4
	v_mul_f32_e32 v3, v6, v10
	v_fmac_f32_e32 v32, v6, v9
	v_fma_f32 v34, v5, v9, -v3
	ds_read_b128 v[3:6], v0 offset:2144
	ds_read2_b64 v[7:10], v2 offset0:192 offset1:208
	s_mul_i32 s0, s10, s6
	s_lshl_b64 s[0:1], s[0:1], 3
	s_add_u32 s4, s4, s0
	s_addc_u32 s5, s5, s1
	s_waitcnt lgkmcnt(0)
	v_mul_f32_e32 v35, v3, v8
	v_fmac_f32_e32 v35, v4, v7
	v_mul_f32_e32 v4, v4, v8
	v_fma_f32 v37, v3, v7, -v4
	v_mul_f32_e32 v3, v6, v10
	v_fma_f32 v38, v5, v9, -v3
	v_add_f32_e32 v3, 0, v19
	v_add_f32_e32 v3, v3, v20
	v_add_f32_e32 v3, v3, v23
	v_add_f32_e32 v3, v3, v24
	v_add_f32_e32 v3, v3, v17
	v_mul_f32_e32 v36, v5, v10
	v_add_f32_e32 v7, v3, v18
	v_fmac_f32_e32 v36, v6, v9
	ds_read_b128 v[3:6], v0 offset:2160
	v_add_f32_e32 v0, v7, v27
	v_add_f32_e32 v0, v0, v28
	ds_read2_b64 v[7:10], v2 offset0:224 offset1:240
	v_add_f32_e32 v0, v0, v13
	v_add_f32_e32 v0, v0, v14
	;; [unrolled: 1-line block ×5, first 2 shown]
	s_waitcnt lgkmcnt(0)
	v_mul_f32_e32 v13, v3, v8
	v_add_f32_e32 v0, v0, v36
	v_fmac_f32_e32 v13, v4, v7
	v_add_f32_e32 v0, v0, v13
	v_mul_f32_e32 v13, v5, v10
	v_fmac_f32_e32 v13, v6, v9
	v_add_f32_e32 v13, v0, v13
	v_add_f32_e32 v0, 0, v21
	;; [unrolled: 1-line block ×14, first 2 shown]
	v_mul_f32_e32 v4, v4, v8
	v_add_f32_e32 v0, v0, v38
	v_fma_f32 v3, v3, v7, -v4
	v_add_f32_e32 v0, v0, v3
	v_mad_u64_u32 v[3:4], s[0:1], s10, v1, 0
	v_mul_f32_e32 v6, v6, v10
	v_fma_f32 v5, v5, v9, -v6
	v_add_f32_e32 v5, v0, v5
	v_mov_b32_e32 v0, v4
	v_mad_u64_u32 v[0:1], s[0:1], s11, v1, v[0:1]
	v_mul_f32_e32 v6, s2, v13
	v_mul_f32_e32 v1, s3, v13
	v_mov_b32_e32 v4, v0
	v_fmac_f32_e32 v6, s3, v5
	v_fma_f32 v5, s2, v5, -v1
	v_lshlrev_b64 v[0:1], 3, v[3:4]
	v_mov_b32_e32 v3, s5
	v_add_co_u32_e32 v0, vcc, s4, v0
	v_addc_co_u32_e32 v1, vcc, v3, v1, vcc
	v_add_co_u32_e32 v0, vcc, v0, v2
	v_addc_co_u32_e32 v1, vcc, 0, v1, vcc
	global_store_dwordx2 v[0:1], v[5:6], off
.LBB96_15:
	s_endpgm
	.section	.rodata,"a",@progbits
	.p2align	6, 0x0
	.amdhsa_kernel _ZL23rocblas_trmm_lNx_kernelILi16E19rocblas_complex_numIfEPKS1_S2_S1_Ev13rocblas_fill_17rocblas_diagonal_iiT1_lPT2_llS8_llPT3_lli
		.amdhsa_group_segment_fixed_size 4096
		.amdhsa_private_segment_fixed_size 0
		.amdhsa_kernarg_size 108
		.amdhsa_user_sgpr_count 6
		.amdhsa_user_sgpr_private_segment_buffer 1
		.amdhsa_user_sgpr_dispatch_ptr 0
		.amdhsa_user_sgpr_queue_ptr 0
		.amdhsa_user_sgpr_kernarg_segment_ptr 1
		.amdhsa_user_sgpr_dispatch_id 0
		.amdhsa_user_sgpr_flat_scratch_init 0
		.amdhsa_user_sgpr_private_segment_size 0
		.amdhsa_uses_dynamic_stack 0
		.amdhsa_system_sgpr_private_segment_wavefront_offset 0
		.amdhsa_system_sgpr_workgroup_id_x 1
		.amdhsa_system_sgpr_workgroup_id_y 0
		.amdhsa_system_sgpr_workgroup_id_z 1
		.amdhsa_system_sgpr_workgroup_info 0
		.amdhsa_system_vgpr_workitem_id 1
		.amdhsa_next_free_vgpr 39
		.amdhsa_next_free_sgpr 26
		.amdhsa_reserve_vcc 1
		.amdhsa_reserve_flat_scratch 0
		.amdhsa_float_round_mode_32 0
		.amdhsa_float_round_mode_16_64 0
		.amdhsa_float_denorm_mode_32 3
		.amdhsa_float_denorm_mode_16_64 3
		.amdhsa_dx10_clamp 1
		.amdhsa_ieee_mode 1
		.amdhsa_fp16_overflow 0
		.amdhsa_exception_fp_ieee_invalid_op 0
		.amdhsa_exception_fp_denorm_src 0
		.amdhsa_exception_fp_ieee_div_zero 0
		.amdhsa_exception_fp_ieee_overflow 0
		.amdhsa_exception_fp_ieee_underflow 0
		.amdhsa_exception_fp_ieee_inexact 0
		.amdhsa_exception_int_div_zero 0
	.end_amdhsa_kernel
	.section	.text._ZL23rocblas_trmm_lNx_kernelILi16E19rocblas_complex_numIfEPKS1_S2_S1_Ev13rocblas_fill_17rocblas_diagonal_iiT1_lPT2_llS8_llPT3_lli,"axG",@progbits,_ZL23rocblas_trmm_lNx_kernelILi16E19rocblas_complex_numIfEPKS1_S2_S1_Ev13rocblas_fill_17rocblas_diagonal_iiT1_lPT2_llS8_llPT3_lli,comdat
.Lfunc_end96:
	.size	_ZL23rocblas_trmm_lNx_kernelILi16E19rocblas_complex_numIfEPKS1_S2_S1_Ev13rocblas_fill_17rocblas_diagonal_iiT1_lPT2_llS8_llPT3_lli, .Lfunc_end96-_ZL23rocblas_trmm_lNx_kernelILi16E19rocblas_complex_numIfEPKS1_S2_S1_Ev13rocblas_fill_17rocblas_diagonal_iiT1_lPT2_llS8_llPT3_lli
                                        ; -- End function
	.set _ZL23rocblas_trmm_lNx_kernelILi16E19rocblas_complex_numIfEPKS1_S2_S1_Ev13rocblas_fill_17rocblas_diagonal_iiT1_lPT2_llS8_llPT3_lli.num_vgpr, 39
	.set _ZL23rocblas_trmm_lNx_kernelILi16E19rocblas_complex_numIfEPKS1_S2_S1_Ev13rocblas_fill_17rocblas_diagonal_iiT1_lPT2_llS8_llPT3_lli.num_agpr, 0
	.set _ZL23rocblas_trmm_lNx_kernelILi16E19rocblas_complex_numIfEPKS1_S2_S1_Ev13rocblas_fill_17rocblas_diagonal_iiT1_lPT2_llS8_llPT3_lli.numbered_sgpr, 26
	.set _ZL23rocblas_trmm_lNx_kernelILi16E19rocblas_complex_numIfEPKS1_S2_S1_Ev13rocblas_fill_17rocblas_diagonal_iiT1_lPT2_llS8_llPT3_lli.num_named_barrier, 0
	.set _ZL23rocblas_trmm_lNx_kernelILi16E19rocblas_complex_numIfEPKS1_S2_S1_Ev13rocblas_fill_17rocblas_diagonal_iiT1_lPT2_llS8_llPT3_lli.private_seg_size, 0
	.set _ZL23rocblas_trmm_lNx_kernelILi16E19rocblas_complex_numIfEPKS1_S2_S1_Ev13rocblas_fill_17rocblas_diagonal_iiT1_lPT2_llS8_llPT3_lli.uses_vcc, 1
	.set _ZL23rocblas_trmm_lNx_kernelILi16E19rocblas_complex_numIfEPKS1_S2_S1_Ev13rocblas_fill_17rocblas_diagonal_iiT1_lPT2_llS8_llPT3_lli.uses_flat_scratch, 0
	.set _ZL23rocblas_trmm_lNx_kernelILi16E19rocblas_complex_numIfEPKS1_S2_S1_Ev13rocblas_fill_17rocblas_diagonal_iiT1_lPT2_llS8_llPT3_lli.has_dyn_sized_stack, 0
	.set _ZL23rocblas_trmm_lNx_kernelILi16E19rocblas_complex_numIfEPKS1_S2_S1_Ev13rocblas_fill_17rocblas_diagonal_iiT1_lPT2_llS8_llPT3_lli.has_recursion, 0
	.set _ZL23rocblas_trmm_lNx_kernelILi16E19rocblas_complex_numIfEPKS1_S2_S1_Ev13rocblas_fill_17rocblas_diagonal_iiT1_lPT2_llS8_llPT3_lli.has_indirect_call, 0
	.section	.AMDGPU.csdata,"",@progbits
; Kernel info:
; codeLenInByte = 1368
; TotalNumSgprs: 30
; NumVgprs: 39
; ScratchSize: 0
; MemoryBound: 0
; FloatMode: 240
; IeeeMode: 1
; LDSByteSize: 4096 bytes/workgroup (compile time only)
; SGPRBlocks: 3
; VGPRBlocks: 9
; NumSGPRsForWavesPerEU: 30
; NumVGPRsForWavesPerEU: 39
; Occupancy: 6
; WaveLimiterHint : 0
; COMPUTE_PGM_RSRC2:SCRATCH_EN: 0
; COMPUTE_PGM_RSRC2:USER_SGPR: 6
; COMPUTE_PGM_RSRC2:TRAP_HANDLER: 0
; COMPUTE_PGM_RSRC2:TGID_X_EN: 1
; COMPUTE_PGM_RSRC2:TGID_Y_EN: 0
; COMPUTE_PGM_RSRC2:TGID_Z_EN: 1
; COMPUTE_PGM_RSRC2:TIDIG_COMP_CNT: 1
	.section	.text._ZL23rocblas_trmm_lNx_kernelILi16E19rocblas_complex_numIfES1_KS1_S1_Ev13rocblas_fill_17rocblas_diagonal_iiT1_lPT2_llS7_llPT3_lli,"axG",@progbits,_ZL23rocblas_trmm_lNx_kernelILi16E19rocblas_complex_numIfES1_KS1_S1_Ev13rocblas_fill_17rocblas_diagonal_iiT1_lPT2_llS7_llPT3_lli,comdat
	.globl	_ZL23rocblas_trmm_lNx_kernelILi16E19rocblas_complex_numIfES1_KS1_S1_Ev13rocblas_fill_17rocblas_diagonal_iiT1_lPT2_llS7_llPT3_lli ; -- Begin function _ZL23rocblas_trmm_lNx_kernelILi16E19rocblas_complex_numIfES1_KS1_S1_Ev13rocblas_fill_17rocblas_diagonal_iiT1_lPT2_llS7_llPT3_lli
	.p2align	8
	.type	_ZL23rocblas_trmm_lNx_kernelILi16E19rocblas_complex_numIfES1_KS1_S1_Ev13rocblas_fill_17rocblas_diagonal_iiT1_lPT2_llS7_llPT3_lli,@function
_ZL23rocblas_trmm_lNx_kernelILi16E19rocblas_complex_numIfES1_KS1_S1_Ev13rocblas_fill_17rocblas_diagonal_iiT1_lPT2_llS7_llPT3_lli: ; @_ZL23rocblas_trmm_lNx_kernelILi16E19rocblas_complex_numIfES1_KS1_S1_Ev13rocblas_fill_17rocblas_diagonal_iiT1_lPT2_llS7_llPT3_lli
; %bb.0:
	s_load_dwordx2 s[2:3], s[4:5], 0x10
	s_waitcnt lgkmcnt(0)
	v_cmp_neq_f32_e64 s[0:1], s2, 0
	v_cmp_neq_f32_e64 s[8:9], s3, 0
	s_or_b64 s[0:1], s[0:1], s[8:9]
	s_andn2_b64 vcc, exec, s[0:1]
	s_mov_b32 s0, 0
	s_cbranch_vccnz .LBB97_15
; %bb.1:
	s_load_dwordx4 s[24:27], s[4:5], 0x0
	s_load_dwordx16 s[8:23], s[4:5], 0x20
	s_mov_b32 s1, s0
	v_mov_b32_e32 v6, s1
	v_lshlrev_b32_e32 v3, 4, v1
	v_mov_b32_e32 v5, s0
	s_waitcnt lgkmcnt(0)
	v_cmp_gt_i32_e64 s[0:1], s26, v1
	v_cmp_gt_i32_e32 vcc, s26, v0
	v_add_lshl_u32 v4, v3, v0, 3
	s_and_b64 s[0:1], s[0:1], vcc
	v_lshlrev_b32_e32 v2, 3, v0
	ds_write2st64_b64 v4, v[5:6], v[5:6] offset1:4
	s_and_saveexec_b64 s[28:29], s[0:1]
	s_cbranch_execz .LBB97_3
; %bb.2:
	v_mad_u64_u32 v[5:6], s[0:1], s10, v1, 0
	s_mul_i32 s13, s13, s7
	s_mul_hi_u32 s0, s12, s7
	v_mad_u64_u32 v[6:7], s[10:11], s11, v1, v[6:7]
	s_add_i32 s1, s0, s13
	s_mul_i32 s0, s12, s7
	s_lshl_b64 s[0:1], s[0:1], 3
	s_add_u32 s0, s8, s0
	v_lshlrev_b64 v[5:6], 3, v[5:6]
	s_addc_u32 s1, s9, s1
	v_mov_b32_e32 v7, s1
	v_add_co_u32_e64 v5, s[0:1], s0, v5
	v_addc_co_u32_e64 v6, s[0:1], v7, v6, s[0:1]
	v_add_co_u32_e64 v5, s[0:1], v5, v2
	v_addc_co_u32_e64 v6, s[0:1], 0, v6, s[0:1]
	global_load_dwordx2 v[5:6], v[5:6], off
	s_waitcnt vmcnt(0)
	ds_write_b64 v4, v[5:6]
.LBB97_3:
	s_or_b64 exec, exec, s[28:29]
	s_add_i32 s0, s27, -1
	s_ashr_i32 s1, s0, 31
	s_lshr_b32 s1, s1, 28
	s_add_i32 s0, s0, s1
	s_ashr_i32 s1, s0, 4
	s_and_b32 s0, s0, -16
	s_sub_i32 s0, s27, s0
	s_cmp_ge_i32 s6, s1
	s_cselect_b32 s0, s0, 16
	s_lshl_b32 s6, s6, 4
	v_cmp_gt_i32_e64 s[0:1], s0, v1
	s_ashr_i32 s12, s6, 31
	s_and_b64 s[0:1], vcc, s[0:1]
	s_and_saveexec_b64 s[8:9], s[0:1]
	s_cbranch_execz .LBB97_5
; %bb.4:
	s_mul_i32 s10, s19, s7
	s_mul_hi_u32 s11, s18, s7
	s_add_i32 s11, s11, s10
	s_mul_i32 s10, s18, s7
	s_lshl_b64 s[10:11], s[10:11], 3
	s_add_u32 s13, s14, s10
	s_addc_u32 s18, s15, s11
	s_mul_i32 s10, s16, s12
	s_mul_hi_u32 s11, s16, s6
	s_add_i32 s14, s11, s10
	v_mad_u64_u32 v[5:6], s[10:11], s16, v1, 0
	s_mul_i32 s10, s17, s6
	s_add_i32 s11, s14, s10
	v_mad_u64_u32 v[6:7], s[14:15], s17, v1, v[6:7]
	s_mul_i32 s10, s16, s6
	s_lshl_b64 s[10:11], s[10:11], 3
	s_add_u32 s10, s13, s10
	v_lshlrev_b64 v[5:6], 3, v[5:6]
	s_addc_u32 s11, s18, s11
	v_mov_b32_e32 v7, s11
	v_add_co_u32_e32 v5, vcc, s10, v5
	v_addc_co_u32_e32 v6, vcc, v7, v6, vcc
	v_add_co_u32_e32 v5, vcc, v5, v2
	v_addc_co_u32_e32 v6, vcc, 0, v6, vcc
	global_load_dwordx2 v[5:6], v[5:6], off
	v_add_u32_e32 v7, 0x800, v4
	s_waitcnt vmcnt(0)
	ds_write_b64 v7, v[5:6]
.LBB97_5:
	s_or_b64 exec, exec, s[8:9]
	s_cmpk_eq_i32 s25, 0x84
	s_cselect_b64 s[8:9], -1, 0
	v_cmp_eq_u32_e32 vcc, v1, v0
	s_and_b64 s[10:11], vcc, s[8:9]
	s_and_saveexec_b64 s[8:9], s[10:11]
; %bb.6:
	v_mov_b32_e32 v5, 1.0
	v_mov_b32_e32 v6, 0
	ds_write_b64 v4, v[5:6]
; %bb.7:
	s_or_b64 exec, exec, s[8:9]
	s_cmpk_lg_i32 s24, 0x79
	s_cbranch_scc0 .LBB97_9
; %bb.8:
	v_cmp_lt_u32_e32 vcc, v0, v1
	s_and_b64 s[8:9], vcc, exec
	s_cbranch_execz .LBB97_10
	s_branch .LBB97_11
.LBB97_9:
	s_mov_b64 s[8:9], 0
.LBB97_10:
	v_cmp_gt_u32_e32 vcc, v0, v1
	s_andn2_b64 s[8:9], s[8:9], exec
	s_and_b64 s[10:11], vcc, exec
	s_or_b64 s[8:9], s[8:9], s[10:11]
.LBB97_11:
	s_and_saveexec_b64 s[10:11], s[8:9]
; %bb.12:
	v_mov_b32_e32 v5, 0
	v_mov_b32_e32 v6, v5
	ds_write_b64 v4, v[5:6]
; %bb.13:
	s_or_b64 exec, exec, s[10:11]
	s_waitcnt lgkmcnt(0)
	s_barrier
	s_and_saveexec_b64 s[8:9], s[0:1]
	s_cbranch_execz .LBB97_15
; %bb.14:
	v_lshlrev_b32_e32 v0, 3, v3
	ds_read2_b64 v[3:6], v2 offset1:16
	ds_read_b128 v[7:10], v0 offset:2048
	ds_read_b128 v[11:14], v0 offset:2064
	ds_read2_b64 v[15:18], v2 offset0:32 offset1:48
	s_load_dwordx2 s[0:1], s[4:5], 0x60
	s_waitcnt lgkmcnt(0)
	v_mul_f32_e32 v19, v7, v4
	v_mul_f32_e32 v4, v8, v4
	v_mul_f32_e32 v20, v9, v6
	v_fmac_f32_e32 v19, v8, v3
	v_fma_f32 v21, v7, v3, -v4
	v_mul_f32_e32 v3, v10, v6
	v_fmac_f32_e32 v20, v10, v5
	v_fma_f32 v22, v9, v5, -v3
	ds_read2_b64 v[3:6], v2 offset0:64 offset1:80
	ds_read_b128 v[7:10], v0 offset:2080
	v_mul_f32_e32 v23, v11, v16
	v_fmac_f32_e32 v23, v12, v15
	v_mul_f32_e32 v12, v12, v16
	v_mul_f32_e32 v24, v13, v18
	v_fma_f32 v15, v11, v15, -v12
	v_mul_f32_e32 v11, v14, v18
	v_fmac_f32_e32 v24, v14, v17
	v_fma_f32 v16, v13, v17, -v11
	s_waitcnt lgkmcnt(0)
	v_mul_f32_e32 v17, v7, v4
	v_mul_f32_e32 v4, v8, v4
	v_fmac_f32_e32 v17, v8, v3
	v_mul_f32_e32 v18, v9, v6
	v_fma_f32 v25, v7, v3, -v4
	v_mul_f32_e32 v3, v10, v6
	ds_read_b128 v[11:14], v0 offset:2096
	v_fmac_f32_e32 v18, v10, v5
	v_fma_f32 v26, v9, v5, -v3
	ds_read2_b64 v[3:6], v2 offset0:96 offset1:112
	s_mul_i32 s1, s1, s7
	s_mul_hi_u32 s4, s0, s7
	s_add_i32 s1, s4, s1
	s_mul_i32 s0, s0, s7
	s_waitcnt lgkmcnt(0)
	v_mul_f32_e32 v27, v11, v4
	v_mul_f32_e32 v4, v12, v4
	v_fmac_f32_e32 v27, v12, v3
	v_mul_f32_e32 v28, v13, v6
	v_fma_f32 v11, v11, v3, -v4
	v_mul_f32_e32 v3, v14, v6
	v_fmac_f32_e32 v28, v14, v5
	v_fma_f32 v12, v13, v5, -v3
	ds_read2_b64 v[3:6], v2 offset0:128 offset1:144
	ds_read_b128 v[7:10], v0 offset:2112
	s_lshl_b64 s[0:1], s[0:1], 3
	s_add_u32 s4, s20, s0
	s_addc_u32 s5, s21, s1
	s_mul_i32 s0, s22, s12
	s_waitcnt lgkmcnt(0)
	v_mul_f32_e32 v13, v7, v4
	v_mul_f32_e32 v4, v8, v4
	v_fmac_f32_e32 v13, v8, v3
	v_mul_f32_e32 v14, v9, v6
	v_fma_f32 v29, v7, v3, -v4
	v_mul_f32_e32 v3, v10, v6
	v_fmac_f32_e32 v14, v10, v5
	v_fma_f32 v30, v9, v5, -v3
	ds_read_b128 v[3:6], v0 offset:2128
	ds_read2_b64 v[7:10], v2 offset0:160 offset1:176
	s_mul_hi_u32 s1, s22, s6
	s_add_i32 s0, s1, s0
	s_mul_i32 s1, s23, s6
	s_add_i32 s1, s0, s1
	s_waitcnt lgkmcnt(0)
	v_mul_f32_e32 v31, v3, v8
	v_fmac_f32_e32 v31, v4, v7
	v_mul_f32_e32 v4, v4, v8
	v_mul_f32_e32 v32, v5, v10
	v_fma_f32 v33, v3, v7, -v4
	v_mul_f32_e32 v3, v6, v10
	v_fmac_f32_e32 v32, v6, v9
	v_fma_f32 v34, v5, v9, -v3
	ds_read_b128 v[3:6], v0 offset:2144
	ds_read2_b64 v[7:10], v2 offset0:192 offset1:208
	s_mul_i32 s0, s22, s6
	s_lshl_b64 s[0:1], s[0:1], 3
	s_add_u32 s4, s4, s0
	s_addc_u32 s5, s5, s1
	s_waitcnt lgkmcnt(0)
	v_mul_f32_e32 v35, v3, v8
	v_fmac_f32_e32 v35, v4, v7
	v_mul_f32_e32 v4, v4, v8
	v_fma_f32 v37, v3, v7, -v4
	v_mul_f32_e32 v3, v6, v10
	v_fma_f32 v38, v5, v9, -v3
	v_add_f32_e32 v3, 0, v19
	v_add_f32_e32 v3, v3, v20
	v_add_f32_e32 v3, v3, v23
	v_add_f32_e32 v3, v3, v24
	v_add_f32_e32 v3, v3, v17
	v_mul_f32_e32 v36, v5, v10
	v_add_f32_e32 v7, v3, v18
	v_fmac_f32_e32 v36, v6, v9
	ds_read_b128 v[3:6], v0 offset:2160
	v_add_f32_e32 v0, v7, v27
	v_add_f32_e32 v0, v0, v28
	ds_read2_b64 v[7:10], v2 offset0:224 offset1:240
	v_add_f32_e32 v0, v0, v13
	v_add_f32_e32 v0, v0, v14
	;; [unrolled: 1-line block ×5, first 2 shown]
	s_waitcnt lgkmcnt(0)
	v_mul_f32_e32 v13, v3, v8
	v_add_f32_e32 v0, v0, v36
	v_fmac_f32_e32 v13, v4, v7
	v_add_f32_e32 v0, v0, v13
	v_mul_f32_e32 v13, v5, v10
	v_fmac_f32_e32 v13, v6, v9
	v_add_f32_e32 v13, v0, v13
	v_add_f32_e32 v0, 0, v21
	;; [unrolled: 1-line block ×14, first 2 shown]
	v_mul_f32_e32 v4, v4, v8
	v_add_f32_e32 v0, v0, v38
	v_fma_f32 v3, v3, v7, -v4
	v_add_f32_e32 v0, v0, v3
	v_mad_u64_u32 v[3:4], s[0:1], s22, v1, 0
	v_mul_f32_e32 v6, v6, v10
	v_fma_f32 v5, v5, v9, -v6
	v_add_f32_e32 v5, v0, v5
	v_mov_b32_e32 v0, v4
	v_mad_u64_u32 v[0:1], s[0:1], s23, v1, v[0:1]
	v_mul_f32_e32 v6, s2, v13
	v_mul_f32_e32 v1, s3, v13
	v_mov_b32_e32 v4, v0
	v_fmac_f32_e32 v6, s3, v5
	v_fma_f32 v5, s2, v5, -v1
	v_lshlrev_b64 v[0:1], 3, v[3:4]
	v_mov_b32_e32 v3, s5
	v_add_co_u32_e32 v0, vcc, s4, v0
	v_addc_co_u32_e32 v1, vcc, v3, v1, vcc
	v_add_co_u32_e32 v0, vcc, v0, v2
	v_addc_co_u32_e32 v1, vcc, 0, v1, vcc
	global_store_dwordx2 v[0:1], v[5:6], off
.LBB97_15:
	s_endpgm
	.section	.rodata,"a",@progbits
	.p2align	6, 0x0
	.amdhsa_kernel _ZL23rocblas_trmm_lNx_kernelILi16E19rocblas_complex_numIfES1_KS1_S1_Ev13rocblas_fill_17rocblas_diagonal_iiT1_lPT2_llS7_llPT3_lli
		.amdhsa_group_segment_fixed_size 4096
		.amdhsa_private_segment_fixed_size 0
		.amdhsa_kernarg_size 108
		.amdhsa_user_sgpr_count 6
		.amdhsa_user_sgpr_private_segment_buffer 1
		.amdhsa_user_sgpr_dispatch_ptr 0
		.amdhsa_user_sgpr_queue_ptr 0
		.amdhsa_user_sgpr_kernarg_segment_ptr 1
		.amdhsa_user_sgpr_dispatch_id 0
		.amdhsa_user_sgpr_flat_scratch_init 0
		.amdhsa_user_sgpr_private_segment_size 0
		.amdhsa_uses_dynamic_stack 0
		.amdhsa_system_sgpr_private_segment_wavefront_offset 0
		.amdhsa_system_sgpr_workgroup_id_x 1
		.amdhsa_system_sgpr_workgroup_id_y 0
		.amdhsa_system_sgpr_workgroup_id_z 1
		.amdhsa_system_sgpr_workgroup_info 0
		.amdhsa_system_vgpr_workitem_id 1
		.amdhsa_next_free_vgpr 39
		.amdhsa_next_free_sgpr 30
		.amdhsa_reserve_vcc 1
		.amdhsa_reserve_flat_scratch 0
		.amdhsa_float_round_mode_32 0
		.amdhsa_float_round_mode_16_64 0
		.amdhsa_float_denorm_mode_32 3
		.amdhsa_float_denorm_mode_16_64 3
		.amdhsa_dx10_clamp 1
		.amdhsa_ieee_mode 1
		.amdhsa_fp16_overflow 0
		.amdhsa_exception_fp_ieee_invalid_op 0
		.amdhsa_exception_fp_denorm_src 0
		.amdhsa_exception_fp_ieee_div_zero 0
		.amdhsa_exception_fp_ieee_overflow 0
		.amdhsa_exception_fp_ieee_underflow 0
		.amdhsa_exception_fp_ieee_inexact 0
		.amdhsa_exception_int_div_zero 0
	.end_amdhsa_kernel
	.section	.text._ZL23rocblas_trmm_lNx_kernelILi16E19rocblas_complex_numIfES1_KS1_S1_Ev13rocblas_fill_17rocblas_diagonal_iiT1_lPT2_llS7_llPT3_lli,"axG",@progbits,_ZL23rocblas_trmm_lNx_kernelILi16E19rocblas_complex_numIfES1_KS1_S1_Ev13rocblas_fill_17rocblas_diagonal_iiT1_lPT2_llS7_llPT3_lli,comdat
.Lfunc_end97:
	.size	_ZL23rocblas_trmm_lNx_kernelILi16E19rocblas_complex_numIfES1_KS1_S1_Ev13rocblas_fill_17rocblas_diagonal_iiT1_lPT2_llS7_llPT3_lli, .Lfunc_end97-_ZL23rocblas_trmm_lNx_kernelILi16E19rocblas_complex_numIfES1_KS1_S1_Ev13rocblas_fill_17rocblas_diagonal_iiT1_lPT2_llS7_llPT3_lli
                                        ; -- End function
	.set _ZL23rocblas_trmm_lNx_kernelILi16E19rocblas_complex_numIfES1_KS1_S1_Ev13rocblas_fill_17rocblas_diagonal_iiT1_lPT2_llS7_llPT3_lli.num_vgpr, 39
	.set _ZL23rocblas_trmm_lNx_kernelILi16E19rocblas_complex_numIfES1_KS1_S1_Ev13rocblas_fill_17rocblas_diagonal_iiT1_lPT2_llS7_llPT3_lli.num_agpr, 0
	.set _ZL23rocblas_trmm_lNx_kernelILi16E19rocblas_complex_numIfES1_KS1_S1_Ev13rocblas_fill_17rocblas_diagonal_iiT1_lPT2_llS7_llPT3_lli.numbered_sgpr, 30
	.set _ZL23rocblas_trmm_lNx_kernelILi16E19rocblas_complex_numIfES1_KS1_S1_Ev13rocblas_fill_17rocblas_diagonal_iiT1_lPT2_llS7_llPT3_lli.num_named_barrier, 0
	.set _ZL23rocblas_trmm_lNx_kernelILi16E19rocblas_complex_numIfES1_KS1_S1_Ev13rocblas_fill_17rocblas_diagonal_iiT1_lPT2_llS7_llPT3_lli.private_seg_size, 0
	.set _ZL23rocblas_trmm_lNx_kernelILi16E19rocblas_complex_numIfES1_KS1_S1_Ev13rocblas_fill_17rocblas_diagonal_iiT1_lPT2_llS7_llPT3_lli.uses_vcc, 1
	.set _ZL23rocblas_trmm_lNx_kernelILi16E19rocblas_complex_numIfES1_KS1_S1_Ev13rocblas_fill_17rocblas_diagonal_iiT1_lPT2_llS7_llPT3_lli.uses_flat_scratch, 0
	.set _ZL23rocblas_trmm_lNx_kernelILi16E19rocblas_complex_numIfES1_KS1_S1_Ev13rocblas_fill_17rocblas_diagonal_iiT1_lPT2_llS7_llPT3_lli.has_dyn_sized_stack, 0
	.set _ZL23rocblas_trmm_lNx_kernelILi16E19rocblas_complex_numIfES1_KS1_S1_Ev13rocblas_fill_17rocblas_diagonal_iiT1_lPT2_llS7_llPT3_lli.has_recursion, 0
	.set _ZL23rocblas_trmm_lNx_kernelILi16E19rocblas_complex_numIfES1_KS1_S1_Ev13rocblas_fill_17rocblas_diagonal_iiT1_lPT2_llS7_llPT3_lli.has_indirect_call, 0
	.section	.AMDGPU.csdata,"",@progbits
; Kernel info:
; codeLenInByte = 1328
; TotalNumSgprs: 34
; NumVgprs: 39
; ScratchSize: 0
; MemoryBound: 0
; FloatMode: 240
; IeeeMode: 1
; LDSByteSize: 4096 bytes/workgroup (compile time only)
; SGPRBlocks: 4
; VGPRBlocks: 9
; NumSGPRsForWavesPerEU: 34
; NumVGPRsForWavesPerEU: 39
; Occupancy: 6
; WaveLimiterHint : 0
; COMPUTE_PGM_RSRC2:SCRATCH_EN: 0
; COMPUTE_PGM_RSRC2:USER_SGPR: 6
; COMPUTE_PGM_RSRC2:TRAP_HANDLER: 0
; COMPUTE_PGM_RSRC2:TGID_X_EN: 1
; COMPUTE_PGM_RSRC2:TGID_Y_EN: 0
; COMPUTE_PGM_RSRC2:TGID_Z_EN: 1
; COMPUTE_PGM_RSRC2:TIDIG_COMP_CNT: 1
	.section	.text._ZL23rocblas_trmm_lTx_kernelILi16ELb0E19rocblas_complex_numIfEPKS1_S2_S1_Ev13rocblas_fill_17rocblas_diagonal_iiT2_lPT3_llS8_llPT4_lli,"axG",@progbits,_ZL23rocblas_trmm_lTx_kernelILi16ELb0E19rocblas_complex_numIfEPKS1_S2_S1_Ev13rocblas_fill_17rocblas_diagonal_iiT2_lPT3_llS8_llPT4_lli,comdat
	.globl	_ZL23rocblas_trmm_lTx_kernelILi16ELb0E19rocblas_complex_numIfEPKS1_S2_S1_Ev13rocblas_fill_17rocblas_diagonal_iiT2_lPT3_llS8_llPT4_lli ; -- Begin function _ZL23rocblas_trmm_lTx_kernelILi16ELb0E19rocblas_complex_numIfEPKS1_S2_S1_Ev13rocblas_fill_17rocblas_diagonal_iiT2_lPT3_llS8_llPT4_lli
	.p2align	8
	.type	_ZL23rocblas_trmm_lTx_kernelILi16ELb0E19rocblas_complex_numIfEPKS1_S2_S1_Ev13rocblas_fill_17rocblas_diagonal_iiT2_lPT3_llS8_llPT4_lli,@function
_ZL23rocblas_trmm_lTx_kernelILi16ELb0E19rocblas_complex_numIfEPKS1_S2_S1_Ev13rocblas_fill_17rocblas_diagonal_iiT2_lPT3_llS8_llPT4_lli: ; @_ZL23rocblas_trmm_lTx_kernelILi16ELb0E19rocblas_complex_numIfEPKS1_S2_S1_Ev13rocblas_fill_17rocblas_diagonal_iiT2_lPT3_llS8_llPT4_lli
; %bb.0:
	s_load_dwordx16 s[8:23], s[4:5], 0x10
	s_waitcnt lgkmcnt(0)
	s_mul_i32 s0, s11, s7
	s_mul_hi_u32 s1, s10, s7
	s_add_i32 s1, s1, s0
	s_mul_i32 s0, s10, s7
	s_lshl_b64 s[0:1], s[0:1], 3
	s_add_u32 s0, s8, s0
	s_addc_u32 s1, s9, s1
	s_load_dwordx2 s[2:3], s[0:1], 0x0
	s_waitcnt lgkmcnt(0)
	v_cmp_neq_f32_e64 s[0:1], s2, 0
	v_cmp_neq_f32_e64 s[8:9], s3, 0
	s_or_b64 s[0:1], s[0:1], s[8:9]
	s_andn2_b64 vcc, exec, s[0:1]
	s_mov_b32 s0, 0
	s_cbranch_vccnz .LBB98_15
; %bb.1:
	s_load_dwordx4 s[8:11], s[4:5], 0x0
	s_mov_b32 s1, s0
	v_mov_b32_e32 v6, s1
	v_lshlrev_b32_e32 v3, 4, v1
	v_mov_b32_e32 v5, s0
	s_waitcnt lgkmcnt(0)
	v_cmp_gt_i32_e64 s[0:1], s10, v1
	v_cmp_gt_i32_e32 vcc, s10, v0
	v_add_lshl_u32 v4, v3, v0, 3
	s_and_b64 s[0:1], s[0:1], vcc
	v_lshlrev_b32_e32 v2, 3, v0
	ds_write2st64_b64 v4, v[5:6], v[5:6] offset1:4
	s_waitcnt lgkmcnt(0)
	s_barrier
	s_and_saveexec_b64 s[24:25], s[0:1]
	s_cbranch_execz .LBB98_3
; %bb.2:
	v_mad_u64_u32 v[5:6], s[0:1], s14, v1, 0
	s_mul_i32 s10, s17, s7
	s_mul_hi_u32 s0, s16, s7
	v_mad_u64_u32 v[6:7], s[14:15], s15, v1, v[6:7]
	s_add_i32 s1, s0, s10
	s_mul_i32 s0, s16, s7
	s_lshl_b64 s[0:1], s[0:1], 3
	s_add_u32 s0, s12, s0
	v_lshlrev_b64 v[5:6], 3, v[5:6]
	s_addc_u32 s1, s13, s1
	v_mov_b32_e32 v7, s1
	v_add_co_u32_e64 v5, s[0:1], s0, v5
	v_addc_co_u32_e64 v6, s[0:1], v7, v6, s[0:1]
	v_add_co_u32_e64 v5, s[0:1], v5, v2
	v_addc_co_u32_e64 v6, s[0:1], 0, v6, s[0:1]
	global_load_dwordx2 v[5:6], v[5:6], off
	v_lshlrev_b32_e32 v7, 3, v1
	v_lshl_add_u32 v7, v0, 7, v7
	s_waitcnt vmcnt(0)
	ds_write_b64 v7, v[5:6]
.LBB98_3:
	s_or_b64 exec, exec, s[24:25]
	s_add_i32 s0, s11, -1
	s_ashr_i32 s1, s0, 31
	s_lshr_b32 s1, s1, 28
	s_add_i32 s0, s0, s1
	s_ashr_i32 s1, s0, 4
	s_and_b32 s0, s0, -16
	s_sub_i32 s0, s11, s0
	s_cmp_ge_i32 s6, s1
	s_cselect_b32 s0, s0, 16
	s_lshl_b32 s6, s6, 4
	v_cmp_gt_i32_e64 s[0:1], s0, v1
	s_ashr_i32 s12, s6, 31
	s_and_b64 s[0:1], vcc, s[0:1]
	s_and_saveexec_b64 s[10:11], s[0:1]
	s_cbranch_execz .LBB98_5
; %bb.4:
	s_mul_i32 s13, s23, s7
	s_mul_hi_u32 s14, s22, s7
	s_add_i32 s15, s14, s13
	s_mul_i32 s14, s22, s7
	s_lshl_b64 s[14:15], s[14:15], 3
	s_add_u32 s13, s18, s14
	s_addc_u32 s18, s19, s15
	s_mul_i32 s14, s20, s12
	s_mul_hi_u32 s15, s20, s6
	s_add_i32 s16, s15, s14
	v_mad_u64_u32 v[5:6], s[14:15], s20, v1, 0
	s_mul_i32 s14, s21, s6
	s_add_i32 s15, s16, s14
	v_mad_u64_u32 v[6:7], s[16:17], s21, v1, v[6:7]
	s_mul_i32 s14, s20, s6
	s_lshl_b64 s[14:15], s[14:15], 3
	s_add_u32 s13, s13, s14
	v_lshlrev_b64 v[5:6], 3, v[5:6]
	s_addc_u32 s14, s18, s15
	v_mov_b32_e32 v7, s14
	v_add_co_u32_e32 v5, vcc, s13, v5
	v_addc_co_u32_e32 v6, vcc, v7, v6, vcc
	v_add_co_u32_e32 v5, vcc, v5, v2
	v_addc_co_u32_e32 v6, vcc, 0, v6, vcc
	global_load_dwordx2 v[5:6], v[5:6], off
	v_add_u32_e32 v7, 0x800, v4
	s_waitcnt vmcnt(0)
	ds_write_b64 v7, v[5:6]
.LBB98_5:
	s_or_b64 exec, exec, s[10:11]
	s_cmpk_eq_i32 s9, 0x84
	s_cselect_b64 s[10:11], -1, 0
	v_cmp_eq_u32_e32 vcc, v1, v0
	s_and_b64 s[14:15], vcc, s[10:11]
	s_and_saveexec_b64 s[10:11], s[14:15]
; %bb.6:
	v_mov_b32_e32 v5, 1.0
	v_mov_b32_e32 v6, 0
	ds_write_b64 v4, v[5:6]
; %bb.7:
	s_or_b64 exec, exec, s[10:11]
	s_cmpk_lg_i32 s8, 0x7a
	s_waitcnt lgkmcnt(0)
	s_barrier
	s_cbranch_scc0 .LBB98_9
; %bb.8:
	v_cmp_lt_u32_e32 vcc, v0, v1
	s_and_b64 s[8:9], vcc, exec
	s_cbranch_execz .LBB98_10
	s_branch .LBB98_11
.LBB98_9:
	s_mov_b64 s[8:9], 0
.LBB98_10:
	v_cmp_gt_u32_e32 vcc, v0, v1
	s_andn2_b64 s[8:9], s[8:9], exec
	s_and_b64 s[10:11], vcc, exec
	s_or_b64 s[8:9], s[8:9], s[10:11]
.LBB98_11:
	s_and_saveexec_b64 s[10:11], s[8:9]
; %bb.12:
	v_mov_b32_e32 v5, 0
	v_mov_b32_e32 v6, v5
	ds_write_b64 v4, v[5:6]
; %bb.13:
	s_or_b64 exec, exec, s[10:11]
	s_waitcnt lgkmcnt(0)
	s_barrier
	s_and_saveexec_b64 s[8:9], s[0:1]
	s_cbranch_execz .LBB98_15
; %bb.14:
	v_lshlrev_b32_e32 v0, 3, v3
	ds_read2_b64 v[3:6], v2 offset1:16
	ds_read_b128 v[7:10], v0 offset:2048
	ds_read_b128 v[11:14], v0 offset:2064
	ds_read2_b64 v[15:18], v2 offset0:32 offset1:48
	s_load_dwordx2 s[0:1], s[4:5], 0x60
	s_load_dwordx4 s[8:11], s[4:5], 0x50
	s_waitcnt lgkmcnt(0)
	v_mul_f32_e32 v19, v7, v4
	v_mul_f32_e32 v4, v8, v4
	;; [unrolled: 1-line block ×3, first 2 shown]
	v_fmac_f32_e32 v19, v8, v3
	v_fma_f32 v21, v7, v3, -v4
	v_mul_f32_e32 v3, v10, v6
	v_fmac_f32_e32 v20, v10, v5
	v_fma_f32 v22, v9, v5, -v3
	ds_read2_b64 v[3:6], v2 offset0:64 offset1:80
	ds_read_b128 v[7:10], v0 offset:2080
	v_mul_f32_e32 v23, v11, v16
	v_fmac_f32_e32 v23, v12, v15
	v_mul_f32_e32 v12, v12, v16
	v_mul_f32_e32 v24, v13, v18
	v_fma_f32 v15, v11, v15, -v12
	v_mul_f32_e32 v11, v14, v18
	v_fmac_f32_e32 v24, v14, v17
	v_fma_f32 v16, v13, v17, -v11
	s_waitcnt lgkmcnt(0)
	v_mul_f32_e32 v17, v7, v4
	v_mul_f32_e32 v4, v8, v4
	v_fmac_f32_e32 v17, v8, v3
	v_mul_f32_e32 v18, v9, v6
	v_fma_f32 v25, v7, v3, -v4
	v_mul_f32_e32 v3, v10, v6
	ds_read_b128 v[11:14], v0 offset:2096
	v_fmac_f32_e32 v18, v10, v5
	v_fma_f32 v26, v9, v5, -v3
	ds_read2_b64 v[3:6], v2 offset0:96 offset1:112
	s_mul_i32 s1, s1, s7
	s_mul_hi_u32 s4, s0, s7
	s_add_i32 s1, s4, s1
	s_mul_i32 s0, s0, s7
	s_waitcnt lgkmcnt(0)
	v_mul_f32_e32 v27, v11, v4
	v_mul_f32_e32 v4, v12, v4
	v_fmac_f32_e32 v27, v12, v3
	v_mul_f32_e32 v28, v13, v6
	v_fma_f32 v11, v11, v3, -v4
	v_mul_f32_e32 v3, v14, v6
	v_fmac_f32_e32 v28, v14, v5
	v_fma_f32 v12, v13, v5, -v3
	ds_read2_b64 v[3:6], v2 offset0:128 offset1:144
	ds_read_b128 v[7:10], v0 offset:2112
	s_lshl_b64 s[0:1], s[0:1], 3
	s_add_u32 s4, s8, s0
	s_addc_u32 s5, s9, s1
	s_mul_i32 s0, s10, s12
	s_waitcnt lgkmcnt(0)
	v_mul_f32_e32 v13, v7, v4
	v_mul_f32_e32 v4, v8, v4
	v_fmac_f32_e32 v13, v8, v3
	v_mul_f32_e32 v14, v9, v6
	v_fma_f32 v29, v7, v3, -v4
	v_mul_f32_e32 v3, v10, v6
	v_fmac_f32_e32 v14, v10, v5
	v_fma_f32 v30, v9, v5, -v3
	ds_read_b128 v[3:6], v0 offset:2128
	ds_read2_b64 v[7:10], v2 offset0:160 offset1:176
	s_mul_hi_u32 s1, s10, s6
	s_add_i32 s0, s1, s0
	s_mul_i32 s1, s11, s6
	s_add_i32 s1, s0, s1
	s_waitcnt lgkmcnt(0)
	v_mul_f32_e32 v31, v3, v8
	v_fmac_f32_e32 v31, v4, v7
	v_mul_f32_e32 v4, v4, v8
	v_mul_f32_e32 v32, v5, v10
	v_fma_f32 v33, v3, v7, -v4
	v_mul_f32_e32 v3, v6, v10
	v_fmac_f32_e32 v32, v6, v9
	v_fma_f32 v34, v5, v9, -v3
	ds_read_b128 v[3:6], v0 offset:2144
	ds_read2_b64 v[7:10], v2 offset0:192 offset1:208
	s_mul_i32 s0, s10, s6
	s_lshl_b64 s[0:1], s[0:1], 3
	s_add_u32 s4, s4, s0
	s_addc_u32 s5, s5, s1
	s_waitcnt lgkmcnt(0)
	v_mul_f32_e32 v35, v3, v8
	v_fmac_f32_e32 v35, v4, v7
	v_mul_f32_e32 v4, v4, v8
	v_fma_f32 v37, v3, v7, -v4
	v_mul_f32_e32 v3, v6, v10
	v_fma_f32 v38, v5, v9, -v3
	v_add_f32_e32 v3, 0, v19
	v_add_f32_e32 v3, v3, v20
	;; [unrolled: 1-line block ×5, first 2 shown]
	v_mul_f32_e32 v36, v5, v10
	v_add_f32_e32 v7, v3, v18
	v_fmac_f32_e32 v36, v6, v9
	ds_read_b128 v[3:6], v0 offset:2160
	v_add_f32_e32 v0, v7, v27
	v_add_f32_e32 v0, v0, v28
	ds_read2_b64 v[7:10], v2 offset0:224 offset1:240
	v_add_f32_e32 v0, v0, v13
	v_add_f32_e32 v0, v0, v14
	;; [unrolled: 1-line block ×5, first 2 shown]
	s_waitcnt lgkmcnt(0)
	v_mul_f32_e32 v13, v3, v8
	v_add_f32_e32 v0, v0, v36
	v_fmac_f32_e32 v13, v4, v7
	v_add_f32_e32 v0, v0, v13
	v_mul_f32_e32 v13, v5, v10
	v_fmac_f32_e32 v13, v6, v9
	v_add_f32_e32 v13, v0, v13
	v_add_f32_e32 v0, 0, v21
	;; [unrolled: 1-line block ×14, first 2 shown]
	v_mul_f32_e32 v4, v4, v8
	v_add_f32_e32 v0, v0, v38
	v_fma_f32 v3, v3, v7, -v4
	v_add_f32_e32 v0, v0, v3
	v_mad_u64_u32 v[3:4], s[0:1], s10, v1, 0
	v_mul_f32_e32 v6, v6, v10
	v_fma_f32 v5, v5, v9, -v6
	v_add_f32_e32 v5, v0, v5
	v_mov_b32_e32 v0, v4
	v_mad_u64_u32 v[0:1], s[0:1], s11, v1, v[0:1]
	v_mul_f32_e32 v6, s2, v13
	v_mul_f32_e32 v1, s3, v13
	v_mov_b32_e32 v4, v0
	v_fmac_f32_e32 v6, s3, v5
	v_fma_f32 v5, s2, v5, -v1
	v_lshlrev_b64 v[0:1], 3, v[3:4]
	v_mov_b32_e32 v3, s5
	v_add_co_u32_e32 v0, vcc, s4, v0
	v_addc_co_u32_e32 v1, vcc, v3, v1, vcc
	v_add_co_u32_e32 v0, vcc, v0, v2
	v_addc_co_u32_e32 v1, vcc, 0, v1, vcc
	global_store_dwordx2 v[0:1], v[5:6], off
.LBB98_15:
	s_endpgm
	.section	.rodata,"a",@progbits
	.p2align	6, 0x0
	.amdhsa_kernel _ZL23rocblas_trmm_lTx_kernelILi16ELb0E19rocblas_complex_numIfEPKS1_S2_S1_Ev13rocblas_fill_17rocblas_diagonal_iiT2_lPT3_llS8_llPT4_lli
		.amdhsa_group_segment_fixed_size 4096
		.amdhsa_private_segment_fixed_size 0
		.amdhsa_kernarg_size 108
		.amdhsa_user_sgpr_count 6
		.amdhsa_user_sgpr_private_segment_buffer 1
		.amdhsa_user_sgpr_dispatch_ptr 0
		.amdhsa_user_sgpr_queue_ptr 0
		.amdhsa_user_sgpr_kernarg_segment_ptr 1
		.amdhsa_user_sgpr_dispatch_id 0
		.amdhsa_user_sgpr_flat_scratch_init 0
		.amdhsa_user_sgpr_private_segment_size 0
		.amdhsa_uses_dynamic_stack 0
		.amdhsa_system_sgpr_private_segment_wavefront_offset 0
		.amdhsa_system_sgpr_workgroup_id_x 1
		.amdhsa_system_sgpr_workgroup_id_y 0
		.amdhsa_system_sgpr_workgroup_id_z 1
		.amdhsa_system_sgpr_workgroup_info 0
		.amdhsa_system_vgpr_workitem_id 1
		.amdhsa_next_free_vgpr 39
		.amdhsa_next_free_sgpr 26
		.amdhsa_reserve_vcc 1
		.amdhsa_reserve_flat_scratch 0
		.amdhsa_float_round_mode_32 0
		.amdhsa_float_round_mode_16_64 0
		.amdhsa_float_denorm_mode_32 3
		.amdhsa_float_denorm_mode_16_64 3
		.amdhsa_dx10_clamp 1
		.amdhsa_ieee_mode 1
		.amdhsa_fp16_overflow 0
		.amdhsa_exception_fp_ieee_invalid_op 0
		.amdhsa_exception_fp_denorm_src 0
		.amdhsa_exception_fp_ieee_div_zero 0
		.amdhsa_exception_fp_ieee_overflow 0
		.amdhsa_exception_fp_ieee_underflow 0
		.amdhsa_exception_fp_ieee_inexact 0
		.amdhsa_exception_int_div_zero 0
	.end_amdhsa_kernel
	.section	.text._ZL23rocblas_trmm_lTx_kernelILi16ELb0E19rocblas_complex_numIfEPKS1_S2_S1_Ev13rocblas_fill_17rocblas_diagonal_iiT2_lPT3_llS8_llPT4_lli,"axG",@progbits,_ZL23rocblas_trmm_lTx_kernelILi16ELb0E19rocblas_complex_numIfEPKS1_S2_S1_Ev13rocblas_fill_17rocblas_diagonal_iiT2_lPT3_llS8_llPT4_lli,comdat
.Lfunc_end98:
	.size	_ZL23rocblas_trmm_lTx_kernelILi16ELb0E19rocblas_complex_numIfEPKS1_S2_S1_Ev13rocblas_fill_17rocblas_diagonal_iiT2_lPT3_llS8_llPT4_lli, .Lfunc_end98-_ZL23rocblas_trmm_lTx_kernelILi16ELb0E19rocblas_complex_numIfEPKS1_S2_S1_Ev13rocblas_fill_17rocblas_diagonal_iiT2_lPT3_llS8_llPT4_lli
                                        ; -- End function
	.set _ZL23rocblas_trmm_lTx_kernelILi16ELb0E19rocblas_complex_numIfEPKS1_S2_S1_Ev13rocblas_fill_17rocblas_diagonal_iiT2_lPT3_llS8_llPT4_lli.num_vgpr, 39
	.set _ZL23rocblas_trmm_lTx_kernelILi16ELb0E19rocblas_complex_numIfEPKS1_S2_S1_Ev13rocblas_fill_17rocblas_diagonal_iiT2_lPT3_llS8_llPT4_lli.num_agpr, 0
	.set _ZL23rocblas_trmm_lTx_kernelILi16ELb0E19rocblas_complex_numIfEPKS1_S2_S1_Ev13rocblas_fill_17rocblas_diagonal_iiT2_lPT3_llS8_llPT4_lli.numbered_sgpr, 26
	.set _ZL23rocblas_trmm_lTx_kernelILi16ELb0E19rocblas_complex_numIfEPKS1_S2_S1_Ev13rocblas_fill_17rocblas_diagonal_iiT2_lPT3_llS8_llPT4_lli.num_named_barrier, 0
	.set _ZL23rocblas_trmm_lTx_kernelILi16ELb0E19rocblas_complex_numIfEPKS1_S2_S1_Ev13rocblas_fill_17rocblas_diagonal_iiT2_lPT3_llS8_llPT4_lli.private_seg_size, 0
	.set _ZL23rocblas_trmm_lTx_kernelILi16ELb0E19rocblas_complex_numIfEPKS1_S2_S1_Ev13rocblas_fill_17rocblas_diagonal_iiT2_lPT3_llS8_llPT4_lli.uses_vcc, 1
	.set _ZL23rocblas_trmm_lTx_kernelILi16ELb0E19rocblas_complex_numIfEPKS1_S2_S1_Ev13rocblas_fill_17rocblas_diagonal_iiT2_lPT3_llS8_llPT4_lli.uses_flat_scratch, 0
	.set _ZL23rocblas_trmm_lTx_kernelILi16ELb0E19rocblas_complex_numIfEPKS1_S2_S1_Ev13rocblas_fill_17rocblas_diagonal_iiT2_lPT3_llS8_llPT4_lli.has_dyn_sized_stack, 0
	.set _ZL23rocblas_trmm_lTx_kernelILi16ELb0E19rocblas_complex_numIfEPKS1_S2_S1_Ev13rocblas_fill_17rocblas_diagonal_iiT2_lPT3_llS8_llPT4_lli.has_recursion, 0
	.set _ZL23rocblas_trmm_lTx_kernelILi16ELb0E19rocblas_complex_numIfEPKS1_S2_S1_Ev13rocblas_fill_17rocblas_diagonal_iiT2_lPT3_llS8_llPT4_lli.has_indirect_call, 0
	.section	.AMDGPU.csdata,"",@progbits
; Kernel info:
; codeLenInByte = 1396
; TotalNumSgprs: 30
; NumVgprs: 39
; ScratchSize: 0
; MemoryBound: 0
; FloatMode: 240
; IeeeMode: 1
; LDSByteSize: 4096 bytes/workgroup (compile time only)
; SGPRBlocks: 3
; VGPRBlocks: 9
; NumSGPRsForWavesPerEU: 30
; NumVGPRsForWavesPerEU: 39
; Occupancy: 6
; WaveLimiterHint : 0
; COMPUTE_PGM_RSRC2:SCRATCH_EN: 0
; COMPUTE_PGM_RSRC2:USER_SGPR: 6
; COMPUTE_PGM_RSRC2:TRAP_HANDLER: 0
; COMPUTE_PGM_RSRC2:TGID_X_EN: 1
; COMPUTE_PGM_RSRC2:TGID_Y_EN: 0
; COMPUTE_PGM_RSRC2:TGID_Z_EN: 1
; COMPUTE_PGM_RSRC2:TIDIG_COMP_CNT: 1
	.section	.text._ZL23rocblas_trmm_lTx_kernelILi16ELb0E19rocblas_complex_numIfES1_KS1_S1_Ev13rocblas_fill_17rocblas_diagonal_iiT2_lPT3_llS7_llPT4_lli,"axG",@progbits,_ZL23rocblas_trmm_lTx_kernelILi16ELb0E19rocblas_complex_numIfES1_KS1_S1_Ev13rocblas_fill_17rocblas_diagonal_iiT2_lPT3_llS7_llPT4_lli,comdat
	.globl	_ZL23rocblas_trmm_lTx_kernelILi16ELb0E19rocblas_complex_numIfES1_KS1_S1_Ev13rocblas_fill_17rocblas_diagonal_iiT2_lPT3_llS7_llPT4_lli ; -- Begin function _ZL23rocblas_trmm_lTx_kernelILi16ELb0E19rocblas_complex_numIfES1_KS1_S1_Ev13rocblas_fill_17rocblas_diagonal_iiT2_lPT3_llS7_llPT4_lli
	.p2align	8
	.type	_ZL23rocblas_trmm_lTx_kernelILi16ELb0E19rocblas_complex_numIfES1_KS1_S1_Ev13rocblas_fill_17rocblas_diagonal_iiT2_lPT3_llS7_llPT4_lli,@function
_ZL23rocblas_trmm_lTx_kernelILi16ELb0E19rocblas_complex_numIfES1_KS1_S1_Ev13rocblas_fill_17rocblas_diagonal_iiT2_lPT3_llS7_llPT4_lli: ; @_ZL23rocblas_trmm_lTx_kernelILi16ELb0E19rocblas_complex_numIfES1_KS1_S1_Ev13rocblas_fill_17rocblas_diagonal_iiT2_lPT3_llS7_llPT4_lli
; %bb.0:
	s_load_dwordx2 s[2:3], s[4:5], 0x10
	s_waitcnt lgkmcnt(0)
	v_cmp_neq_f32_e64 s[0:1], s2, 0
	v_cmp_neq_f32_e64 s[8:9], s3, 0
	s_or_b64 s[0:1], s[0:1], s[8:9]
	s_andn2_b64 vcc, exec, s[0:1]
	s_mov_b32 s0, 0
	s_cbranch_vccnz .LBB99_15
; %bb.1:
	s_load_dwordx4 s[24:27], s[4:5], 0x0
	s_load_dwordx16 s[8:23], s[4:5], 0x20
	s_mov_b32 s1, s0
	v_mov_b32_e32 v6, s1
	v_lshlrev_b32_e32 v3, 4, v1
	v_mov_b32_e32 v5, s0
	s_waitcnt lgkmcnt(0)
	v_cmp_gt_i32_e64 s[0:1], s26, v1
	v_cmp_gt_i32_e32 vcc, s26, v0
	v_add_lshl_u32 v4, v3, v0, 3
	s_and_b64 s[0:1], s[0:1], vcc
	v_lshlrev_b32_e32 v2, 3, v0
	ds_write2st64_b64 v4, v[5:6], v[5:6] offset1:4
	s_waitcnt lgkmcnt(0)
	s_barrier
	s_and_saveexec_b64 s[28:29], s[0:1]
	s_cbranch_execz .LBB99_3
; %bb.2:
	v_mad_u64_u32 v[5:6], s[0:1], s10, v1, 0
	s_mul_i32 s13, s13, s7
	s_mul_hi_u32 s0, s12, s7
	v_mad_u64_u32 v[6:7], s[10:11], s11, v1, v[6:7]
	s_add_i32 s1, s0, s13
	s_mul_i32 s0, s12, s7
	s_lshl_b64 s[0:1], s[0:1], 3
	s_add_u32 s0, s8, s0
	v_lshlrev_b64 v[5:6], 3, v[5:6]
	s_addc_u32 s1, s9, s1
	v_mov_b32_e32 v7, s1
	v_add_co_u32_e64 v5, s[0:1], s0, v5
	v_addc_co_u32_e64 v6, s[0:1], v7, v6, s[0:1]
	v_add_co_u32_e64 v5, s[0:1], v5, v2
	v_addc_co_u32_e64 v6, s[0:1], 0, v6, s[0:1]
	global_load_dwordx2 v[5:6], v[5:6], off
	v_lshlrev_b32_e32 v7, 3, v1
	v_lshl_add_u32 v7, v0, 7, v7
	s_waitcnt vmcnt(0)
	ds_write_b64 v7, v[5:6]
.LBB99_3:
	s_or_b64 exec, exec, s[28:29]
	s_add_i32 s0, s27, -1
	s_ashr_i32 s1, s0, 31
	s_lshr_b32 s1, s1, 28
	s_add_i32 s0, s0, s1
	s_ashr_i32 s1, s0, 4
	s_and_b32 s0, s0, -16
	s_sub_i32 s0, s27, s0
	s_cmp_ge_i32 s6, s1
	s_cselect_b32 s0, s0, 16
	s_lshl_b32 s6, s6, 4
	v_cmp_gt_i32_e64 s[0:1], s0, v1
	s_ashr_i32 s12, s6, 31
	s_and_b64 s[0:1], vcc, s[0:1]
	s_and_saveexec_b64 s[8:9], s[0:1]
	s_cbranch_execz .LBB99_5
; %bb.4:
	s_mul_i32 s10, s19, s7
	s_mul_hi_u32 s11, s18, s7
	s_add_i32 s11, s11, s10
	s_mul_i32 s10, s18, s7
	s_lshl_b64 s[10:11], s[10:11], 3
	s_add_u32 s13, s14, s10
	s_addc_u32 s18, s15, s11
	s_mul_i32 s10, s16, s12
	s_mul_hi_u32 s11, s16, s6
	s_add_i32 s14, s11, s10
	v_mad_u64_u32 v[5:6], s[10:11], s16, v1, 0
	s_mul_i32 s10, s17, s6
	s_add_i32 s11, s14, s10
	v_mad_u64_u32 v[6:7], s[14:15], s17, v1, v[6:7]
	s_mul_i32 s10, s16, s6
	s_lshl_b64 s[10:11], s[10:11], 3
	s_add_u32 s10, s13, s10
	v_lshlrev_b64 v[5:6], 3, v[5:6]
	s_addc_u32 s11, s18, s11
	v_mov_b32_e32 v7, s11
	v_add_co_u32_e32 v5, vcc, s10, v5
	v_addc_co_u32_e32 v6, vcc, v7, v6, vcc
	v_add_co_u32_e32 v5, vcc, v5, v2
	v_addc_co_u32_e32 v6, vcc, 0, v6, vcc
	global_load_dwordx2 v[5:6], v[5:6], off
	v_add_u32_e32 v7, 0x800, v4
	s_waitcnt vmcnt(0)
	ds_write_b64 v7, v[5:6]
.LBB99_5:
	s_or_b64 exec, exec, s[8:9]
	s_cmpk_eq_i32 s25, 0x84
	s_cselect_b64 s[8:9], -1, 0
	v_cmp_eq_u32_e32 vcc, v1, v0
	s_and_b64 s[10:11], vcc, s[8:9]
	s_and_saveexec_b64 s[8:9], s[10:11]
; %bb.6:
	v_mov_b32_e32 v5, 1.0
	v_mov_b32_e32 v6, 0
	ds_write_b64 v4, v[5:6]
; %bb.7:
	s_or_b64 exec, exec, s[8:9]
	s_cmpk_lg_i32 s24, 0x7a
	s_waitcnt lgkmcnt(0)
	s_barrier
	s_cbranch_scc0 .LBB99_9
; %bb.8:
	v_cmp_lt_u32_e32 vcc, v0, v1
	s_and_b64 s[8:9], vcc, exec
	s_cbranch_execz .LBB99_10
	s_branch .LBB99_11
.LBB99_9:
	s_mov_b64 s[8:9], 0
.LBB99_10:
	v_cmp_gt_u32_e32 vcc, v0, v1
	s_andn2_b64 s[8:9], s[8:9], exec
	s_and_b64 s[10:11], vcc, exec
	s_or_b64 s[8:9], s[8:9], s[10:11]
.LBB99_11:
	s_and_saveexec_b64 s[10:11], s[8:9]
; %bb.12:
	v_mov_b32_e32 v5, 0
	v_mov_b32_e32 v6, v5
	ds_write_b64 v4, v[5:6]
; %bb.13:
	s_or_b64 exec, exec, s[10:11]
	s_waitcnt lgkmcnt(0)
	s_barrier
	s_and_saveexec_b64 s[8:9], s[0:1]
	s_cbranch_execz .LBB99_15
; %bb.14:
	v_lshlrev_b32_e32 v0, 3, v3
	ds_read2_b64 v[3:6], v2 offset1:16
	ds_read_b128 v[7:10], v0 offset:2048
	ds_read_b128 v[11:14], v0 offset:2064
	ds_read2_b64 v[15:18], v2 offset0:32 offset1:48
	s_load_dwordx2 s[0:1], s[4:5], 0x60
	s_waitcnt lgkmcnt(0)
	v_mul_f32_e32 v19, v7, v4
	v_mul_f32_e32 v4, v8, v4
	;; [unrolled: 1-line block ×3, first 2 shown]
	v_fmac_f32_e32 v19, v8, v3
	v_fma_f32 v21, v7, v3, -v4
	v_mul_f32_e32 v3, v10, v6
	v_fmac_f32_e32 v20, v10, v5
	v_fma_f32 v22, v9, v5, -v3
	ds_read2_b64 v[3:6], v2 offset0:64 offset1:80
	ds_read_b128 v[7:10], v0 offset:2080
	v_mul_f32_e32 v23, v11, v16
	v_fmac_f32_e32 v23, v12, v15
	v_mul_f32_e32 v12, v12, v16
	v_mul_f32_e32 v24, v13, v18
	v_fma_f32 v15, v11, v15, -v12
	v_mul_f32_e32 v11, v14, v18
	v_fmac_f32_e32 v24, v14, v17
	v_fma_f32 v16, v13, v17, -v11
	s_waitcnt lgkmcnt(0)
	v_mul_f32_e32 v17, v7, v4
	v_mul_f32_e32 v4, v8, v4
	v_fmac_f32_e32 v17, v8, v3
	v_mul_f32_e32 v18, v9, v6
	v_fma_f32 v25, v7, v3, -v4
	v_mul_f32_e32 v3, v10, v6
	ds_read_b128 v[11:14], v0 offset:2096
	v_fmac_f32_e32 v18, v10, v5
	v_fma_f32 v26, v9, v5, -v3
	ds_read2_b64 v[3:6], v2 offset0:96 offset1:112
	s_mul_i32 s1, s1, s7
	s_mul_hi_u32 s4, s0, s7
	s_add_i32 s1, s4, s1
	s_mul_i32 s0, s0, s7
	s_waitcnt lgkmcnt(0)
	v_mul_f32_e32 v27, v11, v4
	v_mul_f32_e32 v4, v12, v4
	v_fmac_f32_e32 v27, v12, v3
	v_mul_f32_e32 v28, v13, v6
	v_fma_f32 v11, v11, v3, -v4
	v_mul_f32_e32 v3, v14, v6
	v_fmac_f32_e32 v28, v14, v5
	v_fma_f32 v12, v13, v5, -v3
	ds_read2_b64 v[3:6], v2 offset0:128 offset1:144
	ds_read_b128 v[7:10], v0 offset:2112
	s_lshl_b64 s[0:1], s[0:1], 3
	s_add_u32 s4, s20, s0
	s_addc_u32 s5, s21, s1
	s_mul_i32 s0, s22, s12
	s_waitcnt lgkmcnt(0)
	v_mul_f32_e32 v13, v7, v4
	v_mul_f32_e32 v4, v8, v4
	v_fmac_f32_e32 v13, v8, v3
	v_mul_f32_e32 v14, v9, v6
	v_fma_f32 v29, v7, v3, -v4
	v_mul_f32_e32 v3, v10, v6
	v_fmac_f32_e32 v14, v10, v5
	v_fma_f32 v30, v9, v5, -v3
	ds_read_b128 v[3:6], v0 offset:2128
	ds_read2_b64 v[7:10], v2 offset0:160 offset1:176
	s_mul_hi_u32 s1, s22, s6
	s_add_i32 s0, s1, s0
	s_mul_i32 s1, s23, s6
	s_add_i32 s1, s0, s1
	s_waitcnt lgkmcnt(0)
	v_mul_f32_e32 v31, v3, v8
	v_fmac_f32_e32 v31, v4, v7
	v_mul_f32_e32 v4, v4, v8
	v_mul_f32_e32 v32, v5, v10
	v_fma_f32 v33, v3, v7, -v4
	v_mul_f32_e32 v3, v6, v10
	v_fmac_f32_e32 v32, v6, v9
	v_fma_f32 v34, v5, v9, -v3
	ds_read_b128 v[3:6], v0 offset:2144
	ds_read2_b64 v[7:10], v2 offset0:192 offset1:208
	s_mul_i32 s0, s22, s6
	s_lshl_b64 s[0:1], s[0:1], 3
	s_add_u32 s4, s4, s0
	s_addc_u32 s5, s5, s1
	s_waitcnt lgkmcnt(0)
	v_mul_f32_e32 v35, v3, v8
	v_fmac_f32_e32 v35, v4, v7
	v_mul_f32_e32 v4, v4, v8
	v_fma_f32 v37, v3, v7, -v4
	v_mul_f32_e32 v3, v6, v10
	v_fma_f32 v38, v5, v9, -v3
	v_add_f32_e32 v3, 0, v19
	v_add_f32_e32 v3, v3, v20
	;; [unrolled: 1-line block ×5, first 2 shown]
	v_mul_f32_e32 v36, v5, v10
	v_add_f32_e32 v7, v3, v18
	v_fmac_f32_e32 v36, v6, v9
	ds_read_b128 v[3:6], v0 offset:2160
	v_add_f32_e32 v0, v7, v27
	v_add_f32_e32 v0, v0, v28
	ds_read2_b64 v[7:10], v2 offset0:224 offset1:240
	v_add_f32_e32 v0, v0, v13
	v_add_f32_e32 v0, v0, v14
	;; [unrolled: 1-line block ×5, first 2 shown]
	s_waitcnt lgkmcnt(0)
	v_mul_f32_e32 v13, v3, v8
	v_add_f32_e32 v0, v0, v36
	v_fmac_f32_e32 v13, v4, v7
	v_add_f32_e32 v0, v0, v13
	v_mul_f32_e32 v13, v5, v10
	v_fmac_f32_e32 v13, v6, v9
	v_add_f32_e32 v13, v0, v13
	v_add_f32_e32 v0, 0, v21
	;; [unrolled: 1-line block ×14, first 2 shown]
	v_mul_f32_e32 v4, v4, v8
	v_add_f32_e32 v0, v0, v38
	v_fma_f32 v3, v3, v7, -v4
	v_add_f32_e32 v0, v0, v3
	v_mad_u64_u32 v[3:4], s[0:1], s22, v1, 0
	v_mul_f32_e32 v6, v6, v10
	v_fma_f32 v5, v5, v9, -v6
	v_add_f32_e32 v5, v0, v5
	v_mov_b32_e32 v0, v4
	v_mad_u64_u32 v[0:1], s[0:1], s23, v1, v[0:1]
	v_mul_f32_e32 v6, s2, v13
	v_mul_f32_e32 v1, s3, v13
	v_mov_b32_e32 v4, v0
	v_fmac_f32_e32 v6, s3, v5
	v_fma_f32 v5, s2, v5, -v1
	v_lshlrev_b64 v[0:1], 3, v[3:4]
	v_mov_b32_e32 v3, s5
	v_add_co_u32_e32 v0, vcc, s4, v0
	v_addc_co_u32_e32 v1, vcc, v3, v1, vcc
	v_add_co_u32_e32 v0, vcc, v0, v2
	v_addc_co_u32_e32 v1, vcc, 0, v1, vcc
	global_store_dwordx2 v[0:1], v[5:6], off
.LBB99_15:
	s_endpgm
	.section	.rodata,"a",@progbits
	.p2align	6, 0x0
	.amdhsa_kernel _ZL23rocblas_trmm_lTx_kernelILi16ELb0E19rocblas_complex_numIfES1_KS1_S1_Ev13rocblas_fill_17rocblas_diagonal_iiT2_lPT3_llS7_llPT4_lli
		.amdhsa_group_segment_fixed_size 4096
		.amdhsa_private_segment_fixed_size 0
		.amdhsa_kernarg_size 108
		.amdhsa_user_sgpr_count 6
		.amdhsa_user_sgpr_private_segment_buffer 1
		.amdhsa_user_sgpr_dispatch_ptr 0
		.amdhsa_user_sgpr_queue_ptr 0
		.amdhsa_user_sgpr_kernarg_segment_ptr 1
		.amdhsa_user_sgpr_dispatch_id 0
		.amdhsa_user_sgpr_flat_scratch_init 0
		.amdhsa_user_sgpr_private_segment_size 0
		.amdhsa_uses_dynamic_stack 0
		.amdhsa_system_sgpr_private_segment_wavefront_offset 0
		.amdhsa_system_sgpr_workgroup_id_x 1
		.amdhsa_system_sgpr_workgroup_id_y 0
		.amdhsa_system_sgpr_workgroup_id_z 1
		.amdhsa_system_sgpr_workgroup_info 0
		.amdhsa_system_vgpr_workitem_id 1
		.amdhsa_next_free_vgpr 39
		.amdhsa_next_free_sgpr 30
		.amdhsa_reserve_vcc 1
		.amdhsa_reserve_flat_scratch 0
		.amdhsa_float_round_mode_32 0
		.amdhsa_float_round_mode_16_64 0
		.amdhsa_float_denorm_mode_32 3
		.amdhsa_float_denorm_mode_16_64 3
		.amdhsa_dx10_clamp 1
		.amdhsa_ieee_mode 1
		.amdhsa_fp16_overflow 0
		.amdhsa_exception_fp_ieee_invalid_op 0
		.amdhsa_exception_fp_denorm_src 0
		.amdhsa_exception_fp_ieee_div_zero 0
		.amdhsa_exception_fp_ieee_overflow 0
		.amdhsa_exception_fp_ieee_underflow 0
		.amdhsa_exception_fp_ieee_inexact 0
		.amdhsa_exception_int_div_zero 0
	.end_amdhsa_kernel
	.section	.text._ZL23rocblas_trmm_lTx_kernelILi16ELb0E19rocblas_complex_numIfES1_KS1_S1_Ev13rocblas_fill_17rocblas_diagonal_iiT2_lPT3_llS7_llPT4_lli,"axG",@progbits,_ZL23rocblas_trmm_lTx_kernelILi16ELb0E19rocblas_complex_numIfES1_KS1_S1_Ev13rocblas_fill_17rocblas_diagonal_iiT2_lPT3_llS7_llPT4_lli,comdat
.Lfunc_end99:
	.size	_ZL23rocblas_trmm_lTx_kernelILi16ELb0E19rocblas_complex_numIfES1_KS1_S1_Ev13rocblas_fill_17rocblas_diagonal_iiT2_lPT3_llS7_llPT4_lli, .Lfunc_end99-_ZL23rocblas_trmm_lTx_kernelILi16ELb0E19rocblas_complex_numIfES1_KS1_S1_Ev13rocblas_fill_17rocblas_diagonal_iiT2_lPT3_llS7_llPT4_lli
                                        ; -- End function
	.set _ZL23rocblas_trmm_lTx_kernelILi16ELb0E19rocblas_complex_numIfES1_KS1_S1_Ev13rocblas_fill_17rocblas_diagonal_iiT2_lPT3_llS7_llPT4_lli.num_vgpr, 39
	.set _ZL23rocblas_trmm_lTx_kernelILi16ELb0E19rocblas_complex_numIfES1_KS1_S1_Ev13rocblas_fill_17rocblas_diagonal_iiT2_lPT3_llS7_llPT4_lli.num_agpr, 0
	.set _ZL23rocblas_trmm_lTx_kernelILi16ELb0E19rocblas_complex_numIfES1_KS1_S1_Ev13rocblas_fill_17rocblas_diagonal_iiT2_lPT3_llS7_llPT4_lli.numbered_sgpr, 30
	.set _ZL23rocblas_trmm_lTx_kernelILi16ELb0E19rocblas_complex_numIfES1_KS1_S1_Ev13rocblas_fill_17rocblas_diagonal_iiT2_lPT3_llS7_llPT4_lli.num_named_barrier, 0
	.set _ZL23rocblas_trmm_lTx_kernelILi16ELb0E19rocblas_complex_numIfES1_KS1_S1_Ev13rocblas_fill_17rocblas_diagonal_iiT2_lPT3_llS7_llPT4_lli.private_seg_size, 0
	.set _ZL23rocblas_trmm_lTx_kernelILi16ELb0E19rocblas_complex_numIfES1_KS1_S1_Ev13rocblas_fill_17rocblas_diagonal_iiT2_lPT3_llS7_llPT4_lli.uses_vcc, 1
	.set _ZL23rocblas_trmm_lTx_kernelILi16ELb0E19rocblas_complex_numIfES1_KS1_S1_Ev13rocblas_fill_17rocblas_diagonal_iiT2_lPT3_llS7_llPT4_lli.uses_flat_scratch, 0
	.set _ZL23rocblas_trmm_lTx_kernelILi16ELb0E19rocblas_complex_numIfES1_KS1_S1_Ev13rocblas_fill_17rocblas_diagonal_iiT2_lPT3_llS7_llPT4_lli.has_dyn_sized_stack, 0
	.set _ZL23rocblas_trmm_lTx_kernelILi16ELb0E19rocblas_complex_numIfES1_KS1_S1_Ev13rocblas_fill_17rocblas_diagonal_iiT2_lPT3_llS7_llPT4_lli.has_recursion, 0
	.set _ZL23rocblas_trmm_lTx_kernelILi16ELb0E19rocblas_complex_numIfES1_KS1_S1_Ev13rocblas_fill_17rocblas_diagonal_iiT2_lPT3_llS7_llPT4_lli.has_indirect_call, 0
	.section	.AMDGPU.csdata,"",@progbits
; Kernel info:
; codeLenInByte = 1356
; TotalNumSgprs: 34
; NumVgprs: 39
; ScratchSize: 0
; MemoryBound: 0
; FloatMode: 240
; IeeeMode: 1
; LDSByteSize: 4096 bytes/workgroup (compile time only)
; SGPRBlocks: 4
; VGPRBlocks: 9
; NumSGPRsForWavesPerEU: 34
; NumVGPRsForWavesPerEU: 39
; Occupancy: 6
; WaveLimiterHint : 0
; COMPUTE_PGM_RSRC2:SCRATCH_EN: 0
; COMPUTE_PGM_RSRC2:USER_SGPR: 6
; COMPUTE_PGM_RSRC2:TRAP_HANDLER: 0
; COMPUTE_PGM_RSRC2:TGID_X_EN: 1
; COMPUTE_PGM_RSRC2:TGID_Y_EN: 0
; COMPUTE_PGM_RSRC2:TGID_Z_EN: 1
; COMPUTE_PGM_RSRC2:TIDIG_COMP_CNT: 1
	.section	.text._ZL23rocblas_trmm_lTx_kernelILi16ELb1E19rocblas_complex_numIfEPKS1_S2_S1_Ev13rocblas_fill_17rocblas_diagonal_iiT2_lPT3_llS8_llPT4_lli,"axG",@progbits,_ZL23rocblas_trmm_lTx_kernelILi16ELb1E19rocblas_complex_numIfEPKS1_S2_S1_Ev13rocblas_fill_17rocblas_diagonal_iiT2_lPT3_llS8_llPT4_lli,comdat
	.globl	_ZL23rocblas_trmm_lTx_kernelILi16ELb1E19rocblas_complex_numIfEPKS1_S2_S1_Ev13rocblas_fill_17rocblas_diagonal_iiT2_lPT3_llS8_llPT4_lli ; -- Begin function _ZL23rocblas_trmm_lTx_kernelILi16ELb1E19rocblas_complex_numIfEPKS1_S2_S1_Ev13rocblas_fill_17rocblas_diagonal_iiT2_lPT3_llS8_llPT4_lli
	.p2align	8
	.type	_ZL23rocblas_trmm_lTx_kernelILi16ELb1E19rocblas_complex_numIfEPKS1_S2_S1_Ev13rocblas_fill_17rocblas_diagonal_iiT2_lPT3_llS8_llPT4_lli,@function
_ZL23rocblas_trmm_lTx_kernelILi16ELb1E19rocblas_complex_numIfEPKS1_S2_S1_Ev13rocblas_fill_17rocblas_diagonal_iiT2_lPT3_llS8_llPT4_lli: ; @_ZL23rocblas_trmm_lTx_kernelILi16ELb1E19rocblas_complex_numIfEPKS1_S2_S1_Ev13rocblas_fill_17rocblas_diagonal_iiT2_lPT3_llS8_llPT4_lli
; %bb.0:
	s_load_dwordx16 s[8:23], s[4:5], 0x10
	s_waitcnt lgkmcnt(0)
	s_mul_i32 s0, s11, s7
	s_mul_hi_u32 s1, s10, s7
	s_add_i32 s1, s1, s0
	s_mul_i32 s0, s10, s7
	s_lshl_b64 s[0:1], s[0:1], 3
	s_add_u32 s0, s8, s0
	s_addc_u32 s1, s9, s1
	s_load_dwordx2 s[2:3], s[0:1], 0x0
	s_waitcnt lgkmcnt(0)
	v_cmp_neq_f32_e64 s[0:1], s2, 0
	v_cmp_neq_f32_e64 s[8:9], s3, 0
	s_or_b64 s[0:1], s[0:1], s[8:9]
	s_andn2_b64 vcc, exec, s[0:1]
	s_mov_b32 s0, 0
	s_cbranch_vccnz .LBB100_15
; %bb.1:
	s_load_dwordx4 s[8:11], s[4:5], 0x0
	s_mov_b32 s1, s0
	v_mov_b32_e32 v6, s1
	v_lshlrev_b32_e32 v3, 4, v1
	v_mov_b32_e32 v5, s0
	s_waitcnt lgkmcnt(0)
	v_cmp_gt_i32_e64 s[0:1], s10, v1
	v_cmp_gt_i32_e32 vcc, s10, v0
	v_add_lshl_u32 v4, v3, v0, 3
	s_and_b64 s[0:1], s[0:1], vcc
	v_lshlrev_b32_e32 v2, 3, v0
	ds_write2st64_b64 v4, v[5:6], v[5:6] offset1:4
	s_waitcnt lgkmcnt(0)
	s_barrier
	s_and_saveexec_b64 s[24:25], s[0:1]
	s_cbranch_execz .LBB100_3
; %bb.2:
	v_mad_u64_u32 v[5:6], s[0:1], s14, v1, 0
	s_mul_i32 s10, s17, s7
	s_mul_hi_u32 s0, s16, s7
	v_mad_u64_u32 v[6:7], s[14:15], s15, v1, v[6:7]
	s_add_i32 s1, s0, s10
	s_mul_i32 s0, s16, s7
	s_lshl_b64 s[0:1], s[0:1], 3
	s_add_u32 s0, s12, s0
	v_lshlrev_b64 v[5:6], 3, v[5:6]
	s_addc_u32 s1, s13, s1
	v_mov_b32_e32 v7, s1
	v_add_co_u32_e64 v5, s[0:1], s0, v5
	v_addc_co_u32_e64 v6, s[0:1], v7, v6, s[0:1]
	v_add_co_u32_e64 v5, s[0:1], v5, v2
	v_addc_co_u32_e64 v6, s[0:1], 0, v6, s[0:1]
	global_load_dwordx2 v[5:6], v[5:6], off
	v_lshlrev_b32_e32 v7, 3, v1
	v_lshl_add_u32 v7, v0, 7, v7
	s_waitcnt vmcnt(0)
	v_xor_b32_e32 v6, 0x80000000, v6
	ds_write_b64 v7, v[5:6]
.LBB100_3:
	s_or_b64 exec, exec, s[24:25]
	s_add_i32 s0, s11, -1
	s_ashr_i32 s1, s0, 31
	s_lshr_b32 s1, s1, 28
	s_add_i32 s0, s0, s1
	s_ashr_i32 s1, s0, 4
	s_and_b32 s0, s0, -16
	s_sub_i32 s0, s11, s0
	s_cmp_ge_i32 s6, s1
	s_cselect_b32 s0, s0, 16
	s_lshl_b32 s6, s6, 4
	v_cmp_gt_i32_e64 s[0:1], s0, v1
	s_ashr_i32 s12, s6, 31
	s_and_b64 s[0:1], vcc, s[0:1]
	s_and_saveexec_b64 s[10:11], s[0:1]
	s_cbranch_execz .LBB100_5
; %bb.4:
	s_mul_i32 s13, s23, s7
	s_mul_hi_u32 s14, s22, s7
	s_add_i32 s15, s14, s13
	s_mul_i32 s14, s22, s7
	s_lshl_b64 s[14:15], s[14:15], 3
	s_add_u32 s13, s18, s14
	s_addc_u32 s18, s19, s15
	s_mul_i32 s14, s20, s12
	s_mul_hi_u32 s15, s20, s6
	s_add_i32 s16, s15, s14
	v_mad_u64_u32 v[5:6], s[14:15], s20, v1, 0
	s_mul_i32 s14, s21, s6
	s_add_i32 s15, s16, s14
	v_mad_u64_u32 v[6:7], s[16:17], s21, v1, v[6:7]
	s_mul_i32 s14, s20, s6
	s_lshl_b64 s[14:15], s[14:15], 3
	s_add_u32 s13, s13, s14
	v_lshlrev_b64 v[5:6], 3, v[5:6]
	s_addc_u32 s14, s18, s15
	v_mov_b32_e32 v7, s14
	v_add_co_u32_e32 v5, vcc, s13, v5
	v_addc_co_u32_e32 v6, vcc, v7, v6, vcc
	v_add_co_u32_e32 v5, vcc, v5, v2
	v_addc_co_u32_e32 v6, vcc, 0, v6, vcc
	global_load_dwordx2 v[5:6], v[5:6], off
	v_add_u32_e32 v7, 0x800, v4
	s_waitcnt vmcnt(0)
	ds_write_b64 v7, v[5:6]
.LBB100_5:
	s_or_b64 exec, exec, s[10:11]
	s_cmpk_eq_i32 s9, 0x84
	s_cselect_b64 s[10:11], -1, 0
	v_cmp_eq_u32_e32 vcc, v1, v0
	s_and_b64 s[14:15], vcc, s[10:11]
	s_and_saveexec_b64 s[10:11], s[14:15]
; %bb.6:
	v_mov_b32_e32 v5, 1.0
	v_mov_b32_e32 v6, 0
	ds_write_b64 v4, v[5:6]
; %bb.7:
	s_or_b64 exec, exec, s[10:11]
	s_cmpk_lg_i32 s8, 0x7a
	s_waitcnt lgkmcnt(0)
	s_barrier
	s_cbranch_scc0 .LBB100_9
; %bb.8:
	v_cmp_lt_u32_e32 vcc, v0, v1
	s_and_b64 s[8:9], vcc, exec
	s_cbranch_execz .LBB100_10
	s_branch .LBB100_11
.LBB100_9:
	s_mov_b64 s[8:9], 0
.LBB100_10:
	v_cmp_gt_u32_e32 vcc, v0, v1
	s_andn2_b64 s[8:9], s[8:9], exec
	s_and_b64 s[10:11], vcc, exec
	s_or_b64 s[8:9], s[8:9], s[10:11]
.LBB100_11:
	s_and_saveexec_b64 s[10:11], s[8:9]
; %bb.12:
	v_mov_b32_e32 v5, 0
	v_mov_b32_e32 v6, v5
	ds_write_b64 v4, v[5:6]
; %bb.13:
	s_or_b64 exec, exec, s[10:11]
	s_waitcnt lgkmcnt(0)
	s_barrier
	s_and_saveexec_b64 s[8:9], s[0:1]
	s_cbranch_execz .LBB100_15
; %bb.14:
	v_lshlrev_b32_e32 v0, 3, v3
	ds_read2_b64 v[3:6], v2 offset1:16
	ds_read_b128 v[7:10], v0 offset:2048
	ds_read_b128 v[11:14], v0 offset:2064
	ds_read2_b64 v[15:18], v2 offset0:32 offset1:48
	s_load_dwordx2 s[0:1], s[4:5], 0x60
	s_load_dwordx4 s[8:11], s[4:5], 0x50
	s_waitcnt lgkmcnt(0)
	v_mul_f32_e32 v19, v7, v4
	v_mul_f32_e32 v4, v8, v4
	v_mul_f32_e32 v20, v9, v6
	v_fmac_f32_e32 v19, v8, v3
	v_fma_f32 v21, v7, v3, -v4
	v_mul_f32_e32 v3, v10, v6
	v_fmac_f32_e32 v20, v10, v5
	v_fma_f32 v22, v9, v5, -v3
	ds_read2_b64 v[3:6], v2 offset0:64 offset1:80
	ds_read_b128 v[7:10], v0 offset:2080
	v_mul_f32_e32 v23, v11, v16
	v_fmac_f32_e32 v23, v12, v15
	v_mul_f32_e32 v12, v12, v16
	v_mul_f32_e32 v24, v13, v18
	v_fma_f32 v15, v11, v15, -v12
	v_mul_f32_e32 v11, v14, v18
	v_fmac_f32_e32 v24, v14, v17
	v_fma_f32 v16, v13, v17, -v11
	s_waitcnt lgkmcnt(0)
	v_mul_f32_e32 v17, v7, v4
	v_mul_f32_e32 v4, v8, v4
	v_fmac_f32_e32 v17, v8, v3
	v_mul_f32_e32 v18, v9, v6
	v_fma_f32 v25, v7, v3, -v4
	v_mul_f32_e32 v3, v10, v6
	ds_read_b128 v[11:14], v0 offset:2096
	v_fmac_f32_e32 v18, v10, v5
	v_fma_f32 v26, v9, v5, -v3
	ds_read2_b64 v[3:6], v2 offset0:96 offset1:112
	s_mul_i32 s1, s1, s7
	s_mul_hi_u32 s4, s0, s7
	s_add_i32 s1, s4, s1
	s_mul_i32 s0, s0, s7
	s_waitcnt lgkmcnt(0)
	v_mul_f32_e32 v27, v11, v4
	v_mul_f32_e32 v4, v12, v4
	v_fmac_f32_e32 v27, v12, v3
	v_mul_f32_e32 v28, v13, v6
	v_fma_f32 v11, v11, v3, -v4
	v_mul_f32_e32 v3, v14, v6
	v_fmac_f32_e32 v28, v14, v5
	v_fma_f32 v12, v13, v5, -v3
	ds_read2_b64 v[3:6], v2 offset0:128 offset1:144
	ds_read_b128 v[7:10], v0 offset:2112
	s_lshl_b64 s[0:1], s[0:1], 3
	s_add_u32 s4, s8, s0
	s_addc_u32 s5, s9, s1
	s_mul_i32 s0, s10, s12
	s_waitcnt lgkmcnt(0)
	v_mul_f32_e32 v13, v7, v4
	v_mul_f32_e32 v4, v8, v4
	v_fmac_f32_e32 v13, v8, v3
	v_mul_f32_e32 v14, v9, v6
	v_fma_f32 v29, v7, v3, -v4
	v_mul_f32_e32 v3, v10, v6
	v_fmac_f32_e32 v14, v10, v5
	v_fma_f32 v30, v9, v5, -v3
	ds_read_b128 v[3:6], v0 offset:2128
	ds_read2_b64 v[7:10], v2 offset0:160 offset1:176
	s_mul_hi_u32 s1, s10, s6
	s_add_i32 s0, s1, s0
	s_mul_i32 s1, s11, s6
	s_add_i32 s1, s0, s1
	s_waitcnt lgkmcnt(0)
	v_mul_f32_e32 v31, v3, v8
	v_fmac_f32_e32 v31, v4, v7
	v_mul_f32_e32 v4, v4, v8
	v_mul_f32_e32 v32, v5, v10
	v_fma_f32 v33, v3, v7, -v4
	v_mul_f32_e32 v3, v6, v10
	v_fmac_f32_e32 v32, v6, v9
	v_fma_f32 v34, v5, v9, -v3
	ds_read_b128 v[3:6], v0 offset:2144
	ds_read2_b64 v[7:10], v2 offset0:192 offset1:208
	s_mul_i32 s0, s10, s6
	s_lshl_b64 s[0:1], s[0:1], 3
	s_add_u32 s4, s4, s0
	s_addc_u32 s5, s5, s1
	s_waitcnt lgkmcnt(0)
	v_mul_f32_e32 v35, v3, v8
	v_fmac_f32_e32 v35, v4, v7
	v_mul_f32_e32 v4, v4, v8
	v_fma_f32 v37, v3, v7, -v4
	v_mul_f32_e32 v3, v6, v10
	v_fma_f32 v38, v5, v9, -v3
	v_add_f32_e32 v3, 0, v19
	v_add_f32_e32 v3, v3, v20
	;; [unrolled: 1-line block ×5, first 2 shown]
	v_mul_f32_e32 v36, v5, v10
	v_add_f32_e32 v7, v3, v18
	v_fmac_f32_e32 v36, v6, v9
	ds_read_b128 v[3:6], v0 offset:2160
	v_add_f32_e32 v0, v7, v27
	v_add_f32_e32 v0, v0, v28
	ds_read2_b64 v[7:10], v2 offset0:224 offset1:240
	v_add_f32_e32 v0, v0, v13
	v_add_f32_e32 v0, v0, v14
	;; [unrolled: 1-line block ×5, first 2 shown]
	s_waitcnt lgkmcnt(0)
	v_mul_f32_e32 v13, v3, v8
	v_add_f32_e32 v0, v0, v36
	v_fmac_f32_e32 v13, v4, v7
	v_add_f32_e32 v0, v0, v13
	v_mul_f32_e32 v13, v5, v10
	v_fmac_f32_e32 v13, v6, v9
	v_add_f32_e32 v13, v0, v13
	v_add_f32_e32 v0, 0, v21
	;; [unrolled: 1-line block ×14, first 2 shown]
	v_mul_f32_e32 v4, v4, v8
	v_add_f32_e32 v0, v0, v38
	v_fma_f32 v3, v3, v7, -v4
	v_add_f32_e32 v0, v0, v3
	v_mad_u64_u32 v[3:4], s[0:1], s10, v1, 0
	v_mul_f32_e32 v6, v6, v10
	v_fma_f32 v5, v5, v9, -v6
	v_add_f32_e32 v5, v0, v5
	v_mov_b32_e32 v0, v4
	v_mad_u64_u32 v[0:1], s[0:1], s11, v1, v[0:1]
	v_mul_f32_e32 v6, s2, v13
	v_mul_f32_e32 v1, s3, v13
	v_mov_b32_e32 v4, v0
	v_fmac_f32_e32 v6, s3, v5
	v_fma_f32 v5, s2, v5, -v1
	v_lshlrev_b64 v[0:1], 3, v[3:4]
	v_mov_b32_e32 v3, s5
	v_add_co_u32_e32 v0, vcc, s4, v0
	v_addc_co_u32_e32 v1, vcc, v3, v1, vcc
	v_add_co_u32_e32 v0, vcc, v0, v2
	v_addc_co_u32_e32 v1, vcc, 0, v1, vcc
	global_store_dwordx2 v[0:1], v[5:6], off
.LBB100_15:
	s_endpgm
	.section	.rodata,"a",@progbits
	.p2align	6, 0x0
	.amdhsa_kernel _ZL23rocblas_trmm_lTx_kernelILi16ELb1E19rocblas_complex_numIfEPKS1_S2_S1_Ev13rocblas_fill_17rocblas_diagonal_iiT2_lPT3_llS8_llPT4_lli
		.amdhsa_group_segment_fixed_size 4096
		.amdhsa_private_segment_fixed_size 0
		.amdhsa_kernarg_size 108
		.amdhsa_user_sgpr_count 6
		.amdhsa_user_sgpr_private_segment_buffer 1
		.amdhsa_user_sgpr_dispatch_ptr 0
		.amdhsa_user_sgpr_queue_ptr 0
		.amdhsa_user_sgpr_kernarg_segment_ptr 1
		.amdhsa_user_sgpr_dispatch_id 0
		.amdhsa_user_sgpr_flat_scratch_init 0
		.amdhsa_user_sgpr_private_segment_size 0
		.amdhsa_uses_dynamic_stack 0
		.amdhsa_system_sgpr_private_segment_wavefront_offset 0
		.amdhsa_system_sgpr_workgroup_id_x 1
		.amdhsa_system_sgpr_workgroup_id_y 0
		.amdhsa_system_sgpr_workgroup_id_z 1
		.amdhsa_system_sgpr_workgroup_info 0
		.amdhsa_system_vgpr_workitem_id 1
		.amdhsa_next_free_vgpr 39
		.amdhsa_next_free_sgpr 26
		.amdhsa_reserve_vcc 1
		.amdhsa_reserve_flat_scratch 0
		.amdhsa_float_round_mode_32 0
		.amdhsa_float_round_mode_16_64 0
		.amdhsa_float_denorm_mode_32 3
		.amdhsa_float_denorm_mode_16_64 3
		.amdhsa_dx10_clamp 1
		.amdhsa_ieee_mode 1
		.amdhsa_fp16_overflow 0
		.amdhsa_exception_fp_ieee_invalid_op 0
		.amdhsa_exception_fp_denorm_src 0
		.amdhsa_exception_fp_ieee_div_zero 0
		.amdhsa_exception_fp_ieee_overflow 0
		.amdhsa_exception_fp_ieee_underflow 0
		.amdhsa_exception_fp_ieee_inexact 0
		.amdhsa_exception_int_div_zero 0
	.end_amdhsa_kernel
	.section	.text._ZL23rocblas_trmm_lTx_kernelILi16ELb1E19rocblas_complex_numIfEPKS1_S2_S1_Ev13rocblas_fill_17rocblas_diagonal_iiT2_lPT3_llS8_llPT4_lli,"axG",@progbits,_ZL23rocblas_trmm_lTx_kernelILi16ELb1E19rocblas_complex_numIfEPKS1_S2_S1_Ev13rocblas_fill_17rocblas_diagonal_iiT2_lPT3_llS8_llPT4_lli,comdat
.Lfunc_end100:
	.size	_ZL23rocblas_trmm_lTx_kernelILi16ELb1E19rocblas_complex_numIfEPKS1_S2_S1_Ev13rocblas_fill_17rocblas_diagonal_iiT2_lPT3_llS8_llPT4_lli, .Lfunc_end100-_ZL23rocblas_trmm_lTx_kernelILi16ELb1E19rocblas_complex_numIfEPKS1_S2_S1_Ev13rocblas_fill_17rocblas_diagonal_iiT2_lPT3_llS8_llPT4_lli
                                        ; -- End function
	.set _ZL23rocblas_trmm_lTx_kernelILi16ELb1E19rocblas_complex_numIfEPKS1_S2_S1_Ev13rocblas_fill_17rocblas_diagonal_iiT2_lPT3_llS8_llPT4_lli.num_vgpr, 39
	.set _ZL23rocblas_trmm_lTx_kernelILi16ELb1E19rocblas_complex_numIfEPKS1_S2_S1_Ev13rocblas_fill_17rocblas_diagonal_iiT2_lPT3_llS8_llPT4_lli.num_agpr, 0
	.set _ZL23rocblas_trmm_lTx_kernelILi16ELb1E19rocblas_complex_numIfEPKS1_S2_S1_Ev13rocblas_fill_17rocblas_diagonal_iiT2_lPT3_llS8_llPT4_lli.numbered_sgpr, 26
	.set _ZL23rocblas_trmm_lTx_kernelILi16ELb1E19rocblas_complex_numIfEPKS1_S2_S1_Ev13rocblas_fill_17rocblas_diagonal_iiT2_lPT3_llS8_llPT4_lli.num_named_barrier, 0
	.set _ZL23rocblas_trmm_lTx_kernelILi16ELb1E19rocblas_complex_numIfEPKS1_S2_S1_Ev13rocblas_fill_17rocblas_diagonal_iiT2_lPT3_llS8_llPT4_lli.private_seg_size, 0
	.set _ZL23rocblas_trmm_lTx_kernelILi16ELb1E19rocblas_complex_numIfEPKS1_S2_S1_Ev13rocblas_fill_17rocblas_diagonal_iiT2_lPT3_llS8_llPT4_lli.uses_vcc, 1
	.set _ZL23rocblas_trmm_lTx_kernelILi16ELb1E19rocblas_complex_numIfEPKS1_S2_S1_Ev13rocblas_fill_17rocblas_diagonal_iiT2_lPT3_llS8_llPT4_lli.uses_flat_scratch, 0
	.set _ZL23rocblas_trmm_lTx_kernelILi16ELb1E19rocblas_complex_numIfEPKS1_S2_S1_Ev13rocblas_fill_17rocblas_diagonal_iiT2_lPT3_llS8_llPT4_lli.has_dyn_sized_stack, 0
	.set _ZL23rocblas_trmm_lTx_kernelILi16ELb1E19rocblas_complex_numIfEPKS1_S2_S1_Ev13rocblas_fill_17rocblas_diagonal_iiT2_lPT3_llS8_llPT4_lli.has_recursion, 0
	.set _ZL23rocblas_trmm_lTx_kernelILi16ELb1E19rocblas_complex_numIfEPKS1_S2_S1_Ev13rocblas_fill_17rocblas_diagonal_iiT2_lPT3_llS8_llPT4_lli.has_indirect_call, 0
	.section	.AMDGPU.csdata,"",@progbits
; Kernel info:
; codeLenInByte = 1404
; TotalNumSgprs: 30
; NumVgprs: 39
; ScratchSize: 0
; MemoryBound: 0
; FloatMode: 240
; IeeeMode: 1
; LDSByteSize: 4096 bytes/workgroup (compile time only)
; SGPRBlocks: 3
; VGPRBlocks: 9
; NumSGPRsForWavesPerEU: 30
; NumVGPRsForWavesPerEU: 39
; Occupancy: 6
; WaveLimiterHint : 0
; COMPUTE_PGM_RSRC2:SCRATCH_EN: 0
; COMPUTE_PGM_RSRC2:USER_SGPR: 6
; COMPUTE_PGM_RSRC2:TRAP_HANDLER: 0
; COMPUTE_PGM_RSRC2:TGID_X_EN: 1
; COMPUTE_PGM_RSRC2:TGID_Y_EN: 0
; COMPUTE_PGM_RSRC2:TGID_Z_EN: 1
; COMPUTE_PGM_RSRC2:TIDIG_COMP_CNT: 1
	.section	.text._ZL23rocblas_trmm_lTx_kernelILi16ELb1E19rocblas_complex_numIfES1_KS1_S1_Ev13rocblas_fill_17rocblas_diagonal_iiT2_lPT3_llS7_llPT4_lli,"axG",@progbits,_ZL23rocblas_trmm_lTx_kernelILi16ELb1E19rocblas_complex_numIfES1_KS1_S1_Ev13rocblas_fill_17rocblas_diagonal_iiT2_lPT3_llS7_llPT4_lli,comdat
	.globl	_ZL23rocblas_trmm_lTx_kernelILi16ELb1E19rocblas_complex_numIfES1_KS1_S1_Ev13rocblas_fill_17rocblas_diagonal_iiT2_lPT3_llS7_llPT4_lli ; -- Begin function _ZL23rocblas_trmm_lTx_kernelILi16ELb1E19rocblas_complex_numIfES1_KS1_S1_Ev13rocblas_fill_17rocblas_diagonal_iiT2_lPT3_llS7_llPT4_lli
	.p2align	8
	.type	_ZL23rocblas_trmm_lTx_kernelILi16ELb1E19rocblas_complex_numIfES1_KS1_S1_Ev13rocblas_fill_17rocblas_diagonal_iiT2_lPT3_llS7_llPT4_lli,@function
_ZL23rocblas_trmm_lTx_kernelILi16ELb1E19rocblas_complex_numIfES1_KS1_S1_Ev13rocblas_fill_17rocblas_diagonal_iiT2_lPT3_llS7_llPT4_lli: ; @_ZL23rocblas_trmm_lTx_kernelILi16ELb1E19rocblas_complex_numIfES1_KS1_S1_Ev13rocblas_fill_17rocblas_diagonal_iiT2_lPT3_llS7_llPT4_lli
; %bb.0:
	s_load_dwordx2 s[2:3], s[4:5], 0x10
	s_waitcnt lgkmcnt(0)
	v_cmp_neq_f32_e64 s[0:1], s2, 0
	v_cmp_neq_f32_e64 s[8:9], s3, 0
	s_or_b64 s[0:1], s[0:1], s[8:9]
	s_andn2_b64 vcc, exec, s[0:1]
	s_mov_b32 s0, 0
	s_cbranch_vccnz .LBB101_15
; %bb.1:
	s_load_dwordx4 s[24:27], s[4:5], 0x0
	s_load_dwordx16 s[8:23], s[4:5], 0x20
	s_mov_b32 s1, s0
	v_mov_b32_e32 v6, s1
	v_lshlrev_b32_e32 v3, 4, v1
	v_mov_b32_e32 v5, s0
	s_waitcnt lgkmcnt(0)
	v_cmp_gt_i32_e64 s[0:1], s26, v1
	v_cmp_gt_i32_e32 vcc, s26, v0
	v_add_lshl_u32 v4, v3, v0, 3
	s_and_b64 s[0:1], s[0:1], vcc
	v_lshlrev_b32_e32 v2, 3, v0
	ds_write2st64_b64 v4, v[5:6], v[5:6] offset1:4
	s_waitcnt lgkmcnt(0)
	s_barrier
	s_and_saveexec_b64 s[28:29], s[0:1]
	s_cbranch_execz .LBB101_3
; %bb.2:
	v_mad_u64_u32 v[5:6], s[0:1], s10, v1, 0
	s_mul_i32 s13, s13, s7
	s_mul_hi_u32 s0, s12, s7
	v_mad_u64_u32 v[6:7], s[10:11], s11, v1, v[6:7]
	s_add_i32 s1, s0, s13
	s_mul_i32 s0, s12, s7
	s_lshl_b64 s[0:1], s[0:1], 3
	s_add_u32 s0, s8, s0
	v_lshlrev_b64 v[5:6], 3, v[5:6]
	s_addc_u32 s1, s9, s1
	v_mov_b32_e32 v7, s1
	v_add_co_u32_e64 v5, s[0:1], s0, v5
	v_addc_co_u32_e64 v6, s[0:1], v7, v6, s[0:1]
	v_add_co_u32_e64 v5, s[0:1], v5, v2
	v_addc_co_u32_e64 v6, s[0:1], 0, v6, s[0:1]
	global_load_dwordx2 v[5:6], v[5:6], off
	v_lshlrev_b32_e32 v7, 3, v1
	v_lshl_add_u32 v7, v0, 7, v7
	s_waitcnt vmcnt(0)
	v_xor_b32_e32 v6, 0x80000000, v6
	ds_write_b64 v7, v[5:6]
.LBB101_3:
	s_or_b64 exec, exec, s[28:29]
	s_add_i32 s0, s27, -1
	s_ashr_i32 s1, s0, 31
	s_lshr_b32 s1, s1, 28
	s_add_i32 s0, s0, s1
	s_ashr_i32 s1, s0, 4
	s_and_b32 s0, s0, -16
	s_sub_i32 s0, s27, s0
	s_cmp_ge_i32 s6, s1
	s_cselect_b32 s0, s0, 16
	s_lshl_b32 s6, s6, 4
	v_cmp_gt_i32_e64 s[0:1], s0, v1
	s_ashr_i32 s12, s6, 31
	s_and_b64 s[0:1], vcc, s[0:1]
	s_and_saveexec_b64 s[8:9], s[0:1]
	s_cbranch_execz .LBB101_5
; %bb.4:
	s_mul_i32 s10, s19, s7
	s_mul_hi_u32 s11, s18, s7
	s_add_i32 s11, s11, s10
	s_mul_i32 s10, s18, s7
	s_lshl_b64 s[10:11], s[10:11], 3
	s_add_u32 s13, s14, s10
	s_addc_u32 s18, s15, s11
	s_mul_i32 s10, s16, s12
	s_mul_hi_u32 s11, s16, s6
	s_add_i32 s14, s11, s10
	v_mad_u64_u32 v[5:6], s[10:11], s16, v1, 0
	s_mul_i32 s10, s17, s6
	s_add_i32 s11, s14, s10
	v_mad_u64_u32 v[6:7], s[14:15], s17, v1, v[6:7]
	s_mul_i32 s10, s16, s6
	s_lshl_b64 s[10:11], s[10:11], 3
	s_add_u32 s10, s13, s10
	v_lshlrev_b64 v[5:6], 3, v[5:6]
	s_addc_u32 s11, s18, s11
	v_mov_b32_e32 v7, s11
	v_add_co_u32_e32 v5, vcc, s10, v5
	v_addc_co_u32_e32 v6, vcc, v7, v6, vcc
	v_add_co_u32_e32 v5, vcc, v5, v2
	v_addc_co_u32_e32 v6, vcc, 0, v6, vcc
	global_load_dwordx2 v[5:6], v[5:6], off
	v_add_u32_e32 v7, 0x800, v4
	s_waitcnt vmcnt(0)
	ds_write_b64 v7, v[5:6]
.LBB101_5:
	s_or_b64 exec, exec, s[8:9]
	s_cmpk_eq_i32 s25, 0x84
	s_cselect_b64 s[8:9], -1, 0
	v_cmp_eq_u32_e32 vcc, v1, v0
	s_and_b64 s[10:11], vcc, s[8:9]
	s_and_saveexec_b64 s[8:9], s[10:11]
; %bb.6:
	v_mov_b32_e32 v5, 1.0
	v_mov_b32_e32 v6, 0
	ds_write_b64 v4, v[5:6]
; %bb.7:
	s_or_b64 exec, exec, s[8:9]
	s_cmpk_lg_i32 s24, 0x7a
	s_waitcnt lgkmcnt(0)
	s_barrier
	s_cbranch_scc0 .LBB101_9
; %bb.8:
	v_cmp_lt_u32_e32 vcc, v0, v1
	s_and_b64 s[8:9], vcc, exec
	s_cbranch_execz .LBB101_10
	s_branch .LBB101_11
.LBB101_9:
	s_mov_b64 s[8:9], 0
.LBB101_10:
	v_cmp_gt_u32_e32 vcc, v0, v1
	s_andn2_b64 s[8:9], s[8:9], exec
	s_and_b64 s[10:11], vcc, exec
	s_or_b64 s[8:9], s[8:9], s[10:11]
.LBB101_11:
	s_and_saveexec_b64 s[10:11], s[8:9]
; %bb.12:
	v_mov_b32_e32 v5, 0
	v_mov_b32_e32 v6, v5
	ds_write_b64 v4, v[5:6]
; %bb.13:
	s_or_b64 exec, exec, s[10:11]
	s_waitcnt lgkmcnt(0)
	s_barrier
	s_and_saveexec_b64 s[8:9], s[0:1]
	s_cbranch_execz .LBB101_15
; %bb.14:
	v_lshlrev_b32_e32 v0, 3, v3
	ds_read2_b64 v[3:6], v2 offset1:16
	ds_read_b128 v[7:10], v0 offset:2048
	ds_read_b128 v[11:14], v0 offset:2064
	ds_read2_b64 v[15:18], v2 offset0:32 offset1:48
	s_load_dwordx2 s[0:1], s[4:5], 0x60
	s_waitcnt lgkmcnt(0)
	v_mul_f32_e32 v19, v7, v4
	v_mul_f32_e32 v4, v8, v4
	;; [unrolled: 1-line block ×3, first 2 shown]
	v_fmac_f32_e32 v19, v8, v3
	v_fma_f32 v21, v7, v3, -v4
	v_mul_f32_e32 v3, v10, v6
	v_fmac_f32_e32 v20, v10, v5
	v_fma_f32 v22, v9, v5, -v3
	ds_read2_b64 v[3:6], v2 offset0:64 offset1:80
	ds_read_b128 v[7:10], v0 offset:2080
	v_mul_f32_e32 v23, v11, v16
	v_fmac_f32_e32 v23, v12, v15
	v_mul_f32_e32 v12, v12, v16
	v_mul_f32_e32 v24, v13, v18
	v_fma_f32 v15, v11, v15, -v12
	v_mul_f32_e32 v11, v14, v18
	v_fmac_f32_e32 v24, v14, v17
	v_fma_f32 v16, v13, v17, -v11
	s_waitcnt lgkmcnt(0)
	v_mul_f32_e32 v17, v7, v4
	v_mul_f32_e32 v4, v8, v4
	v_fmac_f32_e32 v17, v8, v3
	v_mul_f32_e32 v18, v9, v6
	v_fma_f32 v25, v7, v3, -v4
	v_mul_f32_e32 v3, v10, v6
	ds_read_b128 v[11:14], v0 offset:2096
	v_fmac_f32_e32 v18, v10, v5
	v_fma_f32 v26, v9, v5, -v3
	ds_read2_b64 v[3:6], v2 offset0:96 offset1:112
	s_mul_i32 s1, s1, s7
	s_mul_hi_u32 s4, s0, s7
	s_add_i32 s1, s4, s1
	s_mul_i32 s0, s0, s7
	s_waitcnt lgkmcnt(0)
	v_mul_f32_e32 v27, v11, v4
	v_mul_f32_e32 v4, v12, v4
	v_fmac_f32_e32 v27, v12, v3
	v_mul_f32_e32 v28, v13, v6
	v_fma_f32 v11, v11, v3, -v4
	v_mul_f32_e32 v3, v14, v6
	v_fmac_f32_e32 v28, v14, v5
	v_fma_f32 v12, v13, v5, -v3
	ds_read2_b64 v[3:6], v2 offset0:128 offset1:144
	ds_read_b128 v[7:10], v0 offset:2112
	s_lshl_b64 s[0:1], s[0:1], 3
	s_add_u32 s4, s20, s0
	s_addc_u32 s5, s21, s1
	s_mul_i32 s0, s22, s12
	s_waitcnt lgkmcnt(0)
	v_mul_f32_e32 v13, v7, v4
	v_mul_f32_e32 v4, v8, v4
	v_fmac_f32_e32 v13, v8, v3
	v_mul_f32_e32 v14, v9, v6
	v_fma_f32 v29, v7, v3, -v4
	v_mul_f32_e32 v3, v10, v6
	v_fmac_f32_e32 v14, v10, v5
	v_fma_f32 v30, v9, v5, -v3
	ds_read_b128 v[3:6], v0 offset:2128
	ds_read2_b64 v[7:10], v2 offset0:160 offset1:176
	s_mul_hi_u32 s1, s22, s6
	s_add_i32 s0, s1, s0
	s_mul_i32 s1, s23, s6
	s_add_i32 s1, s0, s1
	s_waitcnt lgkmcnt(0)
	v_mul_f32_e32 v31, v3, v8
	v_fmac_f32_e32 v31, v4, v7
	v_mul_f32_e32 v4, v4, v8
	v_mul_f32_e32 v32, v5, v10
	v_fma_f32 v33, v3, v7, -v4
	v_mul_f32_e32 v3, v6, v10
	v_fmac_f32_e32 v32, v6, v9
	v_fma_f32 v34, v5, v9, -v3
	ds_read_b128 v[3:6], v0 offset:2144
	ds_read2_b64 v[7:10], v2 offset0:192 offset1:208
	s_mul_i32 s0, s22, s6
	s_lshl_b64 s[0:1], s[0:1], 3
	s_add_u32 s4, s4, s0
	s_addc_u32 s5, s5, s1
	s_waitcnt lgkmcnt(0)
	v_mul_f32_e32 v35, v3, v8
	v_fmac_f32_e32 v35, v4, v7
	v_mul_f32_e32 v4, v4, v8
	v_fma_f32 v37, v3, v7, -v4
	v_mul_f32_e32 v3, v6, v10
	v_fma_f32 v38, v5, v9, -v3
	v_add_f32_e32 v3, 0, v19
	v_add_f32_e32 v3, v3, v20
	v_add_f32_e32 v3, v3, v23
	v_add_f32_e32 v3, v3, v24
	v_add_f32_e32 v3, v3, v17
	v_mul_f32_e32 v36, v5, v10
	v_add_f32_e32 v7, v3, v18
	v_fmac_f32_e32 v36, v6, v9
	ds_read_b128 v[3:6], v0 offset:2160
	v_add_f32_e32 v0, v7, v27
	v_add_f32_e32 v0, v0, v28
	ds_read2_b64 v[7:10], v2 offset0:224 offset1:240
	v_add_f32_e32 v0, v0, v13
	v_add_f32_e32 v0, v0, v14
	;; [unrolled: 1-line block ×5, first 2 shown]
	s_waitcnt lgkmcnt(0)
	v_mul_f32_e32 v13, v3, v8
	v_add_f32_e32 v0, v0, v36
	v_fmac_f32_e32 v13, v4, v7
	v_add_f32_e32 v0, v0, v13
	v_mul_f32_e32 v13, v5, v10
	v_fmac_f32_e32 v13, v6, v9
	v_add_f32_e32 v13, v0, v13
	v_add_f32_e32 v0, 0, v21
	;; [unrolled: 1-line block ×14, first 2 shown]
	v_mul_f32_e32 v4, v4, v8
	v_add_f32_e32 v0, v0, v38
	v_fma_f32 v3, v3, v7, -v4
	v_add_f32_e32 v0, v0, v3
	v_mad_u64_u32 v[3:4], s[0:1], s22, v1, 0
	v_mul_f32_e32 v6, v6, v10
	v_fma_f32 v5, v5, v9, -v6
	v_add_f32_e32 v5, v0, v5
	v_mov_b32_e32 v0, v4
	v_mad_u64_u32 v[0:1], s[0:1], s23, v1, v[0:1]
	v_mul_f32_e32 v6, s2, v13
	v_mul_f32_e32 v1, s3, v13
	v_mov_b32_e32 v4, v0
	v_fmac_f32_e32 v6, s3, v5
	v_fma_f32 v5, s2, v5, -v1
	v_lshlrev_b64 v[0:1], 3, v[3:4]
	v_mov_b32_e32 v3, s5
	v_add_co_u32_e32 v0, vcc, s4, v0
	v_addc_co_u32_e32 v1, vcc, v3, v1, vcc
	v_add_co_u32_e32 v0, vcc, v0, v2
	v_addc_co_u32_e32 v1, vcc, 0, v1, vcc
	global_store_dwordx2 v[0:1], v[5:6], off
.LBB101_15:
	s_endpgm
	.section	.rodata,"a",@progbits
	.p2align	6, 0x0
	.amdhsa_kernel _ZL23rocblas_trmm_lTx_kernelILi16ELb1E19rocblas_complex_numIfES1_KS1_S1_Ev13rocblas_fill_17rocblas_diagonal_iiT2_lPT3_llS7_llPT4_lli
		.amdhsa_group_segment_fixed_size 4096
		.amdhsa_private_segment_fixed_size 0
		.amdhsa_kernarg_size 108
		.amdhsa_user_sgpr_count 6
		.amdhsa_user_sgpr_private_segment_buffer 1
		.amdhsa_user_sgpr_dispatch_ptr 0
		.amdhsa_user_sgpr_queue_ptr 0
		.amdhsa_user_sgpr_kernarg_segment_ptr 1
		.amdhsa_user_sgpr_dispatch_id 0
		.amdhsa_user_sgpr_flat_scratch_init 0
		.amdhsa_user_sgpr_private_segment_size 0
		.amdhsa_uses_dynamic_stack 0
		.amdhsa_system_sgpr_private_segment_wavefront_offset 0
		.amdhsa_system_sgpr_workgroup_id_x 1
		.amdhsa_system_sgpr_workgroup_id_y 0
		.amdhsa_system_sgpr_workgroup_id_z 1
		.amdhsa_system_sgpr_workgroup_info 0
		.amdhsa_system_vgpr_workitem_id 1
		.amdhsa_next_free_vgpr 39
		.amdhsa_next_free_sgpr 30
		.amdhsa_reserve_vcc 1
		.amdhsa_reserve_flat_scratch 0
		.amdhsa_float_round_mode_32 0
		.amdhsa_float_round_mode_16_64 0
		.amdhsa_float_denorm_mode_32 3
		.amdhsa_float_denorm_mode_16_64 3
		.amdhsa_dx10_clamp 1
		.amdhsa_ieee_mode 1
		.amdhsa_fp16_overflow 0
		.amdhsa_exception_fp_ieee_invalid_op 0
		.amdhsa_exception_fp_denorm_src 0
		.amdhsa_exception_fp_ieee_div_zero 0
		.amdhsa_exception_fp_ieee_overflow 0
		.amdhsa_exception_fp_ieee_underflow 0
		.amdhsa_exception_fp_ieee_inexact 0
		.amdhsa_exception_int_div_zero 0
	.end_amdhsa_kernel
	.section	.text._ZL23rocblas_trmm_lTx_kernelILi16ELb1E19rocblas_complex_numIfES1_KS1_S1_Ev13rocblas_fill_17rocblas_diagonal_iiT2_lPT3_llS7_llPT4_lli,"axG",@progbits,_ZL23rocblas_trmm_lTx_kernelILi16ELb1E19rocblas_complex_numIfES1_KS1_S1_Ev13rocblas_fill_17rocblas_diagonal_iiT2_lPT3_llS7_llPT4_lli,comdat
.Lfunc_end101:
	.size	_ZL23rocblas_trmm_lTx_kernelILi16ELb1E19rocblas_complex_numIfES1_KS1_S1_Ev13rocblas_fill_17rocblas_diagonal_iiT2_lPT3_llS7_llPT4_lli, .Lfunc_end101-_ZL23rocblas_trmm_lTx_kernelILi16ELb1E19rocblas_complex_numIfES1_KS1_S1_Ev13rocblas_fill_17rocblas_diagonal_iiT2_lPT3_llS7_llPT4_lli
                                        ; -- End function
	.set _ZL23rocblas_trmm_lTx_kernelILi16ELb1E19rocblas_complex_numIfES1_KS1_S1_Ev13rocblas_fill_17rocblas_diagonal_iiT2_lPT3_llS7_llPT4_lli.num_vgpr, 39
	.set _ZL23rocblas_trmm_lTx_kernelILi16ELb1E19rocblas_complex_numIfES1_KS1_S1_Ev13rocblas_fill_17rocblas_diagonal_iiT2_lPT3_llS7_llPT4_lli.num_agpr, 0
	.set _ZL23rocblas_trmm_lTx_kernelILi16ELb1E19rocblas_complex_numIfES1_KS1_S1_Ev13rocblas_fill_17rocblas_diagonal_iiT2_lPT3_llS7_llPT4_lli.numbered_sgpr, 30
	.set _ZL23rocblas_trmm_lTx_kernelILi16ELb1E19rocblas_complex_numIfES1_KS1_S1_Ev13rocblas_fill_17rocblas_diagonal_iiT2_lPT3_llS7_llPT4_lli.num_named_barrier, 0
	.set _ZL23rocblas_trmm_lTx_kernelILi16ELb1E19rocblas_complex_numIfES1_KS1_S1_Ev13rocblas_fill_17rocblas_diagonal_iiT2_lPT3_llS7_llPT4_lli.private_seg_size, 0
	.set _ZL23rocblas_trmm_lTx_kernelILi16ELb1E19rocblas_complex_numIfES1_KS1_S1_Ev13rocblas_fill_17rocblas_diagonal_iiT2_lPT3_llS7_llPT4_lli.uses_vcc, 1
	.set _ZL23rocblas_trmm_lTx_kernelILi16ELb1E19rocblas_complex_numIfES1_KS1_S1_Ev13rocblas_fill_17rocblas_diagonal_iiT2_lPT3_llS7_llPT4_lli.uses_flat_scratch, 0
	.set _ZL23rocblas_trmm_lTx_kernelILi16ELb1E19rocblas_complex_numIfES1_KS1_S1_Ev13rocblas_fill_17rocblas_diagonal_iiT2_lPT3_llS7_llPT4_lli.has_dyn_sized_stack, 0
	.set _ZL23rocblas_trmm_lTx_kernelILi16ELb1E19rocblas_complex_numIfES1_KS1_S1_Ev13rocblas_fill_17rocblas_diagonal_iiT2_lPT3_llS7_llPT4_lli.has_recursion, 0
	.set _ZL23rocblas_trmm_lTx_kernelILi16ELb1E19rocblas_complex_numIfES1_KS1_S1_Ev13rocblas_fill_17rocblas_diagonal_iiT2_lPT3_llS7_llPT4_lli.has_indirect_call, 0
	.section	.AMDGPU.csdata,"",@progbits
; Kernel info:
; codeLenInByte = 1364
; TotalNumSgprs: 34
; NumVgprs: 39
; ScratchSize: 0
; MemoryBound: 0
; FloatMode: 240
; IeeeMode: 1
; LDSByteSize: 4096 bytes/workgroup (compile time only)
; SGPRBlocks: 4
; VGPRBlocks: 9
; NumSGPRsForWavesPerEU: 34
; NumVGPRsForWavesPerEU: 39
; Occupancy: 6
; WaveLimiterHint : 0
; COMPUTE_PGM_RSRC2:SCRATCH_EN: 0
; COMPUTE_PGM_RSRC2:USER_SGPR: 6
; COMPUTE_PGM_RSRC2:TRAP_HANDLER: 0
; COMPUTE_PGM_RSRC2:TGID_X_EN: 1
; COMPUTE_PGM_RSRC2:TGID_Y_EN: 0
; COMPUTE_PGM_RSRC2:TGID_Z_EN: 1
; COMPUTE_PGM_RSRC2:TIDIG_COMP_CNT: 1
	.section	.text._ZL23rocblas_trmm_rNx_kernelILi16E19rocblas_complex_numIfEPKS1_S2_S1_Ev13rocblas_fill_17rocblas_diagonal_iiT1_lPT2_llS8_llPT3_lli,"axG",@progbits,_ZL23rocblas_trmm_rNx_kernelILi16E19rocblas_complex_numIfEPKS1_S2_S1_Ev13rocblas_fill_17rocblas_diagonal_iiT1_lPT2_llS8_llPT3_lli,comdat
	.globl	_ZL23rocblas_trmm_rNx_kernelILi16E19rocblas_complex_numIfEPKS1_S2_S1_Ev13rocblas_fill_17rocblas_diagonal_iiT1_lPT2_llS8_llPT3_lli ; -- Begin function _ZL23rocblas_trmm_rNx_kernelILi16E19rocblas_complex_numIfEPKS1_S2_S1_Ev13rocblas_fill_17rocblas_diagonal_iiT1_lPT2_llS8_llPT3_lli
	.p2align	8
	.type	_ZL23rocblas_trmm_rNx_kernelILi16E19rocblas_complex_numIfEPKS1_S2_S1_Ev13rocblas_fill_17rocblas_diagonal_iiT1_lPT2_llS8_llPT3_lli,@function
_ZL23rocblas_trmm_rNx_kernelILi16E19rocblas_complex_numIfEPKS1_S2_S1_Ev13rocblas_fill_17rocblas_diagonal_iiT1_lPT2_llS8_llPT3_lli: ; @_ZL23rocblas_trmm_rNx_kernelILi16E19rocblas_complex_numIfEPKS1_S2_S1_Ev13rocblas_fill_17rocblas_diagonal_iiT1_lPT2_llS8_llPT3_lli
; %bb.0:
	s_load_dwordx16 s[8:23], s[4:5], 0x10
	s_waitcnt lgkmcnt(0)
	s_mul_i32 s0, s11, s7
	s_mul_hi_u32 s1, s10, s7
	s_add_i32 s1, s1, s0
	s_mul_i32 s0, s10, s7
	s_lshl_b64 s[0:1], s[0:1], 3
	s_add_u32 s0, s8, s0
	s_addc_u32 s1, s9, s1
	s_load_dwordx2 s[2:3], s[0:1], 0x0
	s_waitcnt lgkmcnt(0)
	v_cmp_neq_f32_e64 s[0:1], s2, 0
	v_cmp_neq_f32_e64 s[8:9], s3, 0
	s_or_b64 s[0:1], s[0:1], s[8:9]
	s_andn2_b64 vcc, exec, s[0:1]
	s_mov_b32 s0, 0
	s_cbranch_vccnz .LBB102_15
; %bb.1:
	s_load_dwordx4 s[8:11], s[4:5], 0x0
	s_mov_b32 s1, s0
	v_mov_b32_e32 v6, s1
	v_lshlrev_b32_e32 v3, 4, v1
	v_mov_b32_e32 v5, s0
	s_waitcnt lgkmcnt(0)
	v_cmp_gt_i32_e32 vcc, s11, v1
	v_cmp_gt_i32_e64 s[0:1], s11, v0
	v_add_lshl_u32 v4, v3, v0, 3
	s_and_b64 s[0:1], vcc, s[0:1]
	v_lshlrev_b32_e32 v2, 3, v0
	ds_write2st64_b64 v4, v[5:6], v[5:6] offset1:4
	s_and_saveexec_b64 s[24:25], s[0:1]
	s_cbranch_execz .LBB102_3
; %bb.2:
	v_mad_u64_u32 v[5:6], s[0:1], s14, v1, 0
	s_mul_i32 s11, s17, s7
	s_mul_hi_u32 s0, s16, s7
	v_mad_u64_u32 v[6:7], s[14:15], s15, v1, v[6:7]
	s_add_i32 s1, s0, s11
	s_mul_i32 s0, s16, s7
	s_lshl_b64 s[0:1], s[0:1], 3
	s_add_u32 s0, s12, s0
	v_lshlrev_b64 v[5:6], 3, v[5:6]
	s_addc_u32 s1, s13, s1
	v_mov_b32_e32 v7, s1
	v_add_co_u32_e64 v5, s[0:1], s0, v5
	v_addc_co_u32_e64 v6, s[0:1], v7, v6, s[0:1]
	v_add_co_u32_e64 v5, s[0:1], v5, v2
	v_addc_co_u32_e64 v6, s[0:1], 0, v6, s[0:1]
	global_load_dwordx2 v[5:6], v[5:6], off
	s_waitcnt vmcnt(0)
	ds_write_b64 v4, v[5:6]
.LBB102_3:
	s_or_b64 exec, exec, s[24:25]
	s_add_i32 s0, s10, -1
	s_ashr_i32 s1, s0, 31
	s_lshr_b32 s1, s1, 28
	s_add_i32 s0, s0, s1
	s_ashr_i32 s1, s0, 4
	s_and_b32 s0, s0, -16
	s_sub_i32 s0, s10, s0
	s_cmp_ge_i32 s6, s1
	s_cselect_b32 s0, s0, 16
	s_lshl_b32 s10, s6, 4
	v_cmp_gt_i32_e64 s[0:1], s0, v0
	s_ashr_i32 s11, s10, 31
	s_and_b64 s[0:1], vcc, s[0:1]
	s_and_saveexec_b64 s[12:13], s[0:1]
	s_cbranch_execz .LBB102_5
; %bb.4:
	s_mul_i32 s6, s23, s7
	s_mul_hi_u32 s14, s22, s7
	v_mad_u64_u32 v[5:6], s[16:17], s20, v1, 0
	s_add_i32 s15, s14, s6
	s_mul_i32 s14, s22, s7
	s_lshl_b64 s[14:15], s[14:15], 3
	s_add_u32 s6, s18, s14
	s_addc_u32 s16, s19, s15
	v_mad_u64_u32 v[6:7], s[14:15], s21, v1, v[6:7]
	s_lshl_b64 s[14:15], s[10:11], 3
	s_add_u32 s6, s6, s14
	v_lshlrev_b64 v[5:6], 3, v[5:6]
	s_addc_u32 s14, s16, s15
	v_mov_b32_e32 v7, s14
	v_add_co_u32_e32 v5, vcc, s6, v5
	v_addc_co_u32_e32 v6, vcc, v7, v6, vcc
	v_add_co_u32_e32 v5, vcc, v5, v2
	v_addc_co_u32_e32 v6, vcc, 0, v6, vcc
	global_load_dwordx2 v[5:6], v[5:6], off
	v_add_u32_e32 v7, 0x800, v4
	s_waitcnt vmcnt(0)
	ds_write_b64 v7, v[5:6]
.LBB102_5:
	s_or_b64 exec, exec, s[12:13]
	s_cmpk_eq_i32 s9, 0x84
	s_cselect_b64 s[12:13], -1, 0
	v_cmp_eq_u32_e32 vcc, v1, v0
	s_and_b64 s[14:15], vcc, s[12:13]
	s_and_saveexec_b64 s[12:13], s[14:15]
; %bb.6:
	v_mov_b32_e32 v5, 1.0
	v_mov_b32_e32 v6, 0
	ds_write_b64 v4, v[5:6]
; %bb.7:
	s_or_b64 exec, exec, s[12:13]
	s_cmpk_lg_i32 s8, 0x79
	s_cbranch_scc0 .LBB102_9
; %bb.8:
	v_cmp_lt_u32_e32 vcc, v0, v1
	s_and_b64 s[8:9], vcc, exec
	s_cbranch_execz .LBB102_10
	s_branch .LBB102_11
.LBB102_9:
	s_mov_b64 s[8:9], 0
.LBB102_10:
	v_cmp_gt_u32_e32 vcc, v0, v1
	s_andn2_b64 s[8:9], s[8:9], exec
	s_and_b64 s[12:13], vcc, exec
	s_or_b64 s[8:9], s[8:9], s[12:13]
.LBB102_11:
	s_and_saveexec_b64 s[12:13], s[8:9]
; %bb.12:
	v_mov_b32_e32 v5, 0
	v_mov_b32_e32 v6, v5
	ds_write_b64 v4, v[5:6]
; %bb.13:
	s_or_b64 exec, exec, s[12:13]
	s_waitcnt lgkmcnt(0)
	s_barrier
	s_and_saveexec_b64 s[8:9], s[0:1]
	s_cbranch_execz .LBB102_15
; %bb.14:
	v_add_u32_e32 v19, 0x800, v2
	v_lshlrev_b32_e32 v0, 3, v3
	ds_read2_b64 v[3:6], v19 offset1:16
	ds_read_b128 v[7:10], v0
	ds_read_b128 v[11:14], v0 offset:16
	ds_read2_b64 v[15:18], v19 offset0:32 offset1:48
	s_load_dwordx2 s[0:1], s[4:5], 0x60
	s_load_dwordx4 s[12:15], s[4:5], 0x50
	s_waitcnt lgkmcnt(0)
	v_mul_f32_e32 v20, v7, v4
	v_mul_f32_e32 v4, v8, v4
	;; [unrolled: 1-line block ×3, first 2 shown]
	v_fmac_f32_e32 v20, v8, v3
	v_fma_f32 v22, v7, v3, -v4
	v_mul_f32_e32 v3, v10, v6
	v_fmac_f32_e32 v21, v10, v5
	v_fma_f32 v23, v9, v5, -v3
	ds_read2_b64 v[3:6], v19 offset0:64 offset1:80
	ds_read_b128 v[7:10], v0 offset:32
	v_mul_f32_e32 v24, v11, v16
	v_fmac_f32_e32 v24, v12, v15
	v_mul_f32_e32 v12, v12, v16
	v_mul_f32_e32 v25, v13, v18
	v_fma_f32 v15, v11, v15, -v12
	v_mul_f32_e32 v11, v14, v18
	v_fmac_f32_e32 v25, v14, v17
	v_fma_f32 v16, v13, v17, -v11
	s_waitcnt lgkmcnt(0)
	v_mul_f32_e32 v17, v7, v4
	v_mul_f32_e32 v4, v8, v4
	v_fmac_f32_e32 v17, v8, v3
	v_mul_f32_e32 v18, v9, v6
	v_fma_f32 v26, v7, v3, -v4
	v_mul_f32_e32 v3, v10, v6
	ds_read_b128 v[11:14], v0 offset:48
	v_fmac_f32_e32 v18, v10, v5
	v_fma_f32 v27, v9, v5, -v3
	ds_read2_b64 v[3:6], v19 offset0:96 offset1:112
	s_mul_i32 s1, s1, s7
	s_mul_hi_u32 s4, s0, s7
	s_add_i32 s1, s4, s1
	s_mul_i32 s0, s0, s7
	s_waitcnt lgkmcnt(0)
	v_mul_f32_e32 v28, v11, v4
	v_mul_f32_e32 v4, v12, v4
	v_fmac_f32_e32 v28, v12, v3
	v_mul_f32_e32 v29, v13, v6
	v_fma_f32 v11, v11, v3, -v4
	v_mul_f32_e32 v3, v14, v6
	v_fmac_f32_e32 v29, v14, v5
	v_fma_f32 v12, v13, v5, -v3
	ds_read2_b64 v[3:6], v19 offset0:128 offset1:144
	ds_read_b128 v[7:10], v0 offset:64
	s_lshl_b64 s[0:1], s[0:1], 3
	s_add_u32 s4, s12, s0
	s_addc_u32 s5, s13, s1
	s_lshl_b64 s[0:1], s[10:11], 3
	s_waitcnt lgkmcnt(0)
	v_mul_f32_e32 v13, v7, v4
	v_mul_f32_e32 v4, v8, v4
	v_fmac_f32_e32 v13, v8, v3
	v_mul_f32_e32 v14, v9, v6
	v_fma_f32 v30, v7, v3, -v4
	v_mul_f32_e32 v3, v10, v6
	v_fmac_f32_e32 v14, v10, v5
	v_fma_f32 v31, v9, v5, -v3
	ds_read_b128 v[3:6], v0 offset:80
	ds_read2_b64 v[7:10], v19 offset0:160 offset1:176
	s_add_u32 s4, s4, s0
	s_addc_u32 s5, s5, s1
	s_waitcnt lgkmcnt(0)
	v_mul_f32_e32 v32, v3, v8
	v_fmac_f32_e32 v32, v4, v7
	v_mul_f32_e32 v4, v4, v8
	v_mul_f32_e32 v33, v5, v10
	v_fma_f32 v34, v3, v7, -v4
	v_mul_f32_e32 v3, v6, v10
	v_fmac_f32_e32 v33, v6, v9
	v_fma_f32 v35, v5, v9, -v3
	ds_read_b128 v[3:6], v0 offset:96
	ds_read2_b64 v[7:10], v19 offset0:192 offset1:208
	s_waitcnt lgkmcnt(0)
	v_mul_f32_e32 v36, v3, v8
	v_fmac_f32_e32 v36, v4, v7
	v_mul_f32_e32 v4, v4, v8
	v_fma_f32 v38, v3, v7, -v4
	v_mul_f32_e32 v3, v6, v10
	v_fma_f32 v39, v5, v9, -v3
	v_add_f32_e32 v3, 0, v20
	v_add_f32_e32 v3, v3, v21
	;; [unrolled: 1-line block ×6, first 2 shown]
	v_mul_f32_e32 v37, v5, v10
	v_add_f32_e32 v7, v3, v28
	v_fmac_f32_e32 v37, v6, v9
	ds_read_b128 v[3:6], v0 offset:112
	v_add_f32_e32 v0, v7, v29
	ds_read2_b64 v[7:10], v19 offset0:224 offset1:240
	v_add_f32_e32 v0, v0, v13
	v_add_f32_e32 v0, v0, v14
	v_add_f32_e32 v0, v0, v32
	v_add_f32_e32 v0, v0, v33
	v_add_f32_e32 v0, v0, v36
	s_waitcnt lgkmcnt(0)
	v_mul_f32_e32 v13, v3, v8
	v_add_f32_e32 v0, v0, v37
	v_fmac_f32_e32 v13, v4, v7
	v_add_f32_e32 v0, v0, v13
	v_mul_f32_e32 v13, v5, v10
	v_fmac_f32_e32 v13, v6, v9
	v_add_f32_e32 v13, v0, v13
	v_add_f32_e32 v0, 0, v22
	;; [unrolled: 1-line block ×14, first 2 shown]
	v_mul_f32_e32 v4, v4, v8
	v_add_f32_e32 v0, v0, v39
	v_fma_f32 v3, v3, v7, -v4
	v_add_f32_e32 v0, v0, v3
	v_mad_u64_u32 v[3:4], s[0:1], s14, v1, 0
	v_mul_f32_e32 v6, v6, v10
	v_fma_f32 v5, v5, v9, -v6
	v_add_f32_e32 v5, v0, v5
	v_mov_b32_e32 v0, v4
	v_mad_u64_u32 v[0:1], s[0:1], s15, v1, v[0:1]
	v_mul_f32_e32 v6, s2, v13
	v_mul_f32_e32 v1, s3, v13
	v_mov_b32_e32 v4, v0
	v_fmac_f32_e32 v6, s3, v5
	v_fma_f32 v5, s2, v5, -v1
	v_lshlrev_b64 v[0:1], 3, v[3:4]
	v_mov_b32_e32 v3, s5
	v_add_co_u32_e32 v0, vcc, s4, v0
	v_addc_co_u32_e32 v1, vcc, v3, v1, vcc
	v_add_co_u32_e32 v0, vcc, v0, v2
	v_addc_co_u32_e32 v1, vcc, 0, v1, vcc
	global_store_dwordx2 v[0:1], v[5:6], off
.LBB102_15:
	s_endpgm
	.section	.rodata,"a",@progbits
	.p2align	6, 0x0
	.amdhsa_kernel _ZL23rocblas_trmm_rNx_kernelILi16E19rocblas_complex_numIfEPKS1_S2_S1_Ev13rocblas_fill_17rocblas_diagonal_iiT1_lPT2_llS8_llPT3_lli
		.amdhsa_group_segment_fixed_size 4096
		.amdhsa_private_segment_fixed_size 0
		.amdhsa_kernarg_size 108
		.amdhsa_user_sgpr_count 6
		.amdhsa_user_sgpr_private_segment_buffer 1
		.amdhsa_user_sgpr_dispatch_ptr 0
		.amdhsa_user_sgpr_queue_ptr 0
		.amdhsa_user_sgpr_kernarg_segment_ptr 1
		.amdhsa_user_sgpr_dispatch_id 0
		.amdhsa_user_sgpr_flat_scratch_init 0
		.amdhsa_user_sgpr_private_segment_size 0
		.amdhsa_uses_dynamic_stack 0
		.amdhsa_system_sgpr_private_segment_wavefront_offset 0
		.amdhsa_system_sgpr_workgroup_id_x 1
		.amdhsa_system_sgpr_workgroup_id_y 0
		.amdhsa_system_sgpr_workgroup_id_z 1
		.amdhsa_system_sgpr_workgroup_info 0
		.amdhsa_system_vgpr_workitem_id 1
		.amdhsa_next_free_vgpr 40
		.amdhsa_next_free_sgpr 26
		.amdhsa_reserve_vcc 1
		.amdhsa_reserve_flat_scratch 0
		.amdhsa_float_round_mode_32 0
		.amdhsa_float_round_mode_16_64 0
		.amdhsa_float_denorm_mode_32 3
		.amdhsa_float_denorm_mode_16_64 3
		.amdhsa_dx10_clamp 1
		.amdhsa_ieee_mode 1
		.amdhsa_fp16_overflow 0
		.amdhsa_exception_fp_ieee_invalid_op 0
		.amdhsa_exception_fp_denorm_src 0
		.amdhsa_exception_fp_ieee_div_zero 0
		.amdhsa_exception_fp_ieee_overflow 0
		.amdhsa_exception_fp_ieee_underflow 0
		.amdhsa_exception_fp_ieee_inexact 0
		.amdhsa_exception_int_div_zero 0
	.end_amdhsa_kernel
	.section	.text._ZL23rocblas_trmm_rNx_kernelILi16E19rocblas_complex_numIfEPKS1_S2_S1_Ev13rocblas_fill_17rocblas_diagonal_iiT1_lPT2_llS8_llPT3_lli,"axG",@progbits,_ZL23rocblas_trmm_rNx_kernelILi16E19rocblas_complex_numIfEPKS1_S2_S1_Ev13rocblas_fill_17rocblas_diagonal_iiT1_lPT2_llS8_llPT3_lli,comdat
.Lfunc_end102:
	.size	_ZL23rocblas_trmm_rNx_kernelILi16E19rocblas_complex_numIfEPKS1_S2_S1_Ev13rocblas_fill_17rocblas_diagonal_iiT1_lPT2_llS8_llPT3_lli, .Lfunc_end102-_ZL23rocblas_trmm_rNx_kernelILi16E19rocblas_complex_numIfEPKS1_S2_S1_Ev13rocblas_fill_17rocblas_diagonal_iiT1_lPT2_llS8_llPT3_lli
                                        ; -- End function
	.set _ZL23rocblas_trmm_rNx_kernelILi16E19rocblas_complex_numIfEPKS1_S2_S1_Ev13rocblas_fill_17rocblas_diagonal_iiT1_lPT2_llS8_llPT3_lli.num_vgpr, 40
	.set _ZL23rocblas_trmm_rNx_kernelILi16E19rocblas_complex_numIfEPKS1_S2_S1_Ev13rocblas_fill_17rocblas_diagonal_iiT1_lPT2_llS8_llPT3_lli.num_agpr, 0
	.set _ZL23rocblas_trmm_rNx_kernelILi16E19rocblas_complex_numIfEPKS1_S2_S1_Ev13rocblas_fill_17rocblas_diagonal_iiT1_lPT2_llS8_llPT3_lli.numbered_sgpr, 26
	.set _ZL23rocblas_trmm_rNx_kernelILi16E19rocblas_complex_numIfEPKS1_S2_S1_Ev13rocblas_fill_17rocblas_diagonal_iiT1_lPT2_llS8_llPT3_lli.num_named_barrier, 0
	.set _ZL23rocblas_trmm_rNx_kernelILi16E19rocblas_complex_numIfEPKS1_S2_S1_Ev13rocblas_fill_17rocblas_diagonal_iiT1_lPT2_llS8_llPT3_lli.private_seg_size, 0
	.set _ZL23rocblas_trmm_rNx_kernelILi16E19rocblas_complex_numIfEPKS1_S2_S1_Ev13rocblas_fill_17rocblas_diagonal_iiT1_lPT2_llS8_llPT3_lli.uses_vcc, 1
	.set _ZL23rocblas_trmm_rNx_kernelILi16E19rocblas_complex_numIfEPKS1_S2_S1_Ev13rocblas_fill_17rocblas_diagonal_iiT1_lPT2_llS8_llPT3_lli.uses_flat_scratch, 0
	.set _ZL23rocblas_trmm_rNx_kernelILi16E19rocblas_complex_numIfEPKS1_S2_S1_Ev13rocblas_fill_17rocblas_diagonal_iiT1_lPT2_llS8_llPT3_lli.has_dyn_sized_stack, 0
	.set _ZL23rocblas_trmm_rNx_kernelILi16E19rocblas_complex_numIfEPKS1_S2_S1_Ev13rocblas_fill_17rocblas_diagonal_iiT1_lPT2_llS8_llPT3_lli.has_recursion, 0
	.set _ZL23rocblas_trmm_rNx_kernelILi16E19rocblas_complex_numIfEPKS1_S2_S1_Ev13rocblas_fill_17rocblas_diagonal_iiT1_lPT2_llS8_llPT3_lli.has_indirect_call, 0
	.section	.AMDGPU.csdata,"",@progbits
; Kernel info:
; codeLenInByte = 1328
; TotalNumSgprs: 30
; NumVgprs: 40
; ScratchSize: 0
; MemoryBound: 0
; FloatMode: 240
; IeeeMode: 1
; LDSByteSize: 4096 bytes/workgroup (compile time only)
; SGPRBlocks: 3
; VGPRBlocks: 9
; NumSGPRsForWavesPerEU: 30
; NumVGPRsForWavesPerEU: 40
; Occupancy: 6
; WaveLimiterHint : 0
; COMPUTE_PGM_RSRC2:SCRATCH_EN: 0
; COMPUTE_PGM_RSRC2:USER_SGPR: 6
; COMPUTE_PGM_RSRC2:TRAP_HANDLER: 0
; COMPUTE_PGM_RSRC2:TGID_X_EN: 1
; COMPUTE_PGM_RSRC2:TGID_Y_EN: 0
; COMPUTE_PGM_RSRC2:TGID_Z_EN: 1
; COMPUTE_PGM_RSRC2:TIDIG_COMP_CNT: 1
	.section	.text._ZL23rocblas_trmm_rNx_kernelILi16E19rocblas_complex_numIfES1_KS1_S1_Ev13rocblas_fill_17rocblas_diagonal_iiT1_lPT2_llS7_llPT3_lli,"axG",@progbits,_ZL23rocblas_trmm_rNx_kernelILi16E19rocblas_complex_numIfES1_KS1_S1_Ev13rocblas_fill_17rocblas_diagonal_iiT1_lPT2_llS7_llPT3_lli,comdat
	.globl	_ZL23rocblas_trmm_rNx_kernelILi16E19rocblas_complex_numIfES1_KS1_S1_Ev13rocblas_fill_17rocblas_diagonal_iiT1_lPT2_llS7_llPT3_lli ; -- Begin function _ZL23rocblas_trmm_rNx_kernelILi16E19rocblas_complex_numIfES1_KS1_S1_Ev13rocblas_fill_17rocblas_diagonal_iiT1_lPT2_llS7_llPT3_lli
	.p2align	8
	.type	_ZL23rocblas_trmm_rNx_kernelILi16E19rocblas_complex_numIfES1_KS1_S1_Ev13rocblas_fill_17rocblas_diagonal_iiT1_lPT2_llS7_llPT3_lli,@function
_ZL23rocblas_trmm_rNx_kernelILi16E19rocblas_complex_numIfES1_KS1_S1_Ev13rocblas_fill_17rocblas_diagonal_iiT1_lPT2_llS7_llPT3_lli: ; @_ZL23rocblas_trmm_rNx_kernelILi16E19rocblas_complex_numIfES1_KS1_S1_Ev13rocblas_fill_17rocblas_diagonal_iiT1_lPT2_llS7_llPT3_lli
; %bb.0:
	s_load_dwordx2 s[2:3], s[4:5], 0x10
	s_waitcnt lgkmcnt(0)
	v_cmp_neq_f32_e64 s[0:1], s2, 0
	v_cmp_neq_f32_e64 s[8:9], s3, 0
	s_or_b64 s[0:1], s[0:1], s[8:9]
	s_andn2_b64 vcc, exec, s[0:1]
	s_mov_b32 s0, 0
	s_cbranch_vccnz .LBB103_15
; %bb.1:
	s_load_dwordx4 s[24:27], s[4:5], 0x0
	s_load_dwordx16 s[8:23], s[4:5], 0x20
	s_mov_b32 s1, s0
	v_mov_b32_e32 v6, s1
	v_lshlrev_b32_e32 v3, 4, v1
	v_mov_b32_e32 v5, s0
	s_waitcnt lgkmcnt(0)
	v_cmp_gt_i32_e32 vcc, s27, v1
	v_cmp_gt_i32_e64 s[0:1], s27, v0
	v_add_lshl_u32 v4, v3, v0, 3
	s_and_b64 s[0:1], vcc, s[0:1]
	v_lshlrev_b32_e32 v2, 3, v0
	ds_write2st64_b64 v4, v[5:6], v[5:6] offset1:4
	s_and_saveexec_b64 s[28:29], s[0:1]
	s_cbranch_execz .LBB103_3
; %bb.2:
	v_mad_u64_u32 v[5:6], s[0:1], s10, v1, 0
	s_mul_i32 s13, s13, s7
	s_mul_hi_u32 s0, s12, s7
	v_mad_u64_u32 v[6:7], s[10:11], s11, v1, v[6:7]
	s_add_i32 s1, s0, s13
	s_mul_i32 s0, s12, s7
	s_lshl_b64 s[0:1], s[0:1], 3
	s_add_u32 s0, s8, s0
	v_lshlrev_b64 v[5:6], 3, v[5:6]
	s_addc_u32 s1, s9, s1
	v_mov_b32_e32 v7, s1
	v_add_co_u32_e64 v5, s[0:1], s0, v5
	v_addc_co_u32_e64 v6, s[0:1], v7, v6, s[0:1]
	v_add_co_u32_e64 v5, s[0:1], v5, v2
	v_addc_co_u32_e64 v6, s[0:1], 0, v6, s[0:1]
	global_load_dwordx2 v[5:6], v[5:6], off
	s_waitcnt vmcnt(0)
	ds_write_b64 v4, v[5:6]
.LBB103_3:
	s_or_b64 exec, exec, s[28:29]
	s_add_i32 s0, s26, -1
	s_ashr_i32 s1, s0, 31
	s_lshr_b32 s1, s1, 28
	s_add_i32 s0, s0, s1
	s_ashr_i32 s1, s0, 4
	s_and_b32 s0, s0, -16
	s_sub_i32 s0, s26, s0
	s_cmp_ge_i32 s6, s1
	s_cselect_b32 s0, s0, 16
	s_lshl_b32 s8, s6, 4
	v_cmp_gt_i32_e64 s[0:1], s0, v0
	s_ashr_i32 s9, s8, 31
	s_and_b64 s[0:1], vcc, s[0:1]
	s_and_saveexec_b64 s[10:11], s[0:1]
	s_cbranch_execz .LBB103_5
; %bb.4:
	s_mul_i32 s6, s19, s7
	s_mul_hi_u32 s12, s18, s7
	s_add_i32 s13, s12, s6
	s_mul_i32 s12, s18, s7
	v_mad_u64_u32 v[5:6], s[18:19], s16, v1, 0
	s_lshl_b64 s[12:13], s[12:13], 3
	s_add_u32 s6, s14, s12
	s_addc_u32 s14, s15, s13
	v_mad_u64_u32 v[6:7], s[12:13], s17, v1, v[6:7]
	s_lshl_b64 s[12:13], s[8:9], 3
	s_add_u32 s6, s6, s12
	v_lshlrev_b64 v[5:6], 3, v[5:6]
	s_addc_u32 s12, s14, s13
	v_mov_b32_e32 v7, s12
	v_add_co_u32_e32 v5, vcc, s6, v5
	v_addc_co_u32_e32 v6, vcc, v7, v6, vcc
	v_add_co_u32_e32 v5, vcc, v5, v2
	v_addc_co_u32_e32 v6, vcc, 0, v6, vcc
	global_load_dwordx2 v[5:6], v[5:6], off
	v_add_u32_e32 v7, 0x800, v4
	s_waitcnt vmcnt(0)
	ds_write_b64 v7, v[5:6]
.LBB103_5:
	s_or_b64 exec, exec, s[10:11]
	s_cmpk_eq_i32 s25, 0x84
	s_cselect_b64 s[10:11], -1, 0
	v_cmp_eq_u32_e32 vcc, v1, v0
	s_and_b64 s[12:13], vcc, s[10:11]
	s_and_saveexec_b64 s[10:11], s[12:13]
; %bb.6:
	v_mov_b32_e32 v5, 1.0
	v_mov_b32_e32 v6, 0
	ds_write_b64 v4, v[5:6]
; %bb.7:
	s_or_b64 exec, exec, s[10:11]
	s_cmpk_lg_i32 s24, 0x79
	s_cbranch_scc0 .LBB103_9
; %bb.8:
	v_cmp_lt_u32_e32 vcc, v0, v1
	s_and_b64 s[10:11], vcc, exec
	s_cbranch_execz .LBB103_10
	s_branch .LBB103_11
.LBB103_9:
	s_mov_b64 s[10:11], 0
.LBB103_10:
	v_cmp_gt_u32_e32 vcc, v0, v1
	s_andn2_b64 s[10:11], s[10:11], exec
	s_and_b64 s[12:13], vcc, exec
	s_or_b64 s[10:11], s[10:11], s[12:13]
.LBB103_11:
	s_and_saveexec_b64 s[12:13], s[10:11]
; %bb.12:
	v_mov_b32_e32 v5, 0
	v_mov_b32_e32 v6, v5
	ds_write_b64 v4, v[5:6]
; %bb.13:
	s_or_b64 exec, exec, s[12:13]
	s_waitcnt lgkmcnt(0)
	s_barrier
	s_and_saveexec_b64 s[10:11], s[0:1]
	s_cbranch_execz .LBB103_15
; %bb.14:
	v_add_u32_e32 v19, 0x800, v2
	v_lshlrev_b32_e32 v0, 3, v3
	ds_read2_b64 v[3:6], v19 offset1:16
	ds_read_b128 v[7:10], v0
	ds_read_b128 v[11:14], v0 offset:16
	ds_read2_b64 v[15:18], v19 offset0:32 offset1:48
	s_load_dwordx2 s[0:1], s[4:5], 0x60
	s_waitcnt lgkmcnt(0)
	v_mul_f32_e32 v20, v7, v4
	v_mul_f32_e32 v4, v8, v4
	;; [unrolled: 1-line block ×3, first 2 shown]
	v_fmac_f32_e32 v20, v8, v3
	v_fma_f32 v22, v7, v3, -v4
	v_mul_f32_e32 v3, v10, v6
	v_fmac_f32_e32 v21, v10, v5
	v_fma_f32 v23, v9, v5, -v3
	ds_read2_b64 v[3:6], v19 offset0:64 offset1:80
	ds_read_b128 v[7:10], v0 offset:32
	v_mul_f32_e32 v24, v11, v16
	v_fmac_f32_e32 v24, v12, v15
	v_mul_f32_e32 v12, v12, v16
	v_mul_f32_e32 v25, v13, v18
	v_fma_f32 v15, v11, v15, -v12
	v_mul_f32_e32 v11, v14, v18
	v_fmac_f32_e32 v25, v14, v17
	v_fma_f32 v16, v13, v17, -v11
	s_waitcnt lgkmcnt(0)
	v_mul_f32_e32 v17, v7, v4
	v_mul_f32_e32 v4, v8, v4
	v_fmac_f32_e32 v17, v8, v3
	v_mul_f32_e32 v18, v9, v6
	v_fma_f32 v26, v7, v3, -v4
	v_mul_f32_e32 v3, v10, v6
	ds_read_b128 v[11:14], v0 offset:48
	v_fmac_f32_e32 v18, v10, v5
	v_fma_f32 v27, v9, v5, -v3
	ds_read2_b64 v[3:6], v19 offset0:96 offset1:112
	s_mul_i32 s1, s1, s7
	s_mul_hi_u32 s4, s0, s7
	s_add_i32 s1, s4, s1
	s_mul_i32 s0, s0, s7
	s_waitcnt lgkmcnt(0)
	v_mul_f32_e32 v28, v11, v4
	v_mul_f32_e32 v4, v12, v4
	v_fmac_f32_e32 v28, v12, v3
	v_mul_f32_e32 v29, v13, v6
	v_fma_f32 v11, v11, v3, -v4
	v_mul_f32_e32 v3, v14, v6
	v_fmac_f32_e32 v29, v14, v5
	v_fma_f32 v12, v13, v5, -v3
	ds_read2_b64 v[3:6], v19 offset0:128 offset1:144
	ds_read_b128 v[7:10], v0 offset:64
	s_lshl_b64 s[0:1], s[0:1], 3
	s_add_u32 s4, s20, s0
	s_addc_u32 s5, s21, s1
	s_lshl_b64 s[0:1], s[8:9], 3
	s_waitcnt lgkmcnt(0)
	v_mul_f32_e32 v13, v7, v4
	v_mul_f32_e32 v4, v8, v4
	v_fmac_f32_e32 v13, v8, v3
	v_mul_f32_e32 v14, v9, v6
	v_fma_f32 v30, v7, v3, -v4
	v_mul_f32_e32 v3, v10, v6
	v_fmac_f32_e32 v14, v10, v5
	v_fma_f32 v31, v9, v5, -v3
	ds_read_b128 v[3:6], v0 offset:80
	ds_read2_b64 v[7:10], v19 offset0:160 offset1:176
	s_add_u32 s4, s4, s0
	s_addc_u32 s5, s5, s1
	s_waitcnt lgkmcnt(0)
	v_mul_f32_e32 v32, v3, v8
	v_fmac_f32_e32 v32, v4, v7
	v_mul_f32_e32 v4, v4, v8
	v_mul_f32_e32 v33, v5, v10
	v_fma_f32 v34, v3, v7, -v4
	v_mul_f32_e32 v3, v6, v10
	v_fmac_f32_e32 v33, v6, v9
	v_fma_f32 v35, v5, v9, -v3
	ds_read_b128 v[3:6], v0 offset:96
	ds_read2_b64 v[7:10], v19 offset0:192 offset1:208
	s_waitcnt lgkmcnt(0)
	v_mul_f32_e32 v36, v3, v8
	v_fmac_f32_e32 v36, v4, v7
	v_mul_f32_e32 v4, v4, v8
	v_fma_f32 v38, v3, v7, -v4
	v_mul_f32_e32 v3, v6, v10
	v_fma_f32 v39, v5, v9, -v3
	v_add_f32_e32 v3, 0, v20
	v_add_f32_e32 v3, v3, v21
	;; [unrolled: 1-line block ×6, first 2 shown]
	v_mul_f32_e32 v37, v5, v10
	v_add_f32_e32 v7, v3, v28
	v_fmac_f32_e32 v37, v6, v9
	ds_read_b128 v[3:6], v0 offset:112
	v_add_f32_e32 v0, v7, v29
	ds_read2_b64 v[7:10], v19 offset0:224 offset1:240
	v_add_f32_e32 v0, v0, v13
	v_add_f32_e32 v0, v0, v14
	;; [unrolled: 1-line block ×5, first 2 shown]
	s_waitcnt lgkmcnt(0)
	v_mul_f32_e32 v13, v3, v8
	v_add_f32_e32 v0, v0, v37
	v_fmac_f32_e32 v13, v4, v7
	v_add_f32_e32 v0, v0, v13
	v_mul_f32_e32 v13, v5, v10
	v_fmac_f32_e32 v13, v6, v9
	v_add_f32_e32 v13, v0, v13
	v_add_f32_e32 v0, 0, v22
	;; [unrolled: 1-line block ×14, first 2 shown]
	v_mul_f32_e32 v4, v4, v8
	v_add_f32_e32 v0, v0, v39
	v_fma_f32 v3, v3, v7, -v4
	v_add_f32_e32 v0, v0, v3
	v_mad_u64_u32 v[3:4], s[0:1], s22, v1, 0
	v_mul_f32_e32 v6, v6, v10
	v_fma_f32 v5, v5, v9, -v6
	v_add_f32_e32 v5, v0, v5
	v_mov_b32_e32 v0, v4
	v_mad_u64_u32 v[0:1], s[0:1], s23, v1, v[0:1]
	v_mul_f32_e32 v6, s2, v13
	v_mul_f32_e32 v1, s3, v13
	v_mov_b32_e32 v4, v0
	v_fmac_f32_e32 v6, s3, v5
	v_fma_f32 v5, s2, v5, -v1
	v_lshlrev_b64 v[0:1], 3, v[3:4]
	v_mov_b32_e32 v3, s5
	v_add_co_u32_e32 v0, vcc, s4, v0
	v_addc_co_u32_e32 v1, vcc, v3, v1, vcc
	v_add_co_u32_e32 v0, vcc, v0, v2
	v_addc_co_u32_e32 v1, vcc, 0, v1, vcc
	global_store_dwordx2 v[0:1], v[5:6], off
.LBB103_15:
	s_endpgm
	.section	.rodata,"a",@progbits
	.p2align	6, 0x0
	.amdhsa_kernel _ZL23rocblas_trmm_rNx_kernelILi16E19rocblas_complex_numIfES1_KS1_S1_Ev13rocblas_fill_17rocblas_diagonal_iiT1_lPT2_llS7_llPT3_lli
		.amdhsa_group_segment_fixed_size 4096
		.amdhsa_private_segment_fixed_size 0
		.amdhsa_kernarg_size 108
		.amdhsa_user_sgpr_count 6
		.amdhsa_user_sgpr_private_segment_buffer 1
		.amdhsa_user_sgpr_dispatch_ptr 0
		.amdhsa_user_sgpr_queue_ptr 0
		.amdhsa_user_sgpr_kernarg_segment_ptr 1
		.amdhsa_user_sgpr_dispatch_id 0
		.amdhsa_user_sgpr_flat_scratch_init 0
		.amdhsa_user_sgpr_private_segment_size 0
		.amdhsa_uses_dynamic_stack 0
		.amdhsa_system_sgpr_private_segment_wavefront_offset 0
		.amdhsa_system_sgpr_workgroup_id_x 1
		.amdhsa_system_sgpr_workgroup_id_y 0
		.amdhsa_system_sgpr_workgroup_id_z 1
		.amdhsa_system_sgpr_workgroup_info 0
		.amdhsa_system_vgpr_workitem_id 1
		.amdhsa_next_free_vgpr 40
		.amdhsa_next_free_sgpr 30
		.amdhsa_reserve_vcc 1
		.amdhsa_reserve_flat_scratch 0
		.amdhsa_float_round_mode_32 0
		.amdhsa_float_round_mode_16_64 0
		.amdhsa_float_denorm_mode_32 3
		.amdhsa_float_denorm_mode_16_64 3
		.amdhsa_dx10_clamp 1
		.amdhsa_ieee_mode 1
		.amdhsa_fp16_overflow 0
		.amdhsa_exception_fp_ieee_invalid_op 0
		.amdhsa_exception_fp_denorm_src 0
		.amdhsa_exception_fp_ieee_div_zero 0
		.amdhsa_exception_fp_ieee_overflow 0
		.amdhsa_exception_fp_ieee_underflow 0
		.amdhsa_exception_fp_ieee_inexact 0
		.amdhsa_exception_int_div_zero 0
	.end_amdhsa_kernel
	.section	.text._ZL23rocblas_trmm_rNx_kernelILi16E19rocblas_complex_numIfES1_KS1_S1_Ev13rocblas_fill_17rocblas_diagonal_iiT1_lPT2_llS7_llPT3_lli,"axG",@progbits,_ZL23rocblas_trmm_rNx_kernelILi16E19rocblas_complex_numIfES1_KS1_S1_Ev13rocblas_fill_17rocblas_diagonal_iiT1_lPT2_llS7_llPT3_lli,comdat
.Lfunc_end103:
	.size	_ZL23rocblas_trmm_rNx_kernelILi16E19rocblas_complex_numIfES1_KS1_S1_Ev13rocblas_fill_17rocblas_diagonal_iiT1_lPT2_llS7_llPT3_lli, .Lfunc_end103-_ZL23rocblas_trmm_rNx_kernelILi16E19rocblas_complex_numIfES1_KS1_S1_Ev13rocblas_fill_17rocblas_diagonal_iiT1_lPT2_llS7_llPT3_lli
                                        ; -- End function
	.set _ZL23rocblas_trmm_rNx_kernelILi16E19rocblas_complex_numIfES1_KS1_S1_Ev13rocblas_fill_17rocblas_diagonal_iiT1_lPT2_llS7_llPT3_lli.num_vgpr, 40
	.set _ZL23rocblas_trmm_rNx_kernelILi16E19rocblas_complex_numIfES1_KS1_S1_Ev13rocblas_fill_17rocblas_diagonal_iiT1_lPT2_llS7_llPT3_lli.num_agpr, 0
	.set _ZL23rocblas_trmm_rNx_kernelILi16E19rocblas_complex_numIfES1_KS1_S1_Ev13rocblas_fill_17rocblas_diagonal_iiT1_lPT2_llS7_llPT3_lli.numbered_sgpr, 30
	.set _ZL23rocblas_trmm_rNx_kernelILi16E19rocblas_complex_numIfES1_KS1_S1_Ev13rocblas_fill_17rocblas_diagonal_iiT1_lPT2_llS7_llPT3_lli.num_named_barrier, 0
	.set _ZL23rocblas_trmm_rNx_kernelILi16E19rocblas_complex_numIfES1_KS1_S1_Ev13rocblas_fill_17rocblas_diagonal_iiT1_lPT2_llS7_llPT3_lli.private_seg_size, 0
	.set _ZL23rocblas_trmm_rNx_kernelILi16E19rocblas_complex_numIfES1_KS1_S1_Ev13rocblas_fill_17rocblas_diagonal_iiT1_lPT2_llS7_llPT3_lli.uses_vcc, 1
	.set _ZL23rocblas_trmm_rNx_kernelILi16E19rocblas_complex_numIfES1_KS1_S1_Ev13rocblas_fill_17rocblas_diagonal_iiT1_lPT2_llS7_llPT3_lli.uses_flat_scratch, 0
	.set _ZL23rocblas_trmm_rNx_kernelILi16E19rocblas_complex_numIfES1_KS1_S1_Ev13rocblas_fill_17rocblas_diagonal_iiT1_lPT2_llS7_llPT3_lli.has_dyn_sized_stack, 0
	.set _ZL23rocblas_trmm_rNx_kernelILi16E19rocblas_complex_numIfES1_KS1_S1_Ev13rocblas_fill_17rocblas_diagonal_iiT1_lPT2_llS7_llPT3_lli.has_recursion, 0
	.set _ZL23rocblas_trmm_rNx_kernelILi16E19rocblas_complex_numIfES1_KS1_S1_Ev13rocblas_fill_17rocblas_diagonal_iiT1_lPT2_llS7_llPT3_lli.has_indirect_call, 0
	.section	.AMDGPU.csdata,"",@progbits
; Kernel info:
; codeLenInByte = 1288
; TotalNumSgprs: 34
; NumVgprs: 40
; ScratchSize: 0
; MemoryBound: 0
; FloatMode: 240
; IeeeMode: 1
; LDSByteSize: 4096 bytes/workgroup (compile time only)
; SGPRBlocks: 4
; VGPRBlocks: 9
; NumSGPRsForWavesPerEU: 34
; NumVGPRsForWavesPerEU: 40
; Occupancy: 6
; WaveLimiterHint : 0
; COMPUTE_PGM_RSRC2:SCRATCH_EN: 0
; COMPUTE_PGM_RSRC2:USER_SGPR: 6
; COMPUTE_PGM_RSRC2:TRAP_HANDLER: 0
; COMPUTE_PGM_RSRC2:TGID_X_EN: 1
; COMPUTE_PGM_RSRC2:TGID_Y_EN: 0
; COMPUTE_PGM_RSRC2:TGID_Z_EN: 1
; COMPUTE_PGM_RSRC2:TIDIG_COMP_CNT: 1
	.section	.text._ZL23rocblas_trmm_rTx_kernelILi16ELb0E19rocblas_complex_numIfEPKS1_S2_S1_Ev13rocblas_fill_17rocblas_diagonal_iiT2_lPT3_llS8_llPT4_lli,"axG",@progbits,_ZL23rocblas_trmm_rTx_kernelILi16ELb0E19rocblas_complex_numIfEPKS1_S2_S1_Ev13rocblas_fill_17rocblas_diagonal_iiT2_lPT3_llS8_llPT4_lli,comdat
	.globl	_ZL23rocblas_trmm_rTx_kernelILi16ELb0E19rocblas_complex_numIfEPKS1_S2_S1_Ev13rocblas_fill_17rocblas_diagonal_iiT2_lPT3_llS8_llPT4_lli ; -- Begin function _ZL23rocblas_trmm_rTx_kernelILi16ELb0E19rocblas_complex_numIfEPKS1_S2_S1_Ev13rocblas_fill_17rocblas_diagonal_iiT2_lPT3_llS8_llPT4_lli
	.p2align	8
	.type	_ZL23rocblas_trmm_rTx_kernelILi16ELb0E19rocblas_complex_numIfEPKS1_S2_S1_Ev13rocblas_fill_17rocblas_diagonal_iiT2_lPT3_llS8_llPT4_lli,@function
_ZL23rocblas_trmm_rTx_kernelILi16ELb0E19rocblas_complex_numIfEPKS1_S2_S1_Ev13rocblas_fill_17rocblas_diagonal_iiT2_lPT3_llS8_llPT4_lli: ; @_ZL23rocblas_trmm_rTx_kernelILi16ELb0E19rocblas_complex_numIfEPKS1_S2_S1_Ev13rocblas_fill_17rocblas_diagonal_iiT2_lPT3_llS8_llPT4_lli
; %bb.0:
	s_load_dwordx16 s[8:23], s[4:5], 0x10
	s_waitcnt lgkmcnt(0)
	s_mul_i32 s0, s11, s7
	s_mul_hi_u32 s1, s10, s7
	s_add_i32 s1, s1, s0
	s_mul_i32 s0, s10, s7
	s_lshl_b64 s[0:1], s[0:1], 3
	s_add_u32 s0, s8, s0
	s_addc_u32 s1, s9, s1
	s_load_dwordx2 s[2:3], s[0:1], 0x0
	s_waitcnt lgkmcnt(0)
	v_cmp_neq_f32_e64 s[0:1], s2, 0
	v_cmp_neq_f32_e64 s[8:9], s3, 0
	s_or_b64 s[0:1], s[0:1], s[8:9]
	s_andn2_b64 vcc, exec, s[0:1]
	s_mov_b32 s0, 0
	s_cbranch_vccnz .LBB104_15
; %bb.1:
	s_load_dwordx4 s[8:11], s[4:5], 0x0
	s_mov_b32 s1, s0
	v_mov_b32_e32 v5, s1
	v_lshlrev_b32_e32 v2, 4, v1
	v_mov_b32_e32 v4, s0
	s_waitcnt lgkmcnt(0)
	v_cmp_gt_i32_e32 vcc, s11, v1
	v_cmp_gt_i32_e64 s[0:1], s11, v0
	v_add_lshl_u32 v3, v2, v0, 3
	s_and_b64 s[0:1], vcc, s[0:1]
	v_lshlrev_b32_e32 v2, 3, v0
	ds_write2st64_b64 v3, v[4:5], v[4:5] offset1:4
	s_and_saveexec_b64 s[24:25], s[0:1]
	s_cbranch_execz .LBB104_3
; %bb.2:
	v_mad_u64_u32 v[4:5], s[0:1], s14, v1, 0
	s_mul_i32 s11, s17, s7
	s_mul_hi_u32 s0, s16, s7
	v_mad_u64_u32 v[5:6], s[14:15], s15, v1, v[5:6]
	s_add_i32 s1, s0, s11
	s_mul_i32 s0, s16, s7
	s_lshl_b64 s[0:1], s[0:1], 3
	s_add_u32 s0, s12, s0
	v_lshlrev_b64 v[4:5], 3, v[4:5]
	s_addc_u32 s1, s13, s1
	v_mov_b32_e32 v6, s1
	v_add_co_u32_e64 v4, s[0:1], s0, v4
	v_addc_co_u32_e64 v5, s[0:1], v6, v5, s[0:1]
	v_add_co_u32_e64 v4, s[0:1], v4, v2
	v_addc_co_u32_e64 v5, s[0:1], 0, v5, s[0:1]
	global_load_dwordx2 v[4:5], v[4:5], off
	s_waitcnt vmcnt(0)
	ds_write_b64 v3, v[4:5]
.LBB104_3:
	s_or_b64 exec, exec, s[24:25]
	s_add_i32 s0, s10, -1
	s_ashr_i32 s1, s0, 31
	s_lshr_b32 s1, s1, 28
	s_add_i32 s0, s0, s1
	s_ashr_i32 s1, s0, 4
	s_and_b32 s0, s0, -16
	s_sub_i32 s0, s10, s0
	s_cmp_ge_i32 s6, s1
	s_cselect_b32 s0, s0, 16
	s_lshl_b32 s10, s6, 4
	v_cmp_gt_i32_e64 s[0:1], s0, v0
	s_ashr_i32 s11, s10, 31
	s_and_b64 s[0:1], vcc, s[0:1]
	s_and_saveexec_b64 s[12:13], s[0:1]
	s_cbranch_execz .LBB104_5
; %bb.4:
	s_mul_i32 s6, s23, s7
	s_mul_hi_u32 s14, s22, s7
	v_mad_u64_u32 v[4:5], s[16:17], s20, v1, 0
	s_add_i32 s15, s14, s6
	s_mul_i32 s14, s22, s7
	s_lshl_b64 s[14:15], s[14:15], 3
	s_add_u32 s6, s18, s14
	s_addc_u32 s16, s19, s15
	v_mad_u64_u32 v[5:6], s[14:15], s21, v1, v[5:6]
	s_lshl_b64 s[14:15], s[10:11], 3
	s_add_u32 s6, s6, s14
	v_lshlrev_b64 v[4:5], 3, v[4:5]
	s_addc_u32 s14, s16, s15
	v_mov_b32_e32 v6, s14
	v_add_co_u32_e32 v4, vcc, s6, v4
	v_addc_co_u32_e32 v5, vcc, v6, v5, vcc
	v_add_co_u32_e32 v4, vcc, v4, v2
	v_addc_co_u32_e32 v5, vcc, 0, v5, vcc
	global_load_dwordx2 v[4:5], v[4:5], off
	v_add_u32_e32 v6, 0x800, v3
	s_waitcnt vmcnt(0)
	ds_write_b64 v6, v[4:5]
.LBB104_5:
	s_or_b64 exec, exec, s[12:13]
	s_cmpk_eq_i32 s9, 0x84
	s_cselect_b64 s[12:13], -1, 0
	v_cmp_eq_u32_e32 vcc, v1, v0
	s_and_b64 s[14:15], vcc, s[12:13]
	s_and_saveexec_b64 s[12:13], s[14:15]
; %bb.6:
	v_mov_b32_e32 v4, 1.0
	v_mov_b32_e32 v5, 0
	ds_write_b64 v3, v[4:5]
; %bb.7:
	s_or_b64 exec, exec, s[12:13]
	s_cmpk_lg_i32 s8, 0x79
	s_cbranch_scc0 .LBB104_9
; %bb.8:
	v_cmp_lt_u32_e32 vcc, v0, v1
	s_and_b64 s[8:9], vcc, exec
	s_cbranch_execz .LBB104_10
	s_branch .LBB104_11
.LBB104_9:
	s_mov_b64 s[8:9], 0
.LBB104_10:
	v_cmp_gt_u32_e32 vcc, v0, v1
	s_andn2_b64 s[8:9], s[8:9], exec
	s_and_b64 s[12:13], vcc, exec
	s_or_b64 s[8:9], s[8:9], s[12:13]
.LBB104_11:
	s_and_saveexec_b64 s[12:13], s[8:9]
; %bb.12:
	v_mov_b32_e32 v4, 0
	v_mov_b32_e32 v5, v4
	ds_write_b64 v3, v[4:5]
; %bb.13:
	s_or_b64 exec, exec, s[12:13]
	s_waitcnt lgkmcnt(0)
	s_barrier
	s_and_saveexec_b64 s[8:9], s[0:1]
	s_cbranch_execz .LBB104_15
; %bb.14:
	v_lshlrev_b32_e32 v0, 3, v1
	v_add_u32_e32 v19, 0x800, v2
	ds_read2_b64 v[3:6], v0 offset1:16
	ds_read2_b64 v[7:10], v19 offset1:16
	ds_read2_b64 v[11:14], v0 offset0:32 offset1:48
	ds_read2_b64 v[15:18], v19 offset0:32 offset1:48
	s_load_dwordx2 s[0:1], s[4:5], 0x60
	s_load_dwordx4 s[12:15], s[4:5], 0x50
	s_waitcnt lgkmcnt(0)
	v_mul_f32_e32 v20, v3, v8
	v_fmac_f32_e32 v20, v4, v7
	v_mul_f32_e32 v4, v4, v8
	v_mul_f32_e32 v21, v5, v10
	v_fma_f32 v22, v3, v7, -v4
	v_mul_f32_e32 v3, v6, v10
	v_fmac_f32_e32 v21, v6, v9
	v_fma_f32 v23, v5, v9, -v3
	ds_read2_b64 v[3:6], v0 offset0:64 offset1:80
	ds_read2_b64 v[7:10], v19 offset0:64 offset1:80
	v_mul_f32_e32 v24, v11, v16
	v_fmac_f32_e32 v24, v12, v15
	v_mul_f32_e32 v12, v12, v16
	v_mul_f32_e32 v25, v13, v18
	v_fma_f32 v26, v11, v15, -v12
	v_mul_f32_e32 v11, v14, v18
	v_fmac_f32_e32 v25, v14, v17
	v_fma_f32 v27, v13, v17, -v11
	s_waitcnt lgkmcnt(0)
	v_mul_f32_e32 v28, v3, v8
	ds_read2_b64 v[11:14], v0 offset0:96 offset1:112
	ds_read2_b64 v[15:18], v19 offset0:96 offset1:112
	v_fmac_f32_e32 v28, v4, v7
	v_mul_f32_e32 v4, v4, v8
	v_mul_f32_e32 v29, v5, v10
	v_fma_f32 v30, v3, v7, -v4
	v_mul_f32_e32 v3, v6, v10
	v_fmac_f32_e32 v29, v6, v9
	v_fma_f32 v31, v5, v9, -v3
	ds_read2_b64 v[3:6], v0 offset0:128 offset1:144
	ds_read2_b64 v[7:10], v19 offset0:128 offset1:144
	s_waitcnt lgkmcnt(2)
	v_mul_f32_e32 v32, v11, v16
	v_fmac_f32_e32 v32, v12, v15
	v_mul_f32_e32 v12, v12, v16
	v_fma_f32 v11, v11, v15, -v12
	v_mul_f32_e32 v12, v14, v18
	v_mul_f32_e32 v33, v13, v18
	v_fma_f32 v12, v13, v17, -v12
	s_waitcnt lgkmcnt(0)
	v_mul_f32_e32 v13, v3, v8
	v_fmac_f32_e32 v13, v4, v7
	v_mul_f32_e32 v4, v4, v8
	v_fmac_f32_e32 v33, v14, v17
	v_mul_f32_e32 v14, v5, v10
	v_fma_f32 v15, v3, v7, -v4
	v_mul_f32_e32 v3, v6, v10
	v_fmac_f32_e32 v14, v6, v9
	v_fma_f32 v16, v5, v9, -v3
	ds_read2_b64 v[3:6], v0 offset0:160 offset1:176
	ds_read2_b64 v[7:10], v19 offset0:160 offset1:176
	s_mul_i32 s1, s1, s7
	s_mul_hi_u32 s4, s0, s7
	s_add_i32 s1, s4, s1
	s_mul_i32 s0, s0, s7
	s_waitcnt lgkmcnt(0)
	v_mul_f32_e32 v17, v3, v8
	v_fmac_f32_e32 v17, v4, v7
	v_mul_f32_e32 v4, v4, v8
	v_mul_f32_e32 v18, v5, v10
	v_fma_f32 v34, v3, v7, -v4
	v_mul_f32_e32 v3, v6, v10
	v_fmac_f32_e32 v18, v6, v9
	v_fma_f32 v35, v5, v9, -v3
	ds_read2_b64 v[3:6], v0 offset0:192 offset1:208
	ds_read2_b64 v[7:10], v19 offset0:192 offset1:208
	s_lshl_b64 s[0:1], s[0:1], 3
	s_add_u32 s4, s12, s0
	s_addc_u32 s5, s13, s1
	s_lshl_b64 s[0:1], s[10:11], 3
	s_waitcnt lgkmcnt(0)
	v_mul_f32_e32 v36, v3, v8
	v_fmac_f32_e32 v36, v4, v7
	v_mul_f32_e32 v4, v4, v8
	v_fma_f32 v38, v3, v7, -v4
	v_mul_f32_e32 v3, v6, v10
	v_fma_f32 v39, v5, v9, -v3
	v_add_f32_e32 v3, 0, v20
	v_add_f32_e32 v3, v3, v21
	;; [unrolled: 1-line block ×8, first 2 shown]
	v_mul_f32_e32 v37, v5, v10
	v_add_f32_e32 v3, v3, v13
	v_fmac_f32_e32 v37, v6, v9
	v_add_f32_e32 v13, v3, v14
	ds_read2_b64 v[3:6], v0 offset0:224 offset1:240
	ds_read2_b64 v[7:10], v19 offset0:224 offset1:240
	v_add_f32_e32 v0, v13, v17
	v_add_f32_e32 v0, v0, v18
	;; [unrolled: 1-line block ×4, first 2 shown]
	s_waitcnt lgkmcnt(0)
	v_mul_f32_e32 v13, v3, v8
	v_fmac_f32_e32 v13, v4, v7
	v_add_f32_e32 v0, v0, v13
	v_mul_f32_e32 v13, v5, v10
	v_fmac_f32_e32 v13, v6, v9
	v_add_f32_e32 v13, v0, v13
	v_add_f32_e32 v0, 0, v22
	;; [unrolled: 1-line block ×14, first 2 shown]
	v_mul_f32_e32 v4, v4, v8
	s_add_u32 s4, s4, s0
	v_add_f32_e32 v0, v0, v39
	v_fma_f32 v3, v3, v7, -v4
	s_addc_u32 s5, s5, s1
	v_add_f32_e32 v0, v0, v3
	v_mad_u64_u32 v[3:4], s[0:1], s14, v1, 0
	v_mul_f32_e32 v6, v6, v10
	v_fma_f32 v5, v5, v9, -v6
	v_add_f32_e32 v5, v0, v5
	v_mov_b32_e32 v0, v4
	v_mad_u64_u32 v[0:1], s[0:1], s15, v1, v[0:1]
	v_mul_f32_e32 v6, s2, v13
	v_mul_f32_e32 v1, s3, v13
	v_mov_b32_e32 v4, v0
	v_fmac_f32_e32 v6, s3, v5
	v_fma_f32 v5, s2, v5, -v1
	v_lshlrev_b64 v[0:1], 3, v[3:4]
	v_mov_b32_e32 v3, s5
	v_add_co_u32_e32 v0, vcc, s4, v0
	v_addc_co_u32_e32 v1, vcc, v3, v1, vcc
	v_add_co_u32_e32 v0, vcc, v0, v2
	v_addc_co_u32_e32 v1, vcc, 0, v1, vcc
	global_store_dwordx2 v[0:1], v[5:6], off
.LBB104_15:
	s_endpgm
	.section	.rodata,"a",@progbits
	.p2align	6, 0x0
	.amdhsa_kernel _ZL23rocblas_trmm_rTx_kernelILi16ELb0E19rocblas_complex_numIfEPKS1_S2_S1_Ev13rocblas_fill_17rocblas_diagonal_iiT2_lPT3_llS8_llPT4_lli
		.amdhsa_group_segment_fixed_size 4096
		.amdhsa_private_segment_fixed_size 0
		.amdhsa_kernarg_size 108
		.amdhsa_user_sgpr_count 6
		.amdhsa_user_sgpr_private_segment_buffer 1
		.amdhsa_user_sgpr_dispatch_ptr 0
		.amdhsa_user_sgpr_queue_ptr 0
		.amdhsa_user_sgpr_kernarg_segment_ptr 1
		.amdhsa_user_sgpr_dispatch_id 0
		.amdhsa_user_sgpr_flat_scratch_init 0
		.amdhsa_user_sgpr_private_segment_size 0
		.amdhsa_uses_dynamic_stack 0
		.amdhsa_system_sgpr_private_segment_wavefront_offset 0
		.amdhsa_system_sgpr_workgroup_id_x 1
		.amdhsa_system_sgpr_workgroup_id_y 0
		.amdhsa_system_sgpr_workgroup_id_z 1
		.amdhsa_system_sgpr_workgroup_info 0
		.amdhsa_system_vgpr_workitem_id 1
		.amdhsa_next_free_vgpr 40
		.amdhsa_next_free_sgpr 26
		.amdhsa_reserve_vcc 1
		.amdhsa_reserve_flat_scratch 0
		.amdhsa_float_round_mode_32 0
		.amdhsa_float_round_mode_16_64 0
		.amdhsa_float_denorm_mode_32 3
		.amdhsa_float_denorm_mode_16_64 3
		.amdhsa_dx10_clamp 1
		.amdhsa_ieee_mode 1
		.amdhsa_fp16_overflow 0
		.amdhsa_exception_fp_ieee_invalid_op 0
		.amdhsa_exception_fp_denorm_src 0
		.amdhsa_exception_fp_ieee_div_zero 0
		.amdhsa_exception_fp_ieee_overflow 0
		.amdhsa_exception_fp_ieee_underflow 0
		.amdhsa_exception_fp_ieee_inexact 0
		.amdhsa_exception_int_div_zero 0
	.end_amdhsa_kernel
	.section	.text._ZL23rocblas_trmm_rTx_kernelILi16ELb0E19rocblas_complex_numIfEPKS1_S2_S1_Ev13rocblas_fill_17rocblas_diagonal_iiT2_lPT3_llS8_llPT4_lli,"axG",@progbits,_ZL23rocblas_trmm_rTx_kernelILi16ELb0E19rocblas_complex_numIfEPKS1_S2_S1_Ev13rocblas_fill_17rocblas_diagonal_iiT2_lPT3_llS8_llPT4_lli,comdat
.Lfunc_end104:
	.size	_ZL23rocblas_trmm_rTx_kernelILi16ELb0E19rocblas_complex_numIfEPKS1_S2_S1_Ev13rocblas_fill_17rocblas_diagonal_iiT2_lPT3_llS8_llPT4_lli, .Lfunc_end104-_ZL23rocblas_trmm_rTx_kernelILi16ELb0E19rocblas_complex_numIfEPKS1_S2_S1_Ev13rocblas_fill_17rocblas_diagonal_iiT2_lPT3_llS8_llPT4_lli
                                        ; -- End function
	.set _ZL23rocblas_trmm_rTx_kernelILi16ELb0E19rocblas_complex_numIfEPKS1_S2_S1_Ev13rocblas_fill_17rocblas_diagonal_iiT2_lPT3_llS8_llPT4_lli.num_vgpr, 40
	.set _ZL23rocblas_trmm_rTx_kernelILi16ELb0E19rocblas_complex_numIfEPKS1_S2_S1_Ev13rocblas_fill_17rocblas_diagonal_iiT2_lPT3_llS8_llPT4_lli.num_agpr, 0
	.set _ZL23rocblas_trmm_rTx_kernelILi16ELb0E19rocblas_complex_numIfEPKS1_S2_S1_Ev13rocblas_fill_17rocblas_diagonal_iiT2_lPT3_llS8_llPT4_lli.numbered_sgpr, 26
	.set _ZL23rocblas_trmm_rTx_kernelILi16ELb0E19rocblas_complex_numIfEPKS1_S2_S1_Ev13rocblas_fill_17rocblas_diagonal_iiT2_lPT3_llS8_llPT4_lli.num_named_barrier, 0
	.set _ZL23rocblas_trmm_rTx_kernelILi16ELb0E19rocblas_complex_numIfEPKS1_S2_S1_Ev13rocblas_fill_17rocblas_diagonal_iiT2_lPT3_llS8_llPT4_lli.private_seg_size, 0
	.set _ZL23rocblas_trmm_rTx_kernelILi16ELb0E19rocblas_complex_numIfEPKS1_S2_S1_Ev13rocblas_fill_17rocblas_diagonal_iiT2_lPT3_llS8_llPT4_lli.uses_vcc, 1
	.set _ZL23rocblas_trmm_rTx_kernelILi16ELb0E19rocblas_complex_numIfEPKS1_S2_S1_Ev13rocblas_fill_17rocblas_diagonal_iiT2_lPT3_llS8_llPT4_lli.uses_flat_scratch, 0
	.set _ZL23rocblas_trmm_rTx_kernelILi16ELb0E19rocblas_complex_numIfEPKS1_S2_S1_Ev13rocblas_fill_17rocblas_diagonal_iiT2_lPT3_llS8_llPT4_lli.has_dyn_sized_stack, 0
	.set _ZL23rocblas_trmm_rTx_kernelILi16ELb0E19rocblas_complex_numIfEPKS1_S2_S1_Ev13rocblas_fill_17rocblas_diagonal_iiT2_lPT3_llS8_llPT4_lli.has_recursion, 0
	.set _ZL23rocblas_trmm_rTx_kernelILi16ELb0E19rocblas_complex_numIfEPKS1_S2_S1_Ev13rocblas_fill_17rocblas_diagonal_iiT2_lPT3_llS8_llPT4_lli.has_indirect_call, 0
	.section	.AMDGPU.csdata,"",@progbits
; Kernel info:
; codeLenInByte = 1328
; TotalNumSgprs: 30
; NumVgprs: 40
; ScratchSize: 0
; MemoryBound: 0
; FloatMode: 240
; IeeeMode: 1
; LDSByteSize: 4096 bytes/workgroup (compile time only)
; SGPRBlocks: 3
; VGPRBlocks: 9
; NumSGPRsForWavesPerEU: 30
; NumVGPRsForWavesPerEU: 40
; Occupancy: 6
; WaveLimiterHint : 0
; COMPUTE_PGM_RSRC2:SCRATCH_EN: 0
; COMPUTE_PGM_RSRC2:USER_SGPR: 6
; COMPUTE_PGM_RSRC2:TRAP_HANDLER: 0
; COMPUTE_PGM_RSRC2:TGID_X_EN: 1
; COMPUTE_PGM_RSRC2:TGID_Y_EN: 0
; COMPUTE_PGM_RSRC2:TGID_Z_EN: 1
; COMPUTE_PGM_RSRC2:TIDIG_COMP_CNT: 1
	.section	.text._ZL23rocblas_trmm_rTx_kernelILi16ELb0E19rocblas_complex_numIfES1_KS1_S1_Ev13rocblas_fill_17rocblas_diagonal_iiT2_lPT3_llS7_llPT4_lli,"axG",@progbits,_ZL23rocblas_trmm_rTx_kernelILi16ELb0E19rocblas_complex_numIfES1_KS1_S1_Ev13rocblas_fill_17rocblas_diagonal_iiT2_lPT3_llS7_llPT4_lli,comdat
	.globl	_ZL23rocblas_trmm_rTx_kernelILi16ELb0E19rocblas_complex_numIfES1_KS1_S1_Ev13rocblas_fill_17rocblas_diagonal_iiT2_lPT3_llS7_llPT4_lli ; -- Begin function _ZL23rocblas_trmm_rTx_kernelILi16ELb0E19rocblas_complex_numIfES1_KS1_S1_Ev13rocblas_fill_17rocblas_diagonal_iiT2_lPT3_llS7_llPT4_lli
	.p2align	8
	.type	_ZL23rocblas_trmm_rTx_kernelILi16ELb0E19rocblas_complex_numIfES1_KS1_S1_Ev13rocblas_fill_17rocblas_diagonal_iiT2_lPT3_llS7_llPT4_lli,@function
_ZL23rocblas_trmm_rTx_kernelILi16ELb0E19rocblas_complex_numIfES1_KS1_S1_Ev13rocblas_fill_17rocblas_diagonal_iiT2_lPT3_llS7_llPT4_lli: ; @_ZL23rocblas_trmm_rTx_kernelILi16ELb0E19rocblas_complex_numIfES1_KS1_S1_Ev13rocblas_fill_17rocblas_diagonal_iiT2_lPT3_llS7_llPT4_lli
; %bb.0:
	s_load_dwordx2 s[2:3], s[4:5], 0x10
	s_waitcnt lgkmcnt(0)
	v_cmp_neq_f32_e64 s[0:1], s2, 0
	v_cmp_neq_f32_e64 s[8:9], s3, 0
	s_or_b64 s[0:1], s[0:1], s[8:9]
	s_andn2_b64 vcc, exec, s[0:1]
	s_mov_b32 s0, 0
	s_cbranch_vccnz .LBB105_15
; %bb.1:
	s_load_dwordx4 s[24:27], s[4:5], 0x0
	s_load_dwordx16 s[8:23], s[4:5], 0x20
	s_mov_b32 s1, s0
	v_mov_b32_e32 v5, s1
	v_lshlrev_b32_e32 v2, 4, v1
	v_mov_b32_e32 v4, s0
	s_waitcnt lgkmcnt(0)
	v_cmp_gt_i32_e32 vcc, s27, v1
	v_cmp_gt_i32_e64 s[0:1], s27, v0
	v_add_lshl_u32 v3, v2, v0, 3
	s_and_b64 s[0:1], vcc, s[0:1]
	v_lshlrev_b32_e32 v2, 3, v0
	ds_write2st64_b64 v3, v[4:5], v[4:5] offset1:4
	s_and_saveexec_b64 s[28:29], s[0:1]
	s_cbranch_execz .LBB105_3
; %bb.2:
	v_mad_u64_u32 v[4:5], s[0:1], s10, v1, 0
	s_mul_i32 s13, s13, s7
	s_mul_hi_u32 s0, s12, s7
	v_mad_u64_u32 v[5:6], s[10:11], s11, v1, v[5:6]
	s_add_i32 s1, s0, s13
	s_mul_i32 s0, s12, s7
	s_lshl_b64 s[0:1], s[0:1], 3
	s_add_u32 s0, s8, s0
	v_lshlrev_b64 v[4:5], 3, v[4:5]
	s_addc_u32 s1, s9, s1
	v_mov_b32_e32 v6, s1
	v_add_co_u32_e64 v4, s[0:1], s0, v4
	v_addc_co_u32_e64 v5, s[0:1], v6, v5, s[0:1]
	v_add_co_u32_e64 v4, s[0:1], v4, v2
	v_addc_co_u32_e64 v5, s[0:1], 0, v5, s[0:1]
	global_load_dwordx2 v[4:5], v[4:5], off
	s_waitcnt vmcnt(0)
	ds_write_b64 v3, v[4:5]
.LBB105_3:
	s_or_b64 exec, exec, s[28:29]
	s_add_i32 s0, s26, -1
	s_ashr_i32 s1, s0, 31
	s_lshr_b32 s1, s1, 28
	s_add_i32 s0, s0, s1
	s_ashr_i32 s1, s0, 4
	s_and_b32 s0, s0, -16
	s_sub_i32 s0, s26, s0
	s_cmp_ge_i32 s6, s1
	s_cselect_b32 s0, s0, 16
	s_lshl_b32 s8, s6, 4
	v_cmp_gt_i32_e64 s[0:1], s0, v0
	s_ashr_i32 s9, s8, 31
	s_and_b64 s[0:1], vcc, s[0:1]
	s_and_saveexec_b64 s[10:11], s[0:1]
	s_cbranch_execz .LBB105_5
; %bb.4:
	s_mul_i32 s6, s19, s7
	s_mul_hi_u32 s12, s18, s7
	s_add_i32 s13, s12, s6
	s_mul_i32 s12, s18, s7
	v_mad_u64_u32 v[4:5], s[18:19], s16, v1, 0
	s_lshl_b64 s[12:13], s[12:13], 3
	s_add_u32 s6, s14, s12
	s_addc_u32 s14, s15, s13
	v_mad_u64_u32 v[5:6], s[12:13], s17, v1, v[5:6]
	s_lshl_b64 s[12:13], s[8:9], 3
	s_add_u32 s6, s6, s12
	v_lshlrev_b64 v[4:5], 3, v[4:5]
	s_addc_u32 s12, s14, s13
	v_mov_b32_e32 v6, s12
	v_add_co_u32_e32 v4, vcc, s6, v4
	v_addc_co_u32_e32 v5, vcc, v6, v5, vcc
	v_add_co_u32_e32 v4, vcc, v4, v2
	v_addc_co_u32_e32 v5, vcc, 0, v5, vcc
	global_load_dwordx2 v[4:5], v[4:5], off
	v_add_u32_e32 v6, 0x800, v3
	s_waitcnt vmcnt(0)
	ds_write_b64 v6, v[4:5]
.LBB105_5:
	s_or_b64 exec, exec, s[10:11]
	s_cmpk_eq_i32 s25, 0x84
	s_cselect_b64 s[10:11], -1, 0
	v_cmp_eq_u32_e32 vcc, v1, v0
	s_and_b64 s[12:13], vcc, s[10:11]
	s_and_saveexec_b64 s[10:11], s[12:13]
; %bb.6:
	v_mov_b32_e32 v4, 1.0
	v_mov_b32_e32 v5, 0
	ds_write_b64 v3, v[4:5]
; %bb.7:
	s_or_b64 exec, exec, s[10:11]
	s_cmpk_lg_i32 s24, 0x79
	s_cbranch_scc0 .LBB105_9
; %bb.8:
	v_cmp_lt_u32_e32 vcc, v0, v1
	s_and_b64 s[10:11], vcc, exec
	s_cbranch_execz .LBB105_10
	s_branch .LBB105_11
.LBB105_9:
	s_mov_b64 s[10:11], 0
.LBB105_10:
	v_cmp_gt_u32_e32 vcc, v0, v1
	s_andn2_b64 s[10:11], s[10:11], exec
	s_and_b64 s[12:13], vcc, exec
	s_or_b64 s[10:11], s[10:11], s[12:13]
.LBB105_11:
	s_and_saveexec_b64 s[12:13], s[10:11]
; %bb.12:
	v_mov_b32_e32 v4, 0
	v_mov_b32_e32 v5, v4
	ds_write_b64 v3, v[4:5]
; %bb.13:
	s_or_b64 exec, exec, s[12:13]
	s_waitcnt lgkmcnt(0)
	s_barrier
	s_and_saveexec_b64 s[10:11], s[0:1]
	s_cbranch_execz .LBB105_15
; %bb.14:
	v_lshlrev_b32_e32 v0, 3, v1
	v_add_u32_e32 v19, 0x800, v2
	ds_read2_b64 v[3:6], v0 offset1:16
	ds_read2_b64 v[7:10], v19 offset1:16
	ds_read2_b64 v[11:14], v0 offset0:32 offset1:48
	ds_read2_b64 v[15:18], v19 offset0:32 offset1:48
	s_load_dwordx2 s[0:1], s[4:5], 0x60
	s_waitcnt lgkmcnt(0)
	v_mul_f32_e32 v20, v3, v8
	v_fmac_f32_e32 v20, v4, v7
	v_mul_f32_e32 v4, v4, v8
	v_mul_f32_e32 v21, v5, v10
	v_fma_f32 v22, v3, v7, -v4
	v_mul_f32_e32 v3, v6, v10
	v_fmac_f32_e32 v21, v6, v9
	v_fma_f32 v23, v5, v9, -v3
	ds_read2_b64 v[3:6], v0 offset0:64 offset1:80
	ds_read2_b64 v[7:10], v19 offset0:64 offset1:80
	v_mul_f32_e32 v24, v11, v16
	v_fmac_f32_e32 v24, v12, v15
	v_mul_f32_e32 v12, v12, v16
	v_mul_f32_e32 v25, v13, v18
	v_fma_f32 v26, v11, v15, -v12
	v_mul_f32_e32 v11, v14, v18
	v_fmac_f32_e32 v25, v14, v17
	v_fma_f32 v27, v13, v17, -v11
	s_waitcnt lgkmcnt(0)
	v_mul_f32_e32 v28, v3, v8
	ds_read2_b64 v[11:14], v0 offset0:96 offset1:112
	ds_read2_b64 v[15:18], v19 offset0:96 offset1:112
	v_fmac_f32_e32 v28, v4, v7
	v_mul_f32_e32 v4, v4, v8
	v_mul_f32_e32 v29, v5, v10
	v_fma_f32 v30, v3, v7, -v4
	v_mul_f32_e32 v3, v6, v10
	v_fmac_f32_e32 v29, v6, v9
	v_fma_f32 v31, v5, v9, -v3
	ds_read2_b64 v[3:6], v0 offset0:128 offset1:144
	ds_read2_b64 v[7:10], v19 offset0:128 offset1:144
	s_waitcnt lgkmcnt(2)
	v_mul_f32_e32 v32, v11, v16
	v_fmac_f32_e32 v32, v12, v15
	v_mul_f32_e32 v12, v12, v16
	v_fma_f32 v11, v11, v15, -v12
	v_mul_f32_e32 v12, v14, v18
	v_mul_f32_e32 v33, v13, v18
	v_fma_f32 v12, v13, v17, -v12
	s_waitcnt lgkmcnt(0)
	v_mul_f32_e32 v13, v3, v8
	v_fmac_f32_e32 v13, v4, v7
	v_mul_f32_e32 v4, v4, v8
	v_fmac_f32_e32 v33, v14, v17
	v_mul_f32_e32 v14, v5, v10
	v_fma_f32 v15, v3, v7, -v4
	v_mul_f32_e32 v3, v6, v10
	v_fmac_f32_e32 v14, v6, v9
	v_fma_f32 v16, v5, v9, -v3
	ds_read2_b64 v[3:6], v0 offset0:160 offset1:176
	ds_read2_b64 v[7:10], v19 offset0:160 offset1:176
	s_mul_i32 s1, s1, s7
	s_mul_hi_u32 s4, s0, s7
	s_add_i32 s1, s4, s1
	s_mul_i32 s0, s0, s7
	s_waitcnt lgkmcnt(0)
	v_mul_f32_e32 v17, v3, v8
	v_fmac_f32_e32 v17, v4, v7
	v_mul_f32_e32 v4, v4, v8
	v_mul_f32_e32 v18, v5, v10
	v_fma_f32 v34, v3, v7, -v4
	v_mul_f32_e32 v3, v6, v10
	v_fmac_f32_e32 v18, v6, v9
	v_fma_f32 v35, v5, v9, -v3
	ds_read2_b64 v[3:6], v0 offset0:192 offset1:208
	ds_read2_b64 v[7:10], v19 offset0:192 offset1:208
	s_lshl_b64 s[0:1], s[0:1], 3
	s_add_u32 s4, s20, s0
	s_addc_u32 s5, s21, s1
	s_lshl_b64 s[0:1], s[8:9], 3
	s_waitcnt lgkmcnt(0)
	v_mul_f32_e32 v36, v3, v8
	v_fmac_f32_e32 v36, v4, v7
	v_mul_f32_e32 v4, v4, v8
	v_fma_f32 v38, v3, v7, -v4
	v_mul_f32_e32 v3, v6, v10
	v_fma_f32 v39, v5, v9, -v3
	v_add_f32_e32 v3, 0, v20
	v_add_f32_e32 v3, v3, v21
	;; [unrolled: 1-line block ×8, first 2 shown]
	v_mul_f32_e32 v37, v5, v10
	v_add_f32_e32 v3, v3, v13
	v_fmac_f32_e32 v37, v6, v9
	v_add_f32_e32 v13, v3, v14
	ds_read2_b64 v[3:6], v0 offset0:224 offset1:240
	ds_read2_b64 v[7:10], v19 offset0:224 offset1:240
	v_add_f32_e32 v0, v13, v17
	v_add_f32_e32 v0, v0, v18
	v_add_f32_e32 v0, v0, v36
	v_add_f32_e32 v0, v0, v37
	s_waitcnt lgkmcnt(0)
	v_mul_f32_e32 v13, v3, v8
	v_fmac_f32_e32 v13, v4, v7
	v_add_f32_e32 v0, v0, v13
	v_mul_f32_e32 v13, v5, v10
	v_fmac_f32_e32 v13, v6, v9
	v_add_f32_e32 v13, v0, v13
	v_add_f32_e32 v0, 0, v22
	;; [unrolled: 1-line block ×14, first 2 shown]
	v_mul_f32_e32 v4, v4, v8
	s_add_u32 s4, s4, s0
	v_add_f32_e32 v0, v0, v39
	v_fma_f32 v3, v3, v7, -v4
	s_addc_u32 s5, s5, s1
	v_add_f32_e32 v0, v0, v3
	v_mad_u64_u32 v[3:4], s[0:1], s22, v1, 0
	v_mul_f32_e32 v6, v6, v10
	v_fma_f32 v5, v5, v9, -v6
	v_add_f32_e32 v5, v0, v5
	v_mov_b32_e32 v0, v4
	v_mad_u64_u32 v[0:1], s[0:1], s23, v1, v[0:1]
	v_mul_f32_e32 v6, s2, v13
	v_mul_f32_e32 v1, s3, v13
	v_mov_b32_e32 v4, v0
	v_fmac_f32_e32 v6, s3, v5
	v_fma_f32 v5, s2, v5, -v1
	v_lshlrev_b64 v[0:1], 3, v[3:4]
	v_mov_b32_e32 v3, s5
	v_add_co_u32_e32 v0, vcc, s4, v0
	v_addc_co_u32_e32 v1, vcc, v3, v1, vcc
	v_add_co_u32_e32 v0, vcc, v0, v2
	v_addc_co_u32_e32 v1, vcc, 0, v1, vcc
	global_store_dwordx2 v[0:1], v[5:6], off
.LBB105_15:
	s_endpgm
	.section	.rodata,"a",@progbits
	.p2align	6, 0x0
	.amdhsa_kernel _ZL23rocblas_trmm_rTx_kernelILi16ELb0E19rocblas_complex_numIfES1_KS1_S1_Ev13rocblas_fill_17rocblas_diagonal_iiT2_lPT3_llS7_llPT4_lli
		.amdhsa_group_segment_fixed_size 4096
		.amdhsa_private_segment_fixed_size 0
		.amdhsa_kernarg_size 108
		.amdhsa_user_sgpr_count 6
		.amdhsa_user_sgpr_private_segment_buffer 1
		.amdhsa_user_sgpr_dispatch_ptr 0
		.amdhsa_user_sgpr_queue_ptr 0
		.amdhsa_user_sgpr_kernarg_segment_ptr 1
		.amdhsa_user_sgpr_dispatch_id 0
		.amdhsa_user_sgpr_flat_scratch_init 0
		.amdhsa_user_sgpr_private_segment_size 0
		.amdhsa_uses_dynamic_stack 0
		.amdhsa_system_sgpr_private_segment_wavefront_offset 0
		.amdhsa_system_sgpr_workgroup_id_x 1
		.amdhsa_system_sgpr_workgroup_id_y 0
		.amdhsa_system_sgpr_workgroup_id_z 1
		.amdhsa_system_sgpr_workgroup_info 0
		.amdhsa_system_vgpr_workitem_id 1
		.amdhsa_next_free_vgpr 40
		.amdhsa_next_free_sgpr 30
		.amdhsa_reserve_vcc 1
		.amdhsa_reserve_flat_scratch 0
		.amdhsa_float_round_mode_32 0
		.amdhsa_float_round_mode_16_64 0
		.amdhsa_float_denorm_mode_32 3
		.amdhsa_float_denorm_mode_16_64 3
		.amdhsa_dx10_clamp 1
		.amdhsa_ieee_mode 1
		.amdhsa_fp16_overflow 0
		.amdhsa_exception_fp_ieee_invalid_op 0
		.amdhsa_exception_fp_denorm_src 0
		.amdhsa_exception_fp_ieee_div_zero 0
		.amdhsa_exception_fp_ieee_overflow 0
		.amdhsa_exception_fp_ieee_underflow 0
		.amdhsa_exception_fp_ieee_inexact 0
		.amdhsa_exception_int_div_zero 0
	.end_amdhsa_kernel
	.section	.text._ZL23rocblas_trmm_rTx_kernelILi16ELb0E19rocblas_complex_numIfES1_KS1_S1_Ev13rocblas_fill_17rocblas_diagonal_iiT2_lPT3_llS7_llPT4_lli,"axG",@progbits,_ZL23rocblas_trmm_rTx_kernelILi16ELb0E19rocblas_complex_numIfES1_KS1_S1_Ev13rocblas_fill_17rocblas_diagonal_iiT2_lPT3_llS7_llPT4_lli,comdat
.Lfunc_end105:
	.size	_ZL23rocblas_trmm_rTx_kernelILi16ELb0E19rocblas_complex_numIfES1_KS1_S1_Ev13rocblas_fill_17rocblas_diagonal_iiT2_lPT3_llS7_llPT4_lli, .Lfunc_end105-_ZL23rocblas_trmm_rTx_kernelILi16ELb0E19rocblas_complex_numIfES1_KS1_S1_Ev13rocblas_fill_17rocblas_diagonal_iiT2_lPT3_llS7_llPT4_lli
                                        ; -- End function
	.set _ZL23rocblas_trmm_rTx_kernelILi16ELb0E19rocblas_complex_numIfES1_KS1_S1_Ev13rocblas_fill_17rocblas_diagonal_iiT2_lPT3_llS7_llPT4_lli.num_vgpr, 40
	.set _ZL23rocblas_trmm_rTx_kernelILi16ELb0E19rocblas_complex_numIfES1_KS1_S1_Ev13rocblas_fill_17rocblas_diagonal_iiT2_lPT3_llS7_llPT4_lli.num_agpr, 0
	.set _ZL23rocblas_trmm_rTx_kernelILi16ELb0E19rocblas_complex_numIfES1_KS1_S1_Ev13rocblas_fill_17rocblas_diagonal_iiT2_lPT3_llS7_llPT4_lli.numbered_sgpr, 30
	.set _ZL23rocblas_trmm_rTx_kernelILi16ELb0E19rocblas_complex_numIfES1_KS1_S1_Ev13rocblas_fill_17rocblas_diagonal_iiT2_lPT3_llS7_llPT4_lli.num_named_barrier, 0
	.set _ZL23rocblas_trmm_rTx_kernelILi16ELb0E19rocblas_complex_numIfES1_KS1_S1_Ev13rocblas_fill_17rocblas_diagonal_iiT2_lPT3_llS7_llPT4_lli.private_seg_size, 0
	.set _ZL23rocblas_trmm_rTx_kernelILi16ELb0E19rocblas_complex_numIfES1_KS1_S1_Ev13rocblas_fill_17rocblas_diagonal_iiT2_lPT3_llS7_llPT4_lli.uses_vcc, 1
	.set _ZL23rocblas_trmm_rTx_kernelILi16ELb0E19rocblas_complex_numIfES1_KS1_S1_Ev13rocblas_fill_17rocblas_diagonal_iiT2_lPT3_llS7_llPT4_lli.uses_flat_scratch, 0
	.set _ZL23rocblas_trmm_rTx_kernelILi16ELb0E19rocblas_complex_numIfES1_KS1_S1_Ev13rocblas_fill_17rocblas_diagonal_iiT2_lPT3_llS7_llPT4_lli.has_dyn_sized_stack, 0
	.set _ZL23rocblas_trmm_rTx_kernelILi16ELb0E19rocblas_complex_numIfES1_KS1_S1_Ev13rocblas_fill_17rocblas_diagonal_iiT2_lPT3_llS7_llPT4_lli.has_recursion, 0
	.set _ZL23rocblas_trmm_rTx_kernelILi16ELb0E19rocblas_complex_numIfES1_KS1_S1_Ev13rocblas_fill_17rocblas_diagonal_iiT2_lPT3_llS7_llPT4_lli.has_indirect_call, 0
	.section	.AMDGPU.csdata,"",@progbits
; Kernel info:
; codeLenInByte = 1288
; TotalNumSgprs: 34
; NumVgprs: 40
; ScratchSize: 0
; MemoryBound: 0
; FloatMode: 240
; IeeeMode: 1
; LDSByteSize: 4096 bytes/workgroup (compile time only)
; SGPRBlocks: 4
; VGPRBlocks: 9
; NumSGPRsForWavesPerEU: 34
; NumVGPRsForWavesPerEU: 40
; Occupancy: 6
; WaveLimiterHint : 0
; COMPUTE_PGM_RSRC2:SCRATCH_EN: 0
; COMPUTE_PGM_RSRC2:USER_SGPR: 6
; COMPUTE_PGM_RSRC2:TRAP_HANDLER: 0
; COMPUTE_PGM_RSRC2:TGID_X_EN: 1
; COMPUTE_PGM_RSRC2:TGID_Y_EN: 0
; COMPUTE_PGM_RSRC2:TGID_Z_EN: 1
; COMPUTE_PGM_RSRC2:TIDIG_COMP_CNT: 1
	.section	.text._ZL23rocblas_trmm_rTx_kernelILi16ELb1E19rocblas_complex_numIfEPKS1_S2_S1_Ev13rocblas_fill_17rocblas_diagonal_iiT2_lPT3_llS8_llPT4_lli,"axG",@progbits,_ZL23rocblas_trmm_rTx_kernelILi16ELb1E19rocblas_complex_numIfEPKS1_S2_S1_Ev13rocblas_fill_17rocblas_diagonal_iiT2_lPT3_llS8_llPT4_lli,comdat
	.globl	_ZL23rocblas_trmm_rTx_kernelILi16ELb1E19rocblas_complex_numIfEPKS1_S2_S1_Ev13rocblas_fill_17rocblas_diagonal_iiT2_lPT3_llS8_llPT4_lli ; -- Begin function _ZL23rocblas_trmm_rTx_kernelILi16ELb1E19rocblas_complex_numIfEPKS1_S2_S1_Ev13rocblas_fill_17rocblas_diagonal_iiT2_lPT3_llS8_llPT4_lli
	.p2align	8
	.type	_ZL23rocblas_trmm_rTx_kernelILi16ELb1E19rocblas_complex_numIfEPKS1_S2_S1_Ev13rocblas_fill_17rocblas_diagonal_iiT2_lPT3_llS8_llPT4_lli,@function
_ZL23rocblas_trmm_rTx_kernelILi16ELb1E19rocblas_complex_numIfEPKS1_S2_S1_Ev13rocblas_fill_17rocblas_diagonal_iiT2_lPT3_llS8_llPT4_lli: ; @_ZL23rocblas_trmm_rTx_kernelILi16ELb1E19rocblas_complex_numIfEPKS1_S2_S1_Ev13rocblas_fill_17rocblas_diagonal_iiT2_lPT3_llS8_llPT4_lli
; %bb.0:
	s_load_dwordx16 s[8:23], s[4:5], 0x10
	s_waitcnt lgkmcnt(0)
	s_mul_i32 s0, s11, s7
	s_mul_hi_u32 s1, s10, s7
	s_add_i32 s1, s1, s0
	s_mul_i32 s0, s10, s7
	s_lshl_b64 s[0:1], s[0:1], 3
	s_add_u32 s0, s8, s0
	s_addc_u32 s1, s9, s1
	s_load_dwordx2 s[2:3], s[0:1], 0x0
	s_waitcnt lgkmcnt(0)
	v_cmp_neq_f32_e64 s[0:1], s2, 0
	v_cmp_neq_f32_e64 s[8:9], s3, 0
	s_or_b64 s[0:1], s[0:1], s[8:9]
	s_andn2_b64 vcc, exec, s[0:1]
	s_mov_b32 s0, 0
	s_cbranch_vccnz .LBB106_15
; %bb.1:
	s_load_dwordx4 s[8:11], s[4:5], 0x0
	s_mov_b32 s1, s0
	v_mov_b32_e32 v5, s1
	v_lshlrev_b32_e32 v2, 4, v1
	v_mov_b32_e32 v4, s0
	s_waitcnt lgkmcnt(0)
	v_cmp_gt_i32_e32 vcc, s11, v1
	v_cmp_gt_i32_e64 s[0:1], s11, v0
	v_add_lshl_u32 v3, v2, v0, 3
	s_and_b64 s[0:1], vcc, s[0:1]
	v_lshlrev_b32_e32 v2, 3, v0
	ds_write2st64_b64 v3, v[4:5], v[4:5] offset1:4
	s_and_saveexec_b64 s[24:25], s[0:1]
	s_cbranch_execz .LBB106_3
; %bb.2:
	v_mad_u64_u32 v[4:5], s[0:1], s14, v1, 0
	s_mul_i32 s11, s17, s7
	s_mul_hi_u32 s0, s16, s7
	v_mad_u64_u32 v[5:6], s[14:15], s15, v1, v[5:6]
	s_add_i32 s1, s0, s11
	s_mul_i32 s0, s16, s7
	s_lshl_b64 s[0:1], s[0:1], 3
	s_add_u32 s0, s12, s0
	v_lshlrev_b64 v[4:5], 3, v[4:5]
	s_addc_u32 s1, s13, s1
	v_mov_b32_e32 v6, s1
	v_add_co_u32_e64 v4, s[0:1], s0, v4
	v_addc_co_u32_e64 v5, s[0:1], v6, v5, s[0:1]
	v_add_co_u32_e64 v4, s[0:1], v4, v2
	v_addc_co_u32_e64 v5, s[0:1], 0, v5, s[0:1]
	global_load_dwordx2 v[4:5], v[4:5], off
	s_waitcnt vmcnt(0)
	v_xor_b32_e32 v5, 0x80000000, v5
	ds_write_b64 v3, v[4:5]
.LBB106_3:
	s_or_b64 exec, exec, s[24:25]
	s_add_i32 s0, s10, -1
	s_ashr_i32 s1, s0, 31
	s_lshr_b32 s1, s1, 28
	s_add_i32 s0, s0, s1
	s_ashr_i32 s1, s0, 4
	s_and_b32 s0, s0, -16
	s_sub_i32 s0, s10, s0
	s_cmp_ge_i32 s6, s1
	s_cselect_b32 s0, s0, 16
	s_lshl_b32 s10, s6, 4
	v_cmp_gt_i32_e64 s[0:1], s0, v0
	s_ashr_i32 s11, s10, 31
	s_and_b64 s[0:1], vcc, s[0:1]
	s_and_saveexec_b64 s[12:13], s[0:1]
	s_cbranch_execz .LBB106_5
; %bb.4:
	s_mul_i32 s6, s23, s7
	s_mul_hi_u32 s14, s22, s7
	v_mad_u64_u32 v[4:5], s[16:17], s20, v1, 0
	s_add_i32 s15, s14, s6
	s_mul_i32 s14, s22, s7
	s_lshl_b64 s[14:15], s[14:15], 3
	s_add_u32 s6, s18, s14
	s_addc_u32 s16, s19, s15
	v_mad_u64_u32 v[5:6], s[14:15], s21, v1, v[5:6]
	s_lshl_b64 s[14:15], s[10:11], 3
	s_add_u32 s6, s6, s14
	v_lshlrev_b64 v[4:5], 3, v[4:5]
	s_addc_u32 s14, s16, s15
	v_mov_b32_e32 v6, s14
	v_add_co_u32_e32 v4, vcc, s6, v4
	v_addc_co_u32_e32 v5, vcc, v6, v5, vcc
	v_add_co_u32_e32 v4, vcc, v4, v2
	v_addc_co_u32_e32 v5, vcc, 0, v5, vcc
	global_load_dwordx2 v[4:5], v[4:5], off
	v_add_u32_e32 v6, 0x800, v3
	s_waitcnt vmcnt(0)
	ds_write_b64 v6, v[4:5]
.LBB106_5:
	s_or_b64 exec, exec, s[12:13]
	s_cmpk_eq_i32 s9, 0x84
	s_cselect_b64 s[12:13], -1, 0
	v_cmp_eq_u32_e32 vcc, v1, v0
	s_and_b64 s[14:15], vcc, s[12:13]
	s_and_saveexec_b64 s[12:13], s[14:15]
; %bb.6:
	v_mov_b32_e32 v4, 1.0
	v_mov_b32_e32 v5, 0
	ds_write_b64 v3, v[4:5]
; %bb.7:
	s_or_b64 exec, exec, s[12:13]
	s_cmpk_lg_i32 s8, 0x79
	s_cbranch_scc0 .LBB106_9
; %bb.8:
	v_cmp_lt_u32_e32 vcc, v0, v1
	s_and_b64 s[8:9], vcc, exec
	s_cbranch_execz .LBB106_10
	s_branch .LBB106_11
.LBB106_9:
	s_mov_b64 s[8:9], 0
.LBB106_10:
	v_cmp_gt_u32_e32 vcc, v0, v1
	s_andn2_b64 s[8:9], s[8:9], exec
	s_and_b64 s[12:13], vcc, exec
	s_or_b64 s[8:9], s[8:9], s[12:13]
.LBB106_11:
	s_and_saveexec_b64 s[12:13], s[8:9]
; %bb.12:
	v_mov_b32_e32 v4, 0
	v_mov_b32_e32 v5, v4
	ds_write_b64 v3, v[4:5]
; %bb.13:
	s_or_b64 exec, exec, s[12:13]
	s_waitcnt lgkmcnt(0)
	s_barrier
	s_and_saveexec_b64 s[8:9], s[0:1]
	s_cbranch_execz .LBB106_15
; %bb.14:
	v_lshlrev_b32_e32 v0, 3, v1
	v_add_u32_e32 v19, 0x800, v2
	ds_read2_b64 v[3:6], v0 offset1:16
	ds_read2_b64 v[7:10], v19 offset1:16
	ds_read2_b64 v[11:14], v0 offset0:32 offset1:48
	ds_read2_b64 v[15:18], v19 offset0:32 offset1:48
	s_load_dwordx2 s[0:1], s[4:5], 0x60
	s_load_dwordx4 s[12:15], s[4:5], 0x50
	s_waitcnt lgkmcnt(0)
	v_mul_f32_e32 v20, v3, v8
	v_fmac_f32_e32 v20, v4, v7
	v_mul_f32_e32 v4, v4, v8
	v_mul_f32_e32 v21, v5, v10
	v_fma_f32 v22, v3, v7, -v4
	v_mul_f32_e32 v3, v6, v10
	v_fmac_f32_e32 v21, v6, v9
	v_fma_f32 v23, v5, v9, -v3
	ds_read2_b64 v[3:6], v0 offset0:64 offset1:80
	ds_read2_b64 v[7:10], v19 offset0:64 offset1:80
	v_mul_f32_e32 v24, v11, v16
	v_fmac_f32_e32 v24, v12, v15
	v_mul_f32_e32 v12, v12, v16
	v_mul_f32_e32 v25, v13, v18
	v_fma_f32 v26, v11, v15, -v12
	v_mul_f32_e32 v11, v14, v18
	v_fmac_f32_e32 v25, v14, v17
	v_fma_f32 v27, v13, v17, -v11
	s_waitcnt lgkmcnt(0)
	v_mul_f32_e32 v28, v3, v8
	ds_read2_b64 v[11:14], v0 offset0:96 offset1:112
	ds_read2_b64 v[15:18], v19 offset0:96 offset1:112
	v_fmac_f32_e32 v28, v4, v7
	v_mul_f32_e32 v4, v4, v8
	v_mul_f32_e32 v29, v5, v10
	v_fma_f32 v30, v3, v7, -v4
	v_mul_f32_e32 v3, v6, v10
	v_fmac_f32_e32 v29, v6, v9
	v_fma_f32 v31, v5, v9, -v3
	ds_read2_b64 v[3:6], v0 offset0:128 offset1:144
	ds_read2_b64 v[7:10], v19 offset0:128 offset1:144
	s_waitcnt lgkmcnt(2)
	v_mul_f32_e32 v32, v11, v16
	v_fmac_f32_e32 v32, v12, v15
	v_mul_f32_e32 v12, v12, v16
	v_fma_f32 v11, v11, v15, -v12
	v_mul_f32_e32 v12, v14, v18
	v_mul_f32_e32 v33, v13, v18
	v_fma_f32 v12, v13, v17, -v12
	s_waitcnt lgkmcnt(0)
	v_mul_f32_e32 v13, v3, v8
	v_fmac_f32_e32 v13, v4, v7
	v_mul_f32_e32 v4, v4, v8
	v_fmac_f32_e32 v33, v14, v17
	v_mul_f32_e32 v14, v5, v10
	v_fma_f32 v15, v3, v7, -v4
	v_mul_f32_e32 v3, v6, v10
	v_fmac_f32_e32 v14, v6, v9
	v_fma_f32 v16, v5, v9, -v3
	ds_read2_b64 v[3:6], v0 offset0:160 offset1:176
	ds_read2_b64 v[7:10], v19 offset0:160 offset1:176
	s_mul_i32 s1, s1, s7
	s_mul_hi_u32 s4, s0, s7
	s_add_i32 s1, s4, s1
	s_mul_i32 s0, s0, s7
	s_waitcnt lgkmcnt(0)
	v_mul_f32_e32 v17, v3, v8
	v_fmac_f32_e32 v17, v4, v7
	v_mul_f32_e32 v4, v4, v8
	v_mul_f32_e32 v18, v5, v10
	v_fma_f32 v34, v3, v7, -v4
	v_mul_f32_e32 v3, v6, v10
	v_fmac_f32_e32 v18, v6, v9
	v_fma_f32 v35, v5, v9, -v3
	ds_read2_b64 v[3:6], v0 offset0:192 offset1:208
	ds_read2_b64 v[7:10], v19 offset0:192 offset1:208
	s_lshl_b64 s[0:1], s[0:1], 3
	s_add_u32 s4, s12, s0
	s_addc_u32 s5, s13, s1
	s_lshl_b64 s[0:1], s[10:11], 3
	s_waitcnt lgkmcnt(0)
	v_mul_f32_e32 v36, v3, v8
	v_fmac_f32_e32 v36, v4, v7
	v_mul_f32_e32 v4, v4, v8
	v_fma_f32 v38, v3, v7, -v4
	v_mul_f32_e32 v3, v6, v10
	v_fma_f32 v39, v5, v9, -v3
	v_add_f32_e32 v3, 0, v20
	v_add_f32_e32 v3, v3, v21
	;; [unrolled: 1-line block ×8, first 2 shown]
	v_mul_f32_e32 v37, v5, v10
	v_add_f32_e32 v3, v3, v13
	v_fmac_f32_e32 v37, v6, v9
	v_add_f32_e32 v13, v3, v14
	ds_read2_b64 v[3:6], v0 offset0:224 offset1:240
	ds_read2_b64 v[7:10], v19 offset0:224 offset1:240
	v_add_f32_e32 v0, v13, v17
	v_add_f32_e32 v0, v0, v18
	;; [unrolled: 1-line block ×4, first 2 shown]
	s_waitcnt lgkmcnt(0)
	v_mul_f32_e32 v13, v3, v8
	v_fmac_f32_e32 v13, v4, v7
	v_add_f32_e32 v0, v0, v13
	v_mul_f32_e32 v13, v5, v10
	v_fmac_f32_e32 v13, v6, v9
	v_add_f32_e32 v13, v0, v13
	v_add_f32_e32 v0, 0, v22
	;; [unrolled: 1-line block ×14, first 2 shown]
	v_mul_f32_e32 v4, v4, v8
	s_add_u32 s4, s4, s0
	v_add_f32_e32 v0, v0, v39
	v_fma_f32 v3, v3, v7, -v4
	s_addc_u32 s5, s5, s1
	v_add_f32_e32 v0, v0, v3
	v_mad_u64_u32 v[3:4], s[0:1], s14, v1, 0
	v_mul_f32_e32 v6, v6, v10
	v_fma_f32 v5, v5, v9, -v6
	v_add_f32_e32 v5, v0, v5
	v_mov_b32_e32 v0, v4
	v_mad_u64_u32 v[0:1], s[0:1], s15, v1, v[0:1]
	v_mul_f32_e32 v6, s2, v13
	v_mul_f32_e32 v1, s3, v13
	v_mov_b32_e32 v4, v0
	v_fmac_f32_e32 v6, s3, v5
	v_fma_f32 v5, s2, v5, -v1
	v_lshlrev_b64 v[0:1], 3, v[3:4]
	v_mov_b32_e32 v3, s5
	v_add_co_u32_e32 v0, vcc, s4, v0
	v_addc_co_u32_e32 v1, vcc, v3, v1, vcc
	v_add_co_u32_e32 v0, vcc, v0, v2
	v_addc_co_u32_e32 v1, vcc, 0, v1, vcc
	global_store_dwordx2 v[0:1], v[5:6], off
.LBB106_15:
	s_endpgm
	.section	.rodata,"a",@progbits
	.p2align	6, 0x0
	.amdhsa_kernel _ZL23rocblas_trmm_rTx_kernelILi16ELb1E19rocblas_complex_numIfEPKS1_S2_S1_Ev13rocblas_fill_17rocblas_diagonal_iiT2_lPT3_llS8_llPT4_lli
		.amdhsa_group_segment_fixed_size 4096
		.amdhsa_private_segment_fixed_size 0
		.amdhsa_kernarg_size 108
		.amdhsa_user_sgpr_count 6
		.amdhsa_user_sgpr_private_segment_buffer 1
		.amdhsa_user_sgpr_dispatch_ptr 0
		.amdhsa_user_sgpr_queue_ptr 0
		.amdhsa_user_sgpr_kernarg_segment_ptr 1
		.amdhsa_user_sgpr_dispatch_id 0
		.amdhsa_user_sgpr_flat_scratch_init 0
		.amdhsa_user_sgpr_private_segment_size 0
		.amdhsa_uses_dynamic_stack 0
		.amdhsa_system_sgpr_private_segment_wavefront_offset 0
		.amdhsa_system_sgpr_workgroup_id_x 1
		.amdhsa_system_sgpr_workgroup_id_y 0
		.amdhsa_system_sgpr_workgroup_id_z 1
		.amdhsa_system_sgpr_workgroup_info 0
		.amdhsa_system_vgpr_workitem_id 1
		.amdhsa_next_free_vgpr 40
		.amdhsa_next_free_sgpr 26
		.amdhsa_reserve_vcc 1
		.amdhsa_reserve_flat_scratch 0
		.amdhsa_float_round_mode_32 0
		.amdhsa_float_round_mode_16_64 0
		.amdhsa_float_denorm_mode_32 3
		.amdhsa_float_denorm_mode_16_64 3
		.amdhsa_dx10_clamp 1
		.amdhsa_ieee_mode 1
		.amdhsa_fp16_overflow 0
		.amdhsa_exception_fp_ieee_invalid_op 0
		.amdhsa_exception_fp_denorm_src 0
		.amdhsa_exception_fp_ieee_div_zero 0
		.amdhsa_exception_fp_ieee_overflow 0
		.amdhsa_exception_fp_ieee_underflow 0
		.amdhsa_exception_fp_ieee_inexact 0
		.amdhsa_exception_int_div_zero 0
	.end_amdhsa_kernel
	.section	.text._ZL23rocblas_trmm_rTx_kernelILi16ELb1E19rocblas_complex_numIfEPKS1_S2_S1_Ev13rocblas_fill_17rocblas_diagonal_iiT2_lPT3_llS8_llPT4_lli,"axG",@progbits,_ZL23rocblas_trmm_rTx_kernelILi16ELb1E19rocblas_complex_numIfEPKS1_S2_S1_Ev13rocblas_fill_17rocblas_diagonal_iiT2_lPT3_llS8_llPT4_lli,comdat
.Lfunc_end106:
	.size	_ZL23rocblas_trmm_rTx_kernelILi16ELb1E19rocblas_complex_numIfEPKS1_S2_S1_Ev13rocblas_fill_17rocblas_diagonal_iiT2_lPT3_llS8_llPT4_lli, .Lfunc_end106-_ZL23rocblas_trmm_rTx_kernelILi16ELb1E19rocblas_complex_numIfEPKS1_S2_S1_Ev13rocblas_fill_17rocblas_diagonal_iiT2_lPT3_llS8_llPT4_lli
                                        ; -- End function
	.set _ZL23rocblas_trmm_rTx_kernelILi16ELb1E19rocblas_complex_numIfEPKS1_S2_S1_Ev13rocblas_fill_17rocblas_diagonal_iiT2_lPT3_llS8_llPT4_lli.num_vgpr, 40
	.set _ZL23rocblas_trmm_rTx_kernelILi16ELb1E19rocblas_complex_numIfEPKS1_S2_S1_Ev13rocblas_fill_17rocblas_diagonal_iiT2_lPT3_llS8_llPT4_lli.num_agpr, 0
	.set _ZL23rocblas_trmm_rTx_kernelILi16ELb1E19rocblas_complex_numIfEPKS1_S2_S1_Ev13rocblas_fill_17rocblas_diagonal_iiT2_lPT3_llS8_llPT4_lli.numbered_sgpr, 26
	.set _ZL23rocblas_trmm_rTx_kernelILi16ELb1E19rocblas_complex_numIfEPKS1_S2_S1_Ev13rocblas_fill_17rocblas_diagonal_iiT2_lPT3_llS8_llPT4_lli.num_named_barrier, 0
	.set _ZL23rocblas_trmm_rTx_kernelILi16ELb1E19rocblas_complex_numIfEPKS1_S2_S1_Ev13rocblas_fill_17rocblas_diagonal_iiT2_lPT3_llS8_llPT4_lli.private_seg_size, 0
	.set _ZL23rocblas_trmm_rTx_kernelILi16ELb1E19rocblas_complex_numIfEPKS1_S2_S1_Ev13rocblas_fill_17rocblas_diagonal_iiT2_lPT3_llS8_llPT4_lli.uses_vcc, 1
	.set _ZL23rocblas_trmm_rTx_kernelILi16ELb1E19rocblas_complex_numIfEPKS1_S2_S1_Ev13rocblas_fill_17rocblas_diagonal_iiT2_lPT3_llS8_llPT4_lli.uses_flat_scratch, 0
	.set _ZL23rocblas_trmm_rTx_kernelILi16ELb1E19rocblas_complex_numIfEPKS1_S2_S1_Ev13rocblas_fill_17rocblas_diagonal_iiT2_lPT3_llS8_llPT4_lli.has_dyn_sized_stack, 0
	.set _ZL23rocblas_trmm_rTx_kernelILi16ELb1E19rocblas_complex_numIfEPKS1_S2_S1_Ev13rocblas_fill_17rocblas_diagonal_iiT2_lPT3_llS8_llPT4_lli.has_recursion, 0
	.set _ZL23rocblas_trmm_rTx_kernelILi16ELb1E19rocblas_complex_numIfEPKS1_S2_S1_Ev13rocblas_fill_17rocblas_diagonal_iiT2_lPT3_llS8_llPT4_lli.has_indirect_call, 0
	.section	.AMDGPU.csdata,"",@progbits
; Kernel info:
; codeLenInByte = 1336
; TotalNumSgprs: 30
; NumVgprs: 40
; ScratchSize: 0
; MemoryBound: 0
; FloatMode: 240
; IeeeMode: 1
; LDSByteSize: 4096 bytes/workgroup (compile time only)
; SGPRBlocks: 3
; VGPRBlocks: 9
; NumSGPRsForWavesPerEU: 30
; NumVGPRsForWavesPerEU: 40
; Occupancy: 6
; WaveLimiterHint : 0
; COMPUTE_PGM_RSRC2:SCRATCH_EN: 0
; COMPUTE_PGM_RSRC2:USER_SGPR: 6
; COMPUTE_PGM_RSRC2:TRAP_HANDLER: 0
; COMPUTE_PGM_RSRC2:TGID_X_EN: 1
; COMPUTE_PGM_RSRC2:TGID_Y_EN: 0
; COMPUTE_PGM_RSRC2:TGID_Z_EN: 1
; COMPUTE_PGM_RSRC2:TIDIG_COMP_CNT: 1
	.section	.text._ZL23rocblas_trmm_rTx_kernelILi16ELb1E19rocblas_complex_numIfES1_KS1_S1_Ev13rocblas_fill_17rocblas_diagonal_iiT2_lPT3_llS7_llPT4_lli,"axG",@progbits,_ZL23rocblas_trmm_rTx_kernelILi16ELb1E19rocblas_complex_numIfES1_KS1_S1_Ev13rocblas_fill_17rocblas_diagonal_iiT2_lPT3_llS7_llPT4_lli,comdat
	.globl	_ZL23rocblas_trmm_rTx_kernelILi16ELb1E19rocblas_complex_numIfES1_KS1_S1_Ev13rocblas_fill_17rocblas_diagonal_iiT2_lPT3_llS7_llPT4_lli ; -- Begin function _ZL23rocblas_trmm_rTx_kernelILi16ELb1E19rocblas_complex_numIfES1_KS1_S1_Ev13rocblas_fill_17rocblas_diagonal_iiT2_lPT3_llS7_llPT4_lli
	.p2align	8
	.type	_ZL23rocblas_trmm_rTx_kernelILi16ELb1E19rocblas_complex_numIfES1_KS1_S1_Ev13rocblas_fill_17rocblas_diagonal_iiT2_lPT3_llS7_llPT4_lli,@function
_ZL23rocblas_trmm_rTx_kernelILi16ELb1E19rocblas_complex_numIfES1_KS1_S1_Ev13rocblas_fill_17rocblas_diagonal_iiT2_lPT3_llS7_llPT4_lli: ; @_ZL23rocblas_trmm_rTx_kernelILi16ELb1E19rocblas_complex_numIfES1_KS1_S1_Ev13rocblas_fill_17rocblas_diagonal_iiT2_lPT3_llS7_llPT4_lli
; %bb.0:
	s_load_dwordx2 s[2:3], s[4:5], 0x10
	s_waitcnt lgkmcnt(0)
	v_cmp_neq_f32_e64 s[0:1], s2, 0
	v_cmp_neq_f32_e64 s[8:9], s3, 0
	s_or_b64 s[0:1], s[0:1], s[8:9]
	s_andn2_b64 vcc, exec, s[0:1]
	s_mov_b32 s0, 0
	s_cbranch_vccnz .LBB107_15
; %bb.1:
	s_load_dwordx4 s[24:27], s[4:5], 0x0
	s_load_dwordx16 s[8:23], s[4:5], 0x20
	s_mov_b32 s1, s0
	v_mov_b32_e32 v5, s1
	v_lshlrev_b32_e32 v2, 4, v1
	v_mov_b32_e32 v4, s0
	s_waitcnt lgkmcnt(0)
	v_cmp_gt_i32_e32 vcc, s27, v1
	v_cmp_gt_i32_e64 s[0:1], s27, v0
	v_add_lshl_u32 v3, v2, v0, 3
	s_and_b64 s[0:1], vcc, s[0:1]
	v_lshlrev_b32_e32 v2, 3, v0
	ds_write2st64_b64 v3, v[4:5], v[4:5] offset1:4
	s_and_saveexec_b64 s[28:29], s[0:1]
	s_cbranch_execz .LBB107_3
; %bb.2:
	v_mad_u64_u32 v[4:5], s[0:1], s10, v1, 0
	s_mul_i32 s13, s13, s7
	s_mul_hi_u32 s0, s12, s7
	v_mad_u64_u32 v[5:6], s[10:11], s11, v1, v[5:6]
	s_add_i32 s1, s0, s13
	s_mul_i32 s0, s12, s7
	s_lshl_b64 s[0:1], s[0:1], 3
	s_add_u32 s0, s8, s0
	v_lshlrev_b64 v[4:5], 3, v[4:5]
	s_addc_u32 s1, s9, s1
	v_mov_b32_e32 v6, s1
	v_add_co_u32_e64 v4, s[0:1], s0, v4
	v_addc_co_u32_e64 v5, s[0:1], v6, v5, s[0:1]
	v_add_co_u32_e64 v4, s[0:1], v4, v2
	v_addc_co_u32_e64 v5, s[0:1], 0, v5, s[0:1]
	global_load_dwordx2 v[4:5], v[4:5], off
	s_waitcnt vmcnt(0)
	v_xor_b32_e32 v5, 0x80000000, v5
	ds_write_b64 v3, v[4:5]
.LBB107_3:
	s_or_b64 exec, exec, s[28:29]
	s_add_i32 s0, s26, -1
	s_ashr_i32 s1, s0, 31
	s_lshr_b32 s1, s1, 28
	s_add_i32 s0, s0, s1
	s_ashr_i32 s1, s0, 4
	s_and_b32 s0, s0, -16
	s_sub_i32 s0, s26, s0
	s_cmp_ge_i32 s6, s1
	s_cselect_b32 s0, s0, 16
	s_lshl_b32 s8, s6, 4
	v_cmp_gt_i32_e64 s[0:1], s0, v0
	s_ashr_i32 s9, s8, 31
	s_and_b64 s[0:1], vcc, s[0:1]
	s_and_saveexec_b64 s[10:11], s[0:1]
	s_cbranch_execz .LBB107_5
; %bb.4:
	s_mul_i32 s6, s19, s7
	s_mul_hi_u32 s12, s18, s7
	s_add_i32 s13, s12, s6
	s_mul_i32 s12, s18, s7
	v_mad_u64_u32 v[4:5], s[18:19], s16, v1, 0
	s_lshl_b64 s[12:13], s[12:13], 3
	s_add_u32 s6, s14, s12
	s_addc_u32 s14, s15, s13
	v_mad_u64_u32 v[5:6], s[12:13], s17, v1, v[5:6]
	s_lshl_b64 s[12:13], s[8:9], 3
	s_add_u32 s6, s6, s12
	v_lshlrev_b64 v[4:5], 3, v[4:5]
	s_addc_u32 s12, s14, s13
	v_mov_b32_e32 v6, s12
	v_add_co_u32_e32 v4, vcc, s6, v4
	v_addc_co_u32_e32 v5, vcc, v6, v5, vcc
	v_add_co_u32_e32 v4, vcc, v4, v2
	v_addc_co_u32_e32 v5, vcc, 0, v5, vcc
	global_load_dwordx2 v[4:5], v[4:5], off
	v_add_u32_e32 v6, 0x800, v3
	s_waitcnt vmcnt(0)
	ds_write_b64 v6, v[4:5]
.LBB107_5:
	s_or_b64 exec, exec, s[10:11]
	s_cmpk_eq_i32 s25, 0x84
	s_cselect_b64 s[10:11], -1, 0
	v_cmp_eq_u32_e32 vcc, v1, v0
	s_and_b64 s[12:13], vcc, s[10:11]
	s_and_saveexec_b64 s[10:11], s[12:13]
; %bb.6:
	v_mov_b32_e32 v4, 1.0
	v_mov_b32_e32 v5, 0
	ds_write_b64 v3, v[4:5]
; %bb.7:
	s_or_b64 exec, exec, s[10:11]
	s_cmpk_lg_i32 s24, 0x79
	s_cbranch_scc0 .LBB107_9
; %bb.8:
	v_cmp_lt_u32_e32 vcc, v0, v1
	s_and_b64 s[10:11], vcc, exec
	s_cbranch_execz .LBB107_10
	s_branch .LBB107_11
.LBB107_9:
	s_mov_b64 s[10:11], 0
.LBB107_10:
	v_cmp_gt_u32_e32 vcc, v0, v1
	s_andn2_b64 s[10:11], s[10:11], exec
	s_and_b64 s[12:13], vcc, exec
	s_or_b64 s[10:11], s[10:11], s[12:13]
.LBB107_11:
	s_and_saveexec_b64 s[12:13], s[10:11]
; %bb.12:
	v_mov_b32_e32 v4, 0
	v_mov_b32_e32 v5, v4
	ds_write_b64 v3, v[4:5]
; %bb.13:
	s_or_b64 exec, exec, s[12:13]
	s_waitcnt lgkmcnt(0)
	s_barrier
	s_and_saveexec_b64 s[10:11], s[0:1]
	s_cbranch_execz .LBB107_15
; %bb.14:
	v_lshlrev_b32_e32 v0, 3, v1
	v_add_u32_e32 v19, 0x800, v2
	ds_read2_b64 v[3:6], v0 offset1:16
	ds_read2_b64 v[7:10], v19 offset1:16
	ds_read2_b64 v[11:14], v0 offset0:32 offset1:48
	ds_read2_b64 v[15:18], v19 offset0:32 offset1:48
	s_load_dwordx2 s[0:1], s[4:5], 0x60
	s_waitcnt lgkmcnt(0)
	v_mul_f32_e32 v20, v3, v8
	v_fmac_f32_e32 v20, v4, v7
	v_mul_f32_e32 v4, v4, v8
	v_mul_f32_e32 v21, v5, v10
	v_fma_f32 v22, v3, v7, -v4
	v_mul_f32_e32 v3, v6, v10
	v_fmac_f32_e32 v21, v6, v9
	v_fma_f32 v23, v5, v9, -v3
	ds_read2_b64 v[3:6], v0 offset0:64 offset1:80
	ds_read2_b64 v[7:10], v19 offset0:64 offset1:80
	v_mul_f32_e32 v24, v11, v16
	v_fmac_f32_e32 v24, v12, v15
	v_mul_f32_e32 v12, v12, v16
	v_mul_f32_e32 v25, v13, v18
	v_fma_f32 v26, v11, v15, -v12
	v_mul_f32_e32 v11, v14, v18
	v_fmac_f32_e32 v25, v14, v17
	v_fma_f32 v27, v13, v17, -v11
	s_waitcnt lgkmcnt(0)
	v_mul_f32_e32 v28, v3, v8
	ds_read2_b64 v[11:14], v0 offset0:96 offset1:112
	ds_read2_b64 v[15:18], v19 offset0:96 offset1:112
	v_fmac_f32_e32 v28, v4, v7
	v_mul_f32_e32 v4, v4, v8
	v_mul_f32_e32 v29, v5, v10
	v_fma_f32 v30, v3, v7, -v4
	v_mul_f32_e32 v3, v6, v10
	v_fmac_f32_e32 v29, v6, v9
	v_fma_f32 v31, v5, v9, -v3
	ds_read2_b64 v[3:6], v0 offset0:128 offset1:144
	ds_read2_b64 v[7:10], v19 offset0:128 offset1:144
	s_waitcnt lgkmcnt(2)
	v_mul_f32_e32 v32, v11, v16
	v_fmac_f32_e32 v32, v12, v15
	v_mul_f32_e32 v12, v12, v16
	v_fma_f32 v11, v11, v15, -v12
	v_mul_f32_e32 v12, v14, v18
	v_mul_f32_e32 v33, v13, v18
	v_fma_f32 v12, v13, v17, -v12
	s_waitcnt lgkmcnt(0)
	v_mul_f32_e32 v13, v3, v8
	v_fmac_f32_e32 v13, v4, v7
	v_mul_f32_e32 v4, v4, v8
	v_fmac_f32_e32 v33, v14, v17
	v_mul_f32_e32 v14, v5, v10
	v_fma_f32 v15, v3, v7, -v4
	v_mul_f32_e32 v3, v6, v10
	v_fmac_f32_e32 v14, v6, v9
	v_fma_f32 v16, v5, v9, -v3
	ds_read2_b64 v[3:6], v0 offset0:160 offset1:176
	ds_read2_b64 v[7:10], v19 offset0:160 offset1:176
	s_mul_i32 s1, s1, s7
	s_mul_hi_u32 s4, s0, s7
	s_add_i32 s1, s4, s1
	s_mul_i32 s0, s0, s7
	s_waitcnt lgkmcnt(0)
	v_mul_f32_e32 v17, v3, v8
	v_fmac_f32_e32 v17, v4, v7
	v_mul_f32_e32 v4, v4, v8
	v_mul_f32_e32 v18, v5, v10
	v_fma_f32 v34, v3, v7, -v4
	v_mul_f32_e32 v3, v6, v10
	v_fmac_f32_e32 v18, v6, v9
	v_fma_f32 v35, v5, v9, -v3
	ds_read2_b64 v[3:6], v0 offset0:192 offset1:208
	ds_read2_b64 v[7:10], v19 offset0:192 offset1:208
	s_lshl_b64 s[0:1], s[0:1], 3
	s_add_u32 s4, s20, s0
	s_addc_u32 s5, s21, s1
	s_lshl_b64 s[0:1], s[8:9], 3
	s_waitcnt lgkmcnt(0)
	v_mul_f32_e32 v36, v3, v8
	v_fmac_f32_e32 v36, v4, v7
	v_mul_f32_e32 v4, v4, v8
	v_fma_f32 v38, v3, v7, -v4
	v_mul_f32_e32 v3, v6, v10
	v_fma_f32 v39, v5, v9, -v3
	v_add_f32_e32 v3, 0, v20
	v_add_f32_e32 v3, v3, v21
	;; [unrolled: 1-line block ×8, first 2 shown]
	v_mul_f32_e32 v37, v5, v10
	v_add_f32_e32 v3, v3, v13
	v_fmac_f32_e32 v37, v6, v9
	v_add_f32_e32 v13, v3, v14
	ds_read2_b64 v[3:6], v0 offset0:224 offset1:240
	ds_read2_b64 v[7:10], v19 offset0:224 offset1:240
	v_add_f32_e32 v0, v13, v17
	v_add_f32_e32 v0, v0, v18
	;; [unrolled: 1-line block ×4, first 2 shown]
	s_waitcnt lgkmcnt(0)
	v_mul_f32_e32 v13, v3, v8
	v_fmac_f32_e32 v13, v4, v7
	v_add_f32_e32 v0, v0, v13
	v_mul_f32_e32 v13, v5, v10
	v_fmac_f32_e32 v13, v6, v9
	v_add_f32_e32 v13, v0, v13
	v_add_f32_e32 v0, 0, v22
	;; [unrolled: 1-line block ×14, first 2 shown]
	v_mul_f32_e32 v4, v4, v8
	s_add_u32 s4, s4, s0
	v_add_f32_e32 v0, v0, v39
	v_fma_f32 v3, v3, v7, -v4
	s_addc_u32 s5, s5, s1
	v_add_f32_e32 v0, v0, v3
	v_mad_u64_u32 v[3:4], s[0:1], s22, v1, 0
	v_mul_f32_e32 v6, v6, v10
	v_fma_f32 v5, v5, v9, -v6
	v_add_f32_e32 v5, v0, v5
	v_mov_b32_e32 v0, v4
	v_mad_u64_u32 v[0:1], s[0:1], s23, v1, v[0:1]
	v_mul_f32_e32 v6, s2, v13
	v_mul_f32_e32 v1, s3, v13
	v_mov_b32_e32 v4, v0
	v_fmac_f32_e32 v6, s3, v5
	v_fma_f32 v5, s2, v5, -v1
	v_lshlrev_b64 v[0:1], 3, v[3:4]
	v_mov_b32_e32 v3, s5
	v_add_co_u32_e32 v0, vcc, s4, v0
	v_addc_co_u32_e32 v1, vcc, v3, v1, vcc
	v_add_co_u32_e32 v0, vcc, v0, v2
	v_addc_co_u32_e32 v1, vcc, 0, v1, vcc
	global_store_dwordx2 v[0:1], v[5:6], off
.LBB107_15:
	s_endpgm
	.section	.rodata,"a",@progbits
	.p2align	6, 0x0
	.amdhsa_kernel _ZL23rocblas_trmm_rTx_kernelILi16ELb1E19rocblas_complex_numIfES1_KS1_S1_Ev13rocblas_fill_17rocblas_diagonal_iiT2_lPT3_llS7_llPT4_lli
		.amdhsa_group_segment_fixed_size 4096
		.amdhsa_private_segment_fixed_size 0
		.amdhsa_kernarg_size 108
		.amdhsa_user_sgpr_count 6
		.amdhsa_user_sgpr_private_segment_buffer 1
		.amdhsa_user_sgpr_dispatch_ptr 0
		.amdhsa_user_sgpr_queue_ptr 0
		.amdhsa_user_sgpr_kernarg_segment_ptr 1
		.amdhsa_user_sgpr_dispatch_id 0
		.amdhsa_user_sgpr_flat_scratch_init 0
		.amdhsa_user_sgpr_private_segment_size 0
		.amdhsa_uses_dynamic_stack 0
		.amdhsa_system_sgpr_private_segment_wavefront_offset 0
		.amdhsa_system_sgpr_workgroup_id_x 1
		.amdhsa_system_sgpr_workgroup_id_y 0
		.amdhsa_system_sgpr_workgroup_id_z 1
		.amdhsa_system_sgpr_workgroup_info 0
		.amdhsa_system_vgpr_workitem_id 1
		.amdhsa_next_free_vgpr 40
		.amdhsa_next_free_sgpr 30
		.amdhsa_reserve_vcc 1
		.amdhsa_reserve_flat_scratch 0
		.amdhsa_float_round_mode_32 0
		.amdhsa_float_round_mode_16_64 0
		.amdhsa_float_denorm_mode_32 3
		.amdhsa_float_denorm_mode_16_64 3
		.amdhsa_dx10_clamp 1
		.amdhsa_ieee_mode 1
		.amdhsa_fp16_overflow 0
		.amdhsa_exception_fp_ieee_invalid_op 0
		.amdhsa_exception_fp_denorm_src 0
		.amdhsa_exception_fp_ieee_div_zero 0
		.amdhsa_exception_fp_ieee_overflow 0
		.amdhsa_exception_fp_ieee_underflow 0
		.amdhsa_exception_fp_ieee_inexact 0
		.amdhsa_exception_int_div_zero 0
	.end_amdhsa_kernel
	.section	.text._ZL23rocblas_trmm_rTx_kernelILi16ELb1E19rocblas_complex_numIfES1_KS1_S1_Ev13rocblas_fill_17rocblas_diagonal_iiT2_lPT3_llS7_llPT4_lli,"axG",@progbits,_ZL23rocblas_trmm_rTx_kernelILi16ELb1E19rocblas_complex_numIfES1_KS1_S1_Ev13rocblas_fill_17rocblas_diagonal_iiT2_lPT3_llS7_llPT4_lli,comdat
.Lfunc_end107:
	.size	_ZL23rocblas_trmm_rTx_kernelILi16ELb1E19rocblas_complex_numIfES1_KS1_S1_Ev13rocblas_fill_17rocblas_diagonal_iiT2_lPT3_llS7_llPT4_lli, .Lfunc_end107-_ZL23rocblas_trmm_rTx_kernelILi16ELb1E19rocblas_complex_numIfES1_KS1_S1_Ev13rocblas_fill_17rocblas_diagonal_iiT2_lPT3_llS7_llPT4_lli
                                        ; -- End function
	.set _ZL23rocblas_trmm_rTx_kernelILi16ELb1E19rocblas_complex_numIfES1_KS1_S1_Ev13rocblas_fill_17rocblas_diagonal_iiT2_lPT3_llS7_llPT4_lli.num_vgpr, 40
	.set _ZL23rocblas_trmm_rTx_kernelILi16ELb1E19rocblas_complex_numIfES1_KS1_S1_Ev13rocblas_fill_17rocblas_diagonal_iiT2_lPT3_llS7_llPT4_lli.num_agpr, 0
	.set _ZL23rocblas_trmm_rTx_kernelILi16ELb1E19rocblas_complex_numIfES1_KS1_S1_Ev13rocblas_fill_17rocblas_diagonal_iiT2_lPT3_llS7_llPT4_lli.numbered_sgpr, 30
	.set _ZL23rocblas_trmm_rTx_kernelILi16ELb1E19rocblas_complex_numIfES1_KS1_S1_Ev13rocblas_fill_17rocblas_diagonal_iiT2_lPT3_llS7_llPT4_lli.num_named_barrier, 0
	.set _ZL23rocblas_trmm_rTx_kernelILi16ELb1E19rocblas_complex_numIfES1_KS1_S1_Ev13rocblas_fill_17rocblas_diagonal_iiT2_lPT3_llS7_llPT4_lli.private_seg_size, 0
	.set _ZL23rocblas_trmm_rTx_kernelILi16ELb1E19rocblas_complex_numIfES1_KS1_S1_Ev13rocblas_fill_17rocblas_diagonal_iiT2_lPT3_llS7_llPT4_lli.uses_vcc, 1
	.set _ZL23rocblas_trmm_rTx_kernelILi16ELb1E19rocblas_complex_numIfES1_KS1_S1_Ev13rocblas_fill_17rocblas_diagonal_iiT2_lPT3_llS7_llPT4_lli.uses_flat_scratch, 0
	.set _ZL23rocblas_trmm_rTx_kernelILi16ELb1E19rocblas_complex_numIfES1_KS1_S1_Ev13rocblas_fill_17rocblas_diagonal_iiT2_lPT3_llS7_llPT4_lli.has_dyn_sized_stack, 0
	.set _ZL23rocblas_trmm_rTx_kernelILi16ELb1E19rocblas_complex_numIfES1_KS1_S1_Ev13rocblas_fill_17rocblas_diagonal_iiT2_lPT3_llS7_llPT4_lli.has_recursion, 0
	.set _ZL23rocblas_trmm_rTx_kernelILi16ELb1E19rocblas_complex_numIfES1_KS1_S1_Ev13rocblas_fill_17rocblas_diagonal_iiT2_lPT3_llS7_llPT4_lli.has_indirect_call, 0
	.section	.AMDGPU.csdata,"",@progbits
; Kernel info:
; codeLenInByte = 1296
; TotalNumSgprs: 34
; NumVgprs: 40
; ScratchSize: 0
; MemoryBound: 0
; FloatMode: 240
; IeeeMode: 1
; LDSByteSize: 4096 bytes/workgroup (compile time only)
; SGPRBlocks: 4
; VGPRBlocks: 9
; NumSGPRsForWavesPerEU: 34
; NumVGPRsForWavesPerEU: 40
; Occupancy: 6
; WaveLimiterHint : 0
; COMPUTE_PGM_RSRC2:SCRATCH_EN: 0
; COMPUTE_PGM_RSRC2:USER_SGPR: 6
; COMPUTE_PGM_RSRC2:TRAP_HANDLER: 0
; COMPUTE_PGM_RSRC2:TGID_X_EN: 1
; COMPUTE_PGM_RSRC2:TGID_Y_EN: 0
; COMPUTE_PGM_RSRC2:TGID_Z_EN: 1
; COMPUTE_PGM_RSRC2:TIDIG_COMP_CNT: 1
	.section	.text._ZL30rocblas_trmm_outofplace_kernelI19rocblas_complex_numIdELi32ELi2ELb1ELb0ELb0ELb0EPKS1_S2_S1_Ev17rocblas_diagonal_iiT6_lPT7_lllS7_lllPT8_llli,"axG",@progbits,_ZL30rocblas_trmm_outofplace_kernelI19rocblas_complex_numIdELi32ELi2ELb1ELb0ELb0ELb0EPKS1_S2_S1_Ev17rocblas_diagonal_iiT6_lPT7_lllS7_lllPT8_llli,comdat
	.globl	_ZL30rocblas_trmm_outofplace_kernelI19rocblas_complex_numIdELi32ELi2ELb1ELb0ELb0ELb0EPKS1_S2_S1_Ev17rocblas_diagonal_iiT6_lPT7_lllS7_lllPT8_llli ; -- Begin function _ZL30rocblas_trmm_outofplace_kernelI19rocblas_complex_numIdELi32ELi2ELb1ELb0ELb0ELb0EPKS1_S2_S1_Ev17rocblas_diagonal_iiT6_lPT7_lllS7_lllPT8_llli
	.p2align	8
	.type	_ZL30rocblas_trmm_outofplace_kernelI19rocblas_complex_numIdELi32ELi2ELb1ELb0ELb0ELb0EPKS1_S2_S1_Ev17rocblas_diagonal_iiT6_lPT7_lllS7_lllPT8_llli,@function
_ZL30rocblas_trmm_outofplace_kernelI19rocblas_complex_numIdELi32ELi2ELb1ELb0ELb0ELb0EPKS1_S2_S1_Ev17rocblas_diagonal_iiT6_lPT7_lllS7_lllPT8_llli: ; @_ZL30rocblas_trmm_outofplace_kernelI19rocblas_complex_numIdELi32ELi2ELb1ELb0ELb0ELb0EPKS1_S2_S1_Ev17rocblas_diagonal_iiT6_lPT7_lllS7_lllPT8_llli
; %bb.0:
	s_load_dwordx16 s[12:27], s[4:5], 0x10
	s_mov_b64 s[62:63], s[2:3]
	s_mov_b64 s[60:61], s[0:1]
	s_add_u32 s60, s60, s9
	s_addc_u32 s61, s61, 0
	s_waitcnt lgkmcnt(0)
	s_mul_i32 s0, s15, s8
	s_mul_hi_u32 s1, s14, s8
	s_add_i32 s1, s1, s0
	s_mul_i32 s0, s14, s8
	s_lshl_b64 s[0:1], s[0:1], 4
	s_add_u32 s0, s12, s0
	buffer_store_dword v1, off, s[60:63], 0 offset:32 ; 4-byte Folded Spill
	buffer_store_dword v0, off, s[60:63], 0 offset:36 ; 4-byte Folded Spill
	s_addc_u32 s1, s13, s1
	s_load_dwordx4 s[28:31], s[0:1], 0x0
	s_waitcnt lgkmcnt(0)
	v_cmp_eq_f64_e64 s[0:1], s[28:29], 0
	v_cmp_eq_f64_e64 s[2:3], s[30:31], 0
	s_and_b64 s[0:1], s[0:1], s[2:3]
	s_and_b64 vcc, exec, s[0:1]
	s_cbranch_vccnz .LBB108_63
; %bb.1:
	s_load_dwordx4 s[44:47], s[4:5], 0x0
	s_waitcnt lgkmcnt(0)
	s_add_i32 s0, s46, -1
	s_ashr_i32 s1, s0, 31
	s_lshr_b32 s1, s1, 27
	s_add_i32 s0, s0, s1
	s_ashr_i32 s33, s0, 5
	s_cmp_gt_i32 s7, s33
	s_cbranch_scc1 .LBB108_63
; %bb.2:
	s_load_dwordx4 s[48:51], s[4:5], 0x70
	s_load_dwordx8 s[36:43], s[4:5], 0x50
	s_load_dword s47, s[4:5], 0x8c
	buffer_load_dword v1, off, s[60:63], 0 offset:36 ; 4-byte Folded Reload
	buffer_load_dword v10, off, s[60:63], 0 offset:32 ; 4-byte Folded Reload
	s_waitcnt lgkmcnt(0)
	s_mul_i32 s1, s51, s8
	s_mul_hi_u32 s2, s50, s8
	s_mul_i32 s0, s50, s8
	s_add_i32 s1, s2, s1
	s_lshl_b64 s[0:1], s[0:1], 4
	s_add_u32 s2, s40, s0
	s_addc_u32 s3, s41, s1
	s_lshl_b64 s[0:1], s[42:43], 4
	s_add_u32 s54, s2, s0
	s_addc_u32 s55, s3, s1
	s_lshl_b32 s56, s6, 5
	s_cmp_gt_i32 s6, -1
	s_cselect_b64 s[34:35], -1, 0
	s_cmpk_eq_i32 s44, 0x84
	s_cselect_b64 s[40:41], -1, 0
	s_ashr_i32 s43, s45, 31
	s_ashr_i32 s6, s46, 31
	s_lshl_b64 s[50:51], s[20:21], 9
	s_add_u32 s52, s45, -16
	s_mul_i32 s9, s39, s8
	s_mul_hi_u32 s10, s38, s8
	s_addc_u32 s53, s43, -1
	s_add_i32 s11, s10, s9
	s_mul_i32 s10, s38, s8
	s_lshl_b64 s[10:11], s[10:11], 4
	s_lshl_b64 s[12:13], s[26:27], 4
	s_add_u32 s9, s10, s12
	s_addc_u32 s10, s11, s13
	s_add_u32 s9, s24, s9
	s_mov_b32 s42, s45
	s_addc_u32 s10, s25, s10
	s_lshl_b64 s[24:25], s[36:37], 4
	s_lshl_b32 s44, s47, 5
	v_mov_b32_e32 v3, 0x100
	s_movk_i32 s57, 0x100
	v_mov_b32_e32 v2, 0
	s_waitcnt vmcnt(1)
	v_add_u32_e32 v11, s56, v1
	s_waitcnt vmcnt(0)
	v_lshlrev_b32_e32 v0, 9, v10
	v_lshlrev_b32_e32 v24, 4, v1
	v_ashrrev_i32_e32 v12, 31, v11
	v_add_u32_e32 v25, v24, v0
	v_add_u32_e32 v30, 0x4000, v0
	v_add_co_u32_e32 v0, vcc, 16, v11
	v_addc_co_u32_e32 v1, vcc, 0, v12, vcc
	buffer_store_dword v0, off, s[60:63], 0 offset:40 ; 4-byte Folded Spill
	s_nop 0
	buffer_store_dword v1, off, s[60:63], 0 offset:44 ; 4-byte Folded Spill
	v_sub_co_u32_e32 v13, vcc, v11, v10
	v_subbrev_co_u32_e32 v14, vcc, 0, v12, vcc
	v_lshl_add_u32 v8, v10, 4, v3
	v_add_u32_e32 v4, 16, v11
	v_ashrrev_i32_e32 v5, 31, v4
	v_cmp_le_i32_e64 s[0:1], s45, v11
	v_cmp_gt_i32_e64 s[4:5], s45, v11
	v_add_u32_e32 v31, v30, v24
	v_cmp_gt_i32_e64 s[14:15], s45, v4
	s_movk_i32 s45, 0x200
	v_cmp_le_i64_e64 s[2:3], s[42:43], v[0:1]
	v_mov_b32_e32 v0, s10
	v_add_co_u32_e32 v1, vcc, s9, v24
	s_mul_i32 s9, s23, s8
	s_mul_hi_u32 s10, s22, s8
	s_add_i32 s9, s10, s9
	s_mul_i32 s8, s22, s8
	s_lshl_b64 s[8:9], s[8:9], 4
	s_lshl_b64 s[10:11], s[18:19], 4
	s_add_u32 s10, s16, s10
	s_addc_u32 s11, s17, s11
	s_add_u32 s8, s10, s8
	s_addc_u32 s9, s11, s9
	v_mov_b32_e32 v6, s8
	v_mov_b32_e32 v7, s9
	v_mad_u64_u32 v[6:7], s[10:11], s20, v8, v[6:7]
	v_addc_co_u32_e32 v0, vcc, 0, v0, vcc
	v_mov_b32_e32 v3, v7
	v_mad_u64_u32 v[7:8], s[10:11], s21, v8, v[3:4]
	v_mad_u64_u32 v[8:9], s[10:11], s20, v10, 0
	v_add_co_u32_e32 v15, vcc, s57, v1
	v_addc_co_u32_e32 v16, vcc, 0, v0, vcc
	v_add_co_u32_e32 v0, vcc, s57, v6
	v_mov_b32_e32 v3, v9
	v_addc_co_u32_e32 v1, vcc, 0, v7, vcc
	v_mad_u64_u32 v[6:7], s[10:11], s21, v10, v[3:4]
	buffer_store_dword v15, off, s[60:63], 0 offset:96 ; 4-byte Folded Spill
	s_nop 0
	buffer_store_dword v16, off, s[60:63], 0 offset:100 ; 4-byte Folded Spill
	buffer_store_dword v0, off, s[60:63], 0 offset:104 ; 4-byte Folded Spill
	s_nop 0
	buffer_store_dword v1, off, s[60:63], 0 offset:108 ; 4-byte Folded Spill
	v_add_co_u32_e32 v0, vcc, 16, v13
	v_mov_b32_e32 v9, v6
	v_addc_co_u32_e32 v1, vcc, 0, v14, vcc
	v_lshlrev_b64 v[6:7], 4, v[8:9]
	buffer_store_dword v0, off, s[60:63], 0 offset:56 ; 4-byte Folded Spill
	s_nop 0
	buffer_store_dword v1, off, s[60:63], 0 offset:60 ; 4-byte Folded Spill
	v_mov_b32_e32 v0, s9
	v_add_co_u32_e32 v1, vcc, s8, v6
	v_addc_co_u32_e32 v0, vcc, v0, v7, vcc
	v_add_co_u32_e32 v6, vcc, 0x100, v1
	v_addc_co_u32_e32 v7, vcc, 0, v0, vcc
	buffer_store_dword v6, off, s[60:63], 0 offset:112 ; 4-byte Folded Spill
	s_nop 0
	buffer_store_dword v7, off, s[60:63], 0 offset:116 ; 4-byte Folded Spill
	v_add_co_u32_e32 v0, vcc, -16, v13
	buffer_store_dword v13, off, s[60:63], 0 offset:48 ; 4-byte Folded Spill
	s_nop 0
	buffer_store_dword v14, off, s[60:63], 0 offset:52 ; 4-byte Folded Spill
	v_mov_b32_e32 v3, 0x3ff00000
	v_addc_co_u32_e32 v1, vcc, -1, v14, vcc
	buffer_store_dword v0, off, s[60:63], 0 offset:64 ; 4-byte Folded Spill
	s_nop 0
	buffer_store_dword v1, off, s[60:63], 0 offset:68 ; 4-byte Folded Spill
	v_lshlrev_b64 v[0:1], 4, v[4:5]
	buffer_store_dword v0, off, s[60:63], 0 offset:88 ; 4-byte Folded Spill
	s_nop 0
	buffer_store_dword v1, off, s[60:63], 0 offset:92 ; 4-byte Folded Spill
	buffer_store_dword v11, off, s[60:63], 0 offset:8 ; 4-byte Folded Spill
	s_nop 0
	buffer_store_dword v12, off, s[60:63], 0 offset:12 ; 4-byte Folded Spill
	v_lshl_add_u32 v14, s7, 5, v10
	v_lshlrev_b64 v[0:1], 4, v[11:12]
	buffer_store_dword v0, off, s[60:63], 0 ; 4-byte Folded Spill
	s_nop 0
	buffer_store_dword v1, off, s[60:63], 0 offset:4 ; 4-byte Folded Spill
	s_branch .LBB108_4
.LBB108_3:                              ;   in Loop: Header=BB108_4 Depth=1
	s_or_b64 exec, exec, s[8:9]
	s_add_i32 s7, s47, s7
	s_cmp_le_i32 s7, s33
	s_waitcnt vmcnt(1)
	v_add_u32_e32 v14, s44, v14
	s_cbranch_scc0 .LBB108_63
.LBB108_4:                              ; =>This Loop Header: Depth=1
                                        ;     Child Loop BB108_7 Depth 2
	buffer_store_dword v14, off, s[60:63], 0 offset:76 ; 4-byte Folded Spill
	s_waitcnt vmcnt(1)
	buffer_store_dword v15, off, s[60:63], 0 offset:80 ; 4-byte Folded Spill
	buffer_load_dword v0, off, s[60:63], 0 offset:32 ; 4-byte Folded Reload
	v_mov_b32_e32 v6, 0
	v_mov_b32_e32 v58, 0
	;; [unrolled: 1-line block ×9, first 2 shown]
	s_andn2_b64 vcc, exec, s[34:35]
	v_mov_b32_e32 v59, 0
	v_mov_b32_e32 v55, 0
	;; [unrolled: 1-line block ×7, first 2 shown]
	s_waitcnt vmcnt(0)
	v_lshl_add_u32 v0, s7, 5, v0
	buffer_store_dword v0, off, s[60:63], 0 offset:72 ; 4-byte Folded Spill
	v_ashrrev_i32_e32 v0, 31, v0
	buffer_store_dword v0, off, s[60:63], 0 offset:84 ; 4-byte Folded Spill
	s_cbranch_vccnz .LBB108_55
; %bb.5:                                ;   in Loop: Header=BB108_4 Depth=1
	buffer_load_dword v0, off, s[60:63], 0 offset:76 ; 4-byte Folded Reload
	buffer_load_dword v1, off, s[60:63], 0 offset:80 ; 4-byte Folded Reload
	;; [unrolled: 1-line block ×4, first 2 shown]
	v_mov_b32_e32 v50, 0
	v_mov_b32_e32 v16, 0
	;; [unrolled: 1-line block ×7, first 2 shown]
	s_mov_b64 s[20:21], 0
	v_mov_b32_e32 v51, 0
	v_mov_b32_e32 v17, 0
	v_mov_b32_e32 v53, 0
	v_mov_b32_e32 v19, 0
	v_mov_b32_e32 v57, 0
	v_mov_b32_e32 v55, 0
	v_mov_b32_e32 v59, 0
	s_waitcnt vmcnt(3)
	v_mov_b32_e32 v5, v0
	v_ashrrev_i32_e32 v6, 31, v5
	s_waitcnt vmcnt(0)
	v_mad_u64_u32 v[20:21], s[8:9], s24, v5, v[7:8]
	v_mul_lo_u32 v0, s25, v5
	v_mul_lo_u32 v1, s24, v6
	v_mov_b32_e32 v4, v5
	buffer_store_dword v4, off, s[60:63], 0 offset:76 ; 4-byte Folded Spill
	s_nop 0
	buffer_store_dword v5, off, s[60:63], 0 offset:80 ; 4-byte Folded Spill
	v_add3_u32 v21, v0, v21, v1
	buffer_load_dword v1, off, s[60:63], 0 offset:72 ; 4-byte Folded Reload
	v_mov_b32_e32 v0, s6
	v_lshlrev_b64 v[4:5], 4, v[5:6]
	v_add_co_u32_e32 v4, vcc, 0x100, v4
	v_addc_co_u32_e32 v5, vcc, 0, v5, vcc
	v_mul_lo_u32 v6, s37, v4
	v_mad_u64_u32 v[22:23], s[8:9], s36, v4, v[7:8]
	s_waitcnt vmcnt(0)
	v_sub_co_u32_e32 v4, vcc, s46, v1
	buffer_load_dword v1, off, s[60:63], 0 offset:84 ; 4-byte Folded Reload
	buffer_load_dword v46, off, s[60:63], 0 offset:112 ; 4-byte Folded Reload
	;; [unrolled: 1-line block ×5, first 2 shown]
	v_mul_lo_u32 v5, s36, v5
	v_add3_u32 v23, v6, v23, v5
	v_mov_b32_e32 v6, 0
	v_mov_b32_e32 v7, 0
	s_waitcnt vmcnt(4)
	v_subb_co_u32_e32 v5, vcc, v0, v1, vcc
	v_cmp_lt_i64_e64 s[8:9], 0, v[4:5]
	v_cmp_lt_i64_e64 s[10:11], 16, v[4:5]
	s_branch .LBB108_7
.LBB108_6:                              ;   in Loop: Header=BB108_7 Depth=2
	s_or_b64 exec, exec, s[12:13]
	s_waitcnt vmcnt(0) lgkmcnt(0)
	s_barrier
	ds_read_b128 v[8:11], v30
	ds_read_b128 v[12:15], v24
	ds_read_b128 v[26:29], v24 offset:256
	buffer_store_dword v22, off, s[60:63], 0 offset:24 ; 4-byte Folded Spill
	s_nop 0
	buffer_store_dword v23, off, s[60:63], 0 offset:28 ; 4-byte Folded Spill
	ds_read_b128 v[60:63], v30 offset:8192
	s_add_u32 s20, s20, 32
	s_waitcnt lgkmcnt(2)
	v_mul_f64 v[4:5], v[10:11], v[14:15]
	v_mul_f64 v[20:21], v[8:9], v[14:15]
	s_waitcnt lgkmcnt(1)
	v_mul_f64 v[22:23], v[10:11], v[28:29]
	v_mul_f64 v[32:33], v[8:9], v[28:29]
	s_addc_u32 s21, s21, 0
	s_sub_i32 s12, s20, 32
	s_cmp_ge_i32 s12, s56
	v_fma_f64 v[4:5], v[8:9], v[12:13], -v[4:5]
	v_fma_f64 v[20:21], v[10:11], v[12:13], v[20:21]
	v_fma_f64 v[22:23], v[8:9], v[26:27], -v[22:23]
	v_fma_f64 v[32:33], v[10:11], v[26:27], v[32:33]
	s_waitcnt lgkmcnt(0)
	v_mul_f64 v[8:9], v[62:63], v[14:15]
	v_mul_f64 v[10:11], v[60:61], v[14:15]
	v_add_f64 v[36:37], v[6:7], v[4:5]
	v_fma_f64 v[34:35], v[60:61], v[12:13], -v[8:9]
	v_fma_f64 v[0:1], v[62:63], v[12:13], v[10:11]
	v_mul_f64 v[8:9], v[62:63], v[28:29]
	v_mul_f64 v[10:11], v[60:61], v[28:29]
	v_add_f64 v[52:53], v[0:1], v[52:53]
	v_fma_f64 v[38:39], v[60:61], v[26:27], -v[8:9]
	v_fma_f64 v[28:29], v[62:63], v[26:27], v[10:11]
	ds_read_b128 v[12:15], v30 offset:16
	ds_read_b128 v[8:11], v24 offset:512
	;; [unrolled: 1-line block ×3, first 2 shown]
	v_add_f64 v[60:61], v[20:21], v[58:59]
	v_add_f64 v[62:63], v[54:55], v[22:23]
	;; [unrolled: 1-line block ×3, first 2 shown]
	s_waitcnt lgkmcnt(1)
	v_mul_f64 v[26:27], v[12:13], v[10:11]
	v_mul_f64 v[20:21], v[14:15], v[10:11]
	v_add_f64 v[58:59], v[18:19], v[34:35]
	v_add_f64 v[56:57], v[16:17], v[38:39]
	ds_read_b128 v[16:19], v30 offset:8208
	s_waitcnt lgkmcnt(1)
	v_mul_f64 v[40:41], v[14:15], v[6:7]
	v_fma_f64 v[32:33], v[14:15], v[8:9], v[26:27]
	v_mul_f64 v[26:27], v[12:13], v[6:7]
	v_fma_f64 v[22:23], v[12:13], v[8:9], -v[20:21]
	v_add_f64 v[20:21], v[28:29], v[50:51]
	s_waitcnt lgkmcnt(0)
	v_mul_f64 v[28:29], v[18:19], v[10:11]
	v_mul_f64 v[34:35], v[16:17], v[10:11]
	v_fma_f64 v[0:1], v[12:13], v[4:5], -v[40:41]
	ds_read_b128 v[10:13], v30 offset:32
	v_add_f64 v[32:33], v[32:33], v[60:61]
	v_fma_f64 v[14:15], v[14:15], v[4:5], v[26:27]
	v_mul_f64 v[26:27], v[18:19], v[6:7]
	v_add_f64 v[22:23], v[36:37], v[22:23]
	v_mul_f64 v[36:37], v[16:17], v[6:7]
	v_fma_f64 v[38:39], v[16:17], v[8:9], -v[28:29]
	v_fma_f64 v[34:35], v[18:19], v[8:9], v[34:35]
	ds_read_b128 v[6:9], v24 offset:1024
	v_add_f64 v[0:1], v[62:63], v[0:1]
	v_fma_f64 v[16:17], v[16:17], v[4:5], -v[26:27]
	ds_read_b128 v[26:29], v24 offset:1280
	v_fma_f64 v[4:5], v[18:19], v[4:5], v[36:37]
	v_add_f64 v[38:39], v[58:59], v[38:39]
	v_add_f64 v[36:37], v[14:15], v[54:55]
	;; [unrolled: 1-line block ×4, first 2 shown]
	ds_read_b128 v[56:59], v30 offset:8224
	s_waitcnt lgkmcnt(2)
	v_mul_f64 v[18:19], v[12:13], v[8:9]
	s_waitcnt lgkmcnt(1)
	v_mul_f64 v[40:41], v[12:13], v[28:29]
	v_mul_f64 v[14:15], v[10:11], v[8:9]
	;; [unrolled: 1-line block ×3, first 2 shown]
	v_add_f64 v[16:17], v[4:5], v[20:21]
	v_fma_f64 v[18:19], v[10:11], v[6:7], -v[18:19]
	v_fma_f64 v[10:11], v[10:11], v[26:27], -v[40:41]
	v_fma_f64 v[4:5], v[12:13], v[6:7], v[14:15]
	s_waitcnt lgkmcnt(0)
	v_mul_f64 v[14:15], v[58:59], v[8:9]
	v_fma_f64 v[20:21], v[12:13], v[26:27], v[50:51]
	v_mul_f64 v[8:9], v[56:57], v[8:9]
	v_add_f64 v[18:19], v[22:23], v[18:19]
	v_add_f64 v[52:53], v[0:1], v[10:11]
	v_mul_f64 v[0:1], v[58:59], v[28:29]
	v_mul_f64 v[22:23], v[56:57], v[28:29]
	v_add_f64 v[60:61], v[20:21], v[36:37]
	v_fma_f64 v[20:21], v[58:59], v[6:7], v[8:9]
	v_add_f64 v[50:51], v[4:5], v[32:33]
	v_fma_f64 v[4:5], v[56:57], v[6:7], -v[14:15]
	ds_read_b128 v[12:15], v30 offset:48
	ds_read_b128 v[8:11], v24 offset:1536
	v_fma_f64 v[0:1], v[56:57], v[26:27], -v[0:1]
	v_fma_f64 v[62:63], v[58:59], v[26:27], v[22:23]
	v_add_f64 v[58:59], v[20:21], v[34:35]
	ds_read_b128 v[32:35], v30 offset:8240
	v_add_f64 v[54:55], v[38:39], v[4:5]
	ds_read_b128 v[4:7], v24 offset:1792
	s_waitcnt lgkmcnt(2)
	v_mul_f64 v[22:23], v[14:15], v[10:11]
	v_mul_f64 v[28:29], v[12:13], v[10:11]
	v_add_f64 v[56:57], v[42:43], v[0:1]
	s_waitcnt lgkmcnt(1)
	v_mul_f64 v[0:1], v[34:35], v[10:11]
	v_mul_f64 v[10:11], v[32:33], v[10:11]
	s_waitcnt lgkmcnt(0)
	v_mul_f64 v[36:37], v[14:15], v[6:7]
	v_mul_f64 v[38:39], v[12:13], v[6:7]
	v_fma_f64 v[26:27], v[12:13], v[8:9], -v[22:23]
	v_fma_f64 v[22:23], v[14:15], v[8:9], v[28:29]
	v_fma_f64 v[0:1], v[32:33], v[8:9], -v[0:1]
	v_fma_f64 v[10:11], v[34:35], v[8:9], v[10:11]
	v_mul_f64 v[8:9], v[34:35], v[6:7]
	v_mul_f64 v[6:7], v[32:33], v[6:7]
	v_fma_f64 v[14:15], v[14:15], v[4:5], v[38:39]
	v_fma_f64 v[12:13], v[12:13], v[4:5], -v[36:37]
	v_add_f64 v[26:27], v[18:19], v[26:27]
	v_add_f64 v[36:37], v[62:63], v[16:17]
	;; [unrolled: 1-line block ×4, first 2 shown]
	v_fma_f64 v[20:21], v[32:33], v[4:5], -v[8:9]
	v_fma_f64 v[28:29], v[34:35], v[4:5], v[6:7]
	ds_read_b128 v[6:9], v30 offset:64
	ds_read_b128 v[32:35], v24 offset:2048
	v_add_f64 v[4:5], v[14:15], v[60:61]
	ds_read_b128 v[16:19], v24 offset:2304
	v_add_f64 v[12:13], v[52:53], v[12:13]
	s_waitcnt lgkmcnt(1)
	v_mul_f64 v[38:39], v[8:9], v[34:35]
	v_mul_f64 v[40:41], v[6:7], v[34:35]
	v_add_f64 v[20:21], v[56:57], v[20:21]
	v_add_f64 v[56:57], v[28:29], v[36:37]
	v_fma_f64 v[14:15], v[6:7], v[32:33], -v[38:39]
	v_add_f64 v[38:39], v[10:11], v[58:59]
	v_fma_f64 v[10:11], v[8:9], v[32:33], v[40:41]
	ds_read_b128 v[58:61], v30 offset:8256
	s_waitcnt lgkmcnt(1)
	v_mul_f64 v[40:41], v[8:9], v[18:19]
	v_add_f64 v[52:53], v[26:27], v[14:15]
	v_mul_f64 v[14:15], v[6:7], v[18:19]
	s_waitcnt lgkmcnt(0)
	v_mul_f64 v[26:27], v[60:61], v[34:35]
	v_add_f64 v[54:55], v[10:11], v[22:23]
	v_mul_f64 v[10:11], v[58:59], v[34:35]
	v_fma_f64 v[6:7], v[6:7], v[16:17], -v[40:41]
	v_mul_f64 v[22:23], v[60:61], v[18:19]
	v_mul_f64 v[18:19], v[58:59], v[18:19]
	v_fma_f64 v[28:29], v[8:9], v[16:17], v[14:15]
	v_fma_f64 v[26:27], v[58:59], v[32:33], -v[26:27]
	v_fma_f64 v[32:33], v[60:61], v[32:33], v[10:11]
	v_add_f64 v[50:51], v[12:13], v[6:7]
	ds_read_b128 v[12:15], v30 offset:80
	ds_read_b128 v[8:11], v24 offset:2560
	v_fma_f64 v[34:35], v[58:59], v[16:17], -v[22:23]
	v_fma_f64 v[36:37], v[60:61], v[16:17], v[18:19]
	v_add_f64 v[28:29], v[28:29], v[4:5]
	ds_read_b128 v[4:7], v24 offset:2816
	ds_read_b128 v[16:19], v30 offset:8272
	s_waitcnt lgkmcnt(2)
	v_mul_f64 v[40:41], v[14:15], v[10:11]
	v_add_f64 v[60:61], v[32:33], v[38:39]
	v_add_f64 v[62:63], v[0:1], v[26:27]
	s_waitcnt lgkmcnt(1)
	v_mul_f64 v[32:33], v[14:15], v[6:7]
	v_mul_f64 v[22:23], v[12:13], v[10:11]
	;; [unrolled: 1-line block ×3, first 2 shown]
	v_add_f64 v[58:59], v[20:21], v[34:35]
	s_waitcnt lgkmcnt(0)
	v_mul_f64 v[34:35], v[18:19], v[10:11]
	v_fma_f64 v[0:1], v[12:13], v[8:9], -v[40:41]
	v_mul_f64 v[10:11], v[16:17], v[10:11]
	v_fma_f64 v[12:13], v[12:13], v[4:5], -v[32:33]
	v_fma_f64 v[20:21], v[14:15], v[8:9], v[22:23]
	v_fma_f64 v[14:15], v[14:15], v[4:5], v[26:27]
	v_add_f64 v[22:23], v[36:37], v[56:57]
	v_mul_f64 v[32:33], v[18:19], v[6:7]
	v_fma_f64 v[34:35], v[16:17], v[8:9], -v[34:35]
	v_add_f64 v[0:1], v[52:53], v[0:1]
	v_add_f64 v[36:37], v[50:51], v[12:13]
	v_mul_f64 v[12:13], v[16:17], v[6:7]
	v_add_f64 v[38:39], v[14:15], v[28:29]
	v_fma_f64 v[14:15], v[18:19], v[8:9], v[10:11]
	ds_read_b128 v[8:11], v30 offset:96
	ds_read_b128 v[26:29], v24 offset:3072
	v_fma_f64 v[16:17], v[16:17], v[4:5], -v[32:33]
	v_add_f64 v[20:21], v[20:21], v[54:55]
	v_add_f64 v[6:7], v[62:63], v[34:35]
	ds_read_b128 v[32:35], v24 offset:3328
	ds_read_b128 v[54:57], v30 offset:8288
	v_fma_f64 v[4:5], v[18:19], v[4:5], v[12:13]
	s_waitcnt lgkmcnt(2)
	v_mul_f64 v[18:19], v[10:11], v[28:29]
	v_mul_f64 v[40:41], v[8:9], v[28:29]
	v_add_f64 v[42:43], v[14:15], v[60:61]
	s_waitcnt lgkmcnt(1)
	v_mul_f64 v[14:15], v[10:11], v[34:35]
	v_add_f64 v[60:61], v[58:59], v[16:17]
	v_mul_f64 v[16:17], v[8:9], v[34:35]
	v_add_f64 v[12:13], v[4:5], v[22:23]
	v_fma_f64 v[4:5], v[8:9], v[26:27], -v[18:19]
	v_fma_f64 v[18:19], v[10:11], v[26:27], v[40:41]
	s_waitcnt lgkmcnt(0)
	v_mul_f64 v[22:23], v[56:57], v[28:29]
	v_mul_f64 v[28:29], v[54:55], v[28:29]
	v_fma_f64 v[8:9], v[8:9], v[32:33], -v[14:15]
	v_fma_f64 v[10:11], v[10:11], v[32:33], v[16:17]
	v_add_f64 v[16:17], v[0:1], v[4:5]
	v_add_f64 v[14:15], v[18:19], v[20:21]
	v_fma_f64 v[0:1], v[54:55], v[26:27], -v[22:23]
	v_mul_f64 v[20:21], v[56:57], v[34:35]
	v_mul_f64 v[22:23], v[54:55], v[34:35]
	v_fma_f64 v[34:35], v[56:57], v[26:27], v[28:29]
	v_add_f64 v[18:19], v[36:37], v[8:9]
	v_add_f64 v[50:51], v[10:11], v[38:39]
	ds_read_b128 v[26:29], v30 offset:112
	ds_read_b128 v[8:11], v24 offset:3584
	v_add_f64 v[52:53], v[6:7], v[0:1]
	v_fma_f64 v[0:1], v[54:55], v[32:33], -v[20:21]
	ds_read_b128 v[4:7], v24 offset:3840
	v_fma_f64 v[58:59], v[56:57], v[32:33], v[22:23]
	v_add_f64 v[56:57], v[34:35], v[42:43]
	ds_read_b128 v[34:37], v30 offset:8304
	s_waitcnt lgkmcnt(2)
	v_mul_f64 v[20:21], v[28:29], v[10:11]
	v_mul_f64 v[22:23], v[26:27], v[10:11]
	s_waitcnt lgkmcnt(1)
	v_mul_f64 v[38:39], v[28:29], v[6:7]
	v_add_f64 v[54:55], v[60:61], v[0:1]
	s_waitcnt lgkmcnt(0)
	v_mul_f64 v[0:1], v[36:37], v[10:11]
	v_mul_f64 v[10:11], v[34:35], v[10:11]
	;; [unrolled: 1-line block ×3, first 2 shown]
	v_add_f64 v[12:13], v[58:59], v[12:13]
	v_fma_f64 v[32:33], v[26:27], v[8:9], -v[20:21]
	v_fma_f64 v[22:23], v[28:29], v[8:9], v[22:23]
	v_fma_f64 v[26:27], v[26:27], v[4:5], -v[38:39]
	v_fma_f64 v[0:1], v[34:35], v[8:9], -v[0:1]
	v_fma_f64 v[10:11], v[36:37], v[8:9], v[10:11]
	v_mul_f64 v[8:9], v[36:37], v[6:7]
	v_mul_f64 v[6:7], v[34:35], v[6:7]
	v_fma_f64 v[28:29], v[28:29], v[4:5], v[40:41]
	v_add_f64 v[32:33], v[16:17], v[32:33]
	v_add_f64 v[14:15], v[22:23], v[14:15]
	;; [unrolled: 1-line block ×5, first 2 shown]
	v_fma_f64 v[20:21], v[34:35], v[4:5], -v[8:9]
	v_fma_f64 v[38:39], v[36:37], v[4:5], v[6:7]
	ds_read_b128 v[6:9], v30 offset:128
	ds_read_b128 v[34:37], v24 offset:4096
	;; [unrolled: 1-line block ×4, first 2 shown]
	v_add_f64 v[4:5], v[28:29], v[50:51]
	s_waitcnt lgkmcnt(2)
	v_mul_f64 v[42:43], v[6:7], v[36:37]
	v_mul_f64 v[40:41], v[8:9], v[36:37]
	s_waitcnt lgkmcnt(1)
	v_mul_f64 v[28:29], v[8:9], v[18:19]
	v_add_f64 v[56:57], v[38:39], v[12:13]
	v_mul_f64 v[12:13], v[6:7], v[18:19]
	v_add_f64 v[20:21], v[54:55], v[20:21]
	v_fma_f64 v[10:11], v[8:9], v[34:35], v[42:43]
	v_fma_f64 v[26:27], v[6:7], v[34:35], -v[40:41]
	v_fma_f64 v[6:7], v[6:7], v[16:17], -v[28:29]
	v_fma_f64 v[28:29], v[8:9], v[16:17], v[12:13]
	v_add_f64 v[54:55], v[10:11], v[14:15]
	s_waitcnt lgkmcnt(0)
	v_mul_f64 v[10:11], v[58:59], v[36:37]
	v_add_f64 v[52:53], v[32:33], v[26:27]
	v_mul_f64 v[26:27], v[60:61], v[36:37]
	v_mul_f64 v[14:15], v[60:61], v[18:19]
	;; [unrolled: 1-line block ×3, first 2 shown]
	v_add_f64 v[50:51], v[22:23], v[6:7]
	v_add_f64 v[28:29], v[28:29], v[4:5]
	v_fma_f64 v[32:33], v[60:61], v[34:35], v[10:11]
	v_fma_f64 v[26:27], v[58:59], v[34:35], -v[26:27]
	v_fma_f64 v[34:35], v[58:59], v[16:17], -v[14:15]
	ds_read_b128 v[12:15], v30 offset:144
	ds_read_b128 v[8:11], v24 offset:4608
	;; [unrolled: 1-line block ×3, first 2 shown]
	v_fma_f64 v[36:37], v[60:61], v[16:17], v[18:19]
	ds_read_b128 v[16:19], v30 offset:8336
	v_add_f64 v[60:61], v[32:33], v[44:45]
	s_waitcnt lgkmcnt(2)
	v_mul_f64 v[22:23], v[14:15], v[10:11]
	s_waitcnt lgkmcnt(1)
	v_mul_f64 v[32:33], v[14:15], v[6:7]
	v_add_f64 v[62:63], v[0:1], v[26:27]
	v_mul_f64 v[40:41], v[12:13], v[10:11]
	v_mul_f64 v[26:27], v[12:13], v[6:7]
	v_add_f64 v[58:59], v[20:21], v[34:35]
	s_waitcnt lgkmcnt(0)
	v_mul_f64 v[34:35], v[18:19], v[10:11]
	v_mul_f64 v[10:11], v[16:17], v[10:11]
	v_fma_f64 v[0:1], v[12:13], v[8:9], -v[22:23]
	v_fma_f64 v[12:13], v[12:13], v[4:5], -v[32:33]
	v_add_f64 v[22:23], v[36:37], v[56:57]
	v_fma_f64 v[20:21], v[14:15], v[8:9], v[40:41]
	v_fma_f64 v[14:15], v[14:15], v[4:5], v[26:27]
	v_mul_f64 v[32:33], v[18:19], v[6:7]
	v_fma_f64 v[34:35], v[16:17], v[8:9], -v[34:35]
	v_add_f64 v[0:1], v[52:53], v[0:1]
	v_add_f64 v[36:37], v[50:51], v[12:13]
	v_mul_f64 v[12:13], v[16:17], v[6:7]
	v_add_f64 v[20:21], v[20:21], v[54:55]
	v_add_f64 v[38:39], v[14:15], v[28:29]
	v_fma_f64 v[14:15], v[18:19], v[8:9], v[10:11]
	ds_read_b128 v[8:11], v30 offset:160
	ds_read_b128 v[26:29], v24 offset:5120
	v_fma_f64 v[16:17], v[16:17], v[4:5], -v[32:33]
	v_add_f64 v[6:7], v[62:63], v[34:35]
	ds_read_b128 v[32:35], v24 offset:5376
	ds_read_b128 v[54:57], v30 offset:8352
	v_fma_f64 v[4:5], v[18:19], v[4:5], v[12:13]
	s_waitcnt lgkmcnt(2)
	v_mul_f64 v[18:19], v[10:11], v[28:29]
	v_mul_f64 v[40:41], v[8:9], v[28:29]
	v_add_f64 v[42:43], v[14:15], v[60:61]
	s_waitcnt lgkmcnt(1)
	v_mul_f64 v[14:15], v[10:11], v[34:35]
	v_add_f64 v[44:45], v[58:59], v[16:17]
	v_mul_f64 v[16:17], v[8:9], v[34:35]
	v_add_f64 v[12:13], v[4:5], v[22:23]
	v_fma_f64 v[4:5], v[8:9], v[26:27], -v[18:19]
	v_fma_f64 v[18:19], v[10:11], v[26:27], v[40:41]
	s_waitcnt lgkmcnt(0)
	v_mul_f64 v[22:23], v[56:57], v[28:29]
	v_mul_f64 v[28:29], v[54:55], v[28:29]
	v_fma_f64 v[8:9], v[8:9], v[32:33], -v[14:15]
	v_fma_f64 v[10:11], v[10:11], v[32:33], v[16:17]
	v_add_f64 v[16:17], v[0:1], v[4:5]
	v_add_f64 v[14:15], v[18:19], v[20:21]
	v_fma_f64 v[0:1], v[54:55], v[26:27], -v[22:23]
	v_mul_f64 v[20:21], v[56:57], v[34:35]
	v_mul_f64 v[22:23], v[54:55], v[34:35]
	v_fma_f64 v[34:35], v[56:57], v[26:27], v[28:29]
	v_add_f64 v[18:19], v[36:37], v[8:9]
	v_add_f64 v[50:51], v[10:11], v[38:39]
	ds_read_b128 v[26:29], v30 offset:176
	ds_read_b128 v[8:11], v24 offset:5632
	v_add_f64 v[52:53], v[6:7], v[0:1]
	v_fma_f64 v[0:1], v[54:55], v[32:33], -v[20:21]
	ds_read_b128 v[4:7], v24 offset:5888
	v_fma_f64 v[58:59], v[56:57], v[32:33], v[22:23]
	v_add_f64 v[56:57], v[34:35], v[42:43]
	ds_read_b128 v[34:37], v30 offset:8368
	s_waitcnt lgkmcnt(2)
	v_mul_f64 v[20:21], v[28:29], v[10:11]
	v_mul_f64 v[22:23], v[26:27], v[10:11]
	s_waitcnt lgkmcnt(1)
	v_mul_f64 v[38:39], v[28:29], v[6:7]
	v_add_f64 v[54:55], v[44:45], v[0:1]
	s_waitcnt lgkmcnt(0)
	v_mul_f64 v[0:1], v[36:37], v[10:11]
	v_mul_f64 v[10:11], v[34:35], v[10:11]
	;; [unrolled: 1-line block ×3, first 2 shown]
	v_add_f64 v[12:13], v[58:59], v[12:13]
	v_fma_f64 v[32:33], v[26:27], v[8:9], -v[20:21]
	v_fma_f64 v[22:23], v[28:29], v[8:9], v[22:23]
	v_fma_f64 v[26:27], v[26:27], v[4:5], -v[38:39]
	v_fma_f64 v[0:1], v[34:35], v[8:9], -v[0:1]
	v_fma_f64 v[10:11], v[36:37], v[8:9], v[10:11]
	v_mul_f64 v[8:9], v[36:37], v[6:7]
	v_mul_f64 v[6:7], v[34:35], v[6:7]
	v_fma_f64 v[28:29], v[28:29], v[4:5], v[40:41]
	v_add_f64 v[32:33], v[16:17], v[32:33]
	v_add_f64 v[14:15], v[22:23], v[14:15]
	;; [unrolled: 1-line block ×5, first 2 shown]
	v_fma_f64 v[20:21], v[34:35], v[4:5], -v[8:9]
	v_fma_f64 v[38:39], v[36:37], v[4:5], v[6:7]
	ds_read_b128 v[6:9], v30 offset:192
	ds_read_b128 v[34:37], v24 offset:6144
	;; [unrolled: 1-line block ×4, first 2 shown]
	v_add_f64 v[4:5], v[28:29], v[50:51]
	s_waitcnt lgkmcnt(2)
	v_mul_f64 v[42:43], v[6:7], v[36:37]
	v_mul_f64 v[40:41], v[8:9], v[36:37]
	s_waitcnt lgkmcnt(1)
	v_mul_f64 v[28:29], v[8:9], v[18:19]
	v_add_f64 v[56:57], v[38:39], v[12:13]
	v_mul_f64 v[12:13], v[6:7], v[18:19]
	v_add_f64 v[20:21], v[54:55], v[20:21]
	v_fma_f64 v[10:11], v[8:9], v[34:35], v[42:43]
	v_fma_f64 v[26:27], v[6:7], v[34:35], -v[40:41]
	v_fma_f64 v[6:7], v[6:7], v[16:17], -v[28:29]
	v_fma_f64 v[28:29], v[8:9], v[16:17], v[12:13]
	v_add_f64 v[54:55], v[10:11], v[14:15]
	s_waitcnt lgkmcnt(0)
	v_mul_f64 v[10:11], v[58:59], v[36:37]
	v_add_f64 v[52:53], v[32:33], v[26:27]
	v_mul_f64 v[26:27], v[60:61], v[36:37]
	v_mul_f64 v[14:15], v[60:61], v[18:19]
	;; [unrolled: 1-line block ×3, first 2 shown]
	v_add_f64 v[50:51], v[22:23], v[6:7]
	v_add_f64 v[28:29], v[28:29], v[4:5]
	v_fma_f64 v[32:33], v[60:61], v[34:35], v[10:11]
	v_fma_f64 v[26:27], v[58:59], v[34:35], -v[26:27]
	v_fma_f64 v[34:35], v[58:59], v[16:17], -v[14:15]
	ds_read_b128 v[12:15], v30 offset:208
	ds_read_b128 v[8:11], v24 offset:6656
	;; [unrolled: 1-line block ×3, first 2 shown]
	v_fma_f64 v[36:37], v[60:61], v[16:17], v[18:19]
	ds_read_b128 v[16:19], v30 offset:8400
	v_add_f64 v[60:61], v[32:33], v[44:45]
	s_waitcnt lgkmcnt(2)
	v_mul_f64 v[22:23], v[14:15], v[10:11]
	s_waitcnt lgkmcnt(1)
	v_mul_f64 v[32:33], v[14:15], v[6:7]
	v_add_f64 v[62:63], v[0:1], v[26:27]
	v_mul_f64 v[40:41], v[12:13], v[10:11]
	v_mul_f64 v[26:27], v[12:13], v[6:7]
	v_add_f64 v[58:59], v[20:21], v[34:35]
	s_waitcnt lgkmcnt(0)
	v_mul_f64 v[34:35], v[18:19], v[10:11]
	v_mul_f64 v[10:11], v[16:17], v[10:11]
	v_fma_f64 v[0:1], v[12:13], v[8:9], -v[22:23]
	v_fma_f64 v[12:13], v[12:13], v[4:5], -v[32:33]
	v_add_f64 v[22:23], v[36:37], v[56:57]
	v_fma_f64 v[20:21], v[14:15], v[8:9], v[40:41]
	v_fma_f64 v[14:15], v[14:15], v[4:5], v[26:27]
	v_mul_f64 v[32:33], v[18:19], v[6:7]
	v_fma_f64 v[34:35], v[16:17], v[8:9], -v[34:35]
	v_add_f64 v[0:1], v[52:53], v[0:1]
	v_add_f64 v[36:37], v[50:51], v[12:13]
	v_mul_f64 v[12:13], v[16:17], v[6:7]
	v_add_f64 v[20:21], v[20:21], v[54:55]
	v_add_f64 v[38:39], v[14:15], v[28:29]
	v_fma_f64 v[14:15], v[18:19], v[8:9], v[10:11]
	ds_read_b128 v[8:11], v30 offset:224
	ds_read_b128 v[26:29], v24 offset:7168
	v_fma_f64 v[16:17], v[16:17], v[4:5], -v[32:33]
	v_add_f64 v[6:7], v[62:63], v[34:35]
	ds_read_b128 v[32:35], v24 offset:7424
	ds_read_b128 v[54:57], v30 offset:8416
	v_fma_f64 v[4:5], v[18:19], v[4:5], v[12:13]
	s_waitcnt lgkmcnt(2)
	v_mul_f64 v[18:19], v[10:11], v[28:29]
	v_mul_f64 v[40:41], v[8:9], v[28:29]
	v_add_f64 v[42:43], v[14:15], v[60:61]
	s_waitcnt lgkmcnt(1)
	v_mul_f64 v[14:15], v[10:11], v[34:35]
	v_add_f64 v[44:45], v[58:59], v[16:17]
	v_mul_f64 v[16:17], v[8:9], v[34:35]
	v_add_f64 v[12:13], v[4:5], v[22:23]
	v_fma_f64 v[4:5], v[8:9], v[26:27], -v[18:19]
	v_fma_f64 v[18:19], v[10:11], v[26:27], v[40:41]
	s_waitcnt lgkmcnt(0)
	v_mul_f64 v[22:23], v[56:57], v[28:29]
	v_mul_f64 v[28:29], v[54:55], v[28:29]
	v_fma_f64 v[8:9], v[8:9], v[32:33], -v[14:15]
	v_fma_f64 v[10:11], v[10:11], v[32:33], v[16:17]
	v_add_f64 v[16:17], v[0:1], v[4:5]
	v_add_f64 v[14:15], v[18:19], v[20:21]
	v_fma_f64 v[0:1], v[54:55], v[26:27], -v[22:23]
	v_mul_f64 v[20:21], v[56:57], v[34:35]
	v_mul_f64 v[22:23], v[54:55], v[34:35]
	v_fma_f64 v[34:35], v[56:57], v[26:27], v[28:29]
	v_add_f64 v[18:19], v[36:37], v[8:9]
	v_add_f64 v[50:51], v[10:11], v[38:39]
	ds_read_b128 v[26:29], v30 offset:240
	ds_read_b128 v[8:11], v24 offset:7680
	v_add_f64 v[52:53], v[6:7], v[0:1]
	v_fma_f64 v[0:1], v[54:55], v[32:33], -v[20:21]
	ds_read_b128 v[4:7], v24 offset:7936
	v_fma_f64 v[58:59], v[56:57], v[32:33], v[22:23]
	v_add_f64 v[56:57], v[34:35], v[42:43]
	ds_read_b128 v[34:37], v30 offset:8432
	s_waitcnt lgkmcnt(2)
	v_mul_f64 v[20:21], v[28:29], v[10:11]
	v_mul_f64 v[22:23], v[26:27], v[10:11]
	s_waitcnt lgkmcnt(1)
	v_mul_f64 v[38:39], v[28:29], v[6:7]
	v_add_f64 v[54:55], v[44:45], v[0:1]
	s_waitcnt lgkmcnt(0)
	v_mul_f64 v[0:1], v[36:37], v[10:11]
	v_mul_f64 v[10:11], v[34:35], v[10:11]
	;; [unrolled: 1-line block ×3, first 2 shown]
	v_add_f64 v[12:13], v[58:59], v[12:13]
	v_fma_f64 v[32:33], v[26:27], v[8:9], -v[20:21]
	v_fma_f64 v[22:23], v[28:29], v[8:9], v[22:23]
	v_fma_f64 v[26:27], v[26:27], v[4:5], -v[38:39]
	v_fma_f64 v[0:1], v[34:35], v[8:9], -v[0:1]
	v_fma_f64 v[10:11], v[36:37], v[8:9], v[10:11]
	v_mul_f64 v[8:9], v[36:37], v[6:7]
	v_mul_f64 v[6:7], v[34:35], v[6:7]
	v_fma_f64 v[28:29], v[28:29], v[4:5], v[40:41]
	v_add_f64 v[32:33], v[16:17], v[32:33]
	v_add_f64 v[14:15], v[22:23], v[14:15]
	;; [unrolled: 1-line block ×5, first 2 shown]
	v_fma_f64 v[20:21], v[34:35], v[4:5], -v[8:9]
	v_fma_f64 v[38:39], v[36:37], v[4:5], v[6:7]
	ds_read_b128 v[6:9], v30 offset:256
	ds_read_b128 v[34:37], v24 offset:8192
	;; [unrolled: 1-line block ×4, first 2 shown]
	v_add_f64 v[4:5], v[28:29], v[50:51]
	s_waitcnt lgkmcnt(2)
	v_mul_f64 v[42:43], v[6:7], v[36:37]
	v_mul_f64 v[40:41], v[8:9], v[36:37]
	s_waitcnt lgkmcnt(1)
	v_mul_f64 v[28:29], v[8:9], v[18:19]
	v_add_f64 v[56:57], v[38:39], v[12:13]
	v_mul_f64 v[12:13], v[6:7], v[18:19]
	v_add_f64 v[20:21], v[54:55], v[20:21]
	v_fma_f64 v[10:11], v[8:9], v[34:35], v[42:43]
	v_fma_f64 v[26:27], v[6:7], v[34:35], -v[40:41]
	v_fma_f64 v[6:7], v[6:7], v[16:17], -v[28:29]
	v_fma_f64 v[28:29], v[8:9], v[16:17], v[12:13]
	v_add_f64 v[54:55], v[10:11], v[14:15]
	s_waitcnt lgkmcnt(0)
	v_mul_f64 v[10:11], v[58:59], v[36:37]
	v_add_f64 v[52:53], v[32:33], v[26:27]
	v_mul_f64 v[26:27], v[60:61], v[36:37]
	v_mul_f64 v[14:15], v[60:61], v[18:19]
	;; [unrolled: 1-line block ×3, first 2 shown]
	v_add_f64 v[50:51], v[22:23], v[6:7]
	v_add_f64 v[28:29], v[28:29], v[4:5]
	v_fma_f64 v[32:33], v[60:61], v[34:35], v[10:11]
	v_fma_f64 v[26:27], v[58:59], v[34:35], -v[26:27]
	v_fma_f64 v[34:35], v[58:59], v[16:17], -v[14:15]
	ds_read_b128 v[12:15], v30 offset:272
	ds_read_b128 v[8:11], v24 offset:8704
	;; [unrolled: 1-line block ×3, first 2 shown]
	v_fma_f64 v[36:37], v[60:61], v[16:17], v[18:19]
	ds_read_b128 v[16:19], v30 offset:8464
	v_add_f64 v[60:61], v[32:33], v[44:45]
	s_waitcnt lgkmcnt(2)
	v_mul_f64 v[22:23], v[14:15], v[10:11]
	s_waitcnt lgkmcnt(1)
	v_mul_f64 v[32:33], v[14:15], v[6:7]
	v_add_f64 v[62:63], v[0:1], v[26:27]
	v_mul_f64 v[40:41], v[12:13], v[10:11]
	v_mul_f64 v[26:27], v[12:13], v[6:7]
	v_add_f64 v[58:59], v[20:21], v[34:35]
	s_waitcnt lgkmcnt(0)
	v_mul_f64 v[34:35], v[18:19], v[10:11]
	v_mul_f64 v[10:11], v[16:17], v[10:11]
	v_fma_f64 v[0:1], v[12:13], v[8:9], -v[22:23]
	v_fma_f64 v[12:13], v[12:13], v[4:5], -v[32:33]
	v_add_f64 v[22:23], v[36:37], v[56:57]
	v_fma_f64 v[20:21], v[14:15], v[8:9], v[40:41]
	v_fma_f64 v[14:15], v[14:15], v[4:5], v[26:27]
	v_mul_f64 v[32:33], v[18:19], v[6:7]
	v_fma_f64 v[34:35], v[16:17], v[8:9], -v[34:35]
	v_add_f64 v[0:1], v[52:53], v[0:1]
	v_add_f64 v[36:37], v[50:51], v[12:13]
	v_mul_f64 v[12:13], v[16:17], v[6:7]
	v_add_f64 v[20:21], v[20:21], v[54:55]
	v_add_f64 v[38:39], v[14:15], v[28:29]
	v_fma_f64 v[14:15], v[18:19], v[8:9], v[10:11]
	ds_read_b128 v[8:11], v30 offset:288
	ds_read_b128 v[26:29], v24 offset:9216
	v_fma_f64 v[16:17], v[16:17], v[4:5], -v[32:33]
	v_add_f64 v[6:7], v[62:63], v[34:35]
	ds_read_b128 v[32:35], v24 offset:9472
	ds_read_b128 v[54:57], v30 offset:8480
	v_fma_f64 v[4:5], v[18:19], v[4:5], v[12:13]
	s_waitcnt lgkmcnt(2)
	v_mul_f64 v[18:19], v[10:11], v[28:29]
	v_mul_f64 v[40:41], v[8:9], v[28:29]
	v_add_f64 v[42:43], v[14:15], v[60:61]
	s_waitcnt lgkmcnt(1)
	v_mul_f64 v[14:15], v[10:11], v[34:35]
	v_add_f64 v[44:45], v[58:59], v[16:17]
	v_mul_f64 v[16:17], v[8:9], v[34:35]
	v_add_f64 v[12:13], v[4:5], v[22:23]
	v_fma_f64 v[4:5], v[8:9], v[26:27], -v[18:19]
	v_fma_f64 v[18:19], v[10:11], v[26:27], v[40:41]
	s_waitcnt lgkmcnt(0)
	v_mul_f64 v[22:23], v[56:57], v[28:29]
	v_mul_f64 v[28:29], v[54:55], v[28:29]
	v_fma_f64 v[8:9], v[8:9], v[32:33], -v[14:15]
	v_fma_f64 v[10:11], v[10:11], v[32:33], v[16:17]
	v_add_f64 v[16:17], v[0:1], v[4:5]
	v_add_f64 v[14:15], v[18:19], v[20:21]
	v_fma_f64 v[0:1], v[54:55], v[26:27], -v[22:23]
	v_mul_f64 v[20:21], v[56:57], v[34:35]
	v_mul_f64 v[22:23], v[54:55], v[34:35]
	v_fma_f64 v[34:35], v[56:57], v[26:27], v[28:29]
	v_add_f64 v[18:19], v[36:37], v[8:9]
	v_add_f64 v[50:51], v[10:11], v[38:39]
	ds_read_b128 v[26:29], v30 offset:304
	ds_read_b128 v[8:11], v24 offset:9728
	v_add_f64 v[52:53], v[6:7], v[0:1]
	v_fma_f64 v[0:1], v[54:55], v[32:33], -v[20:21]
	ds_read_b128 v[4:7], v24 offset:9984
	v_fma_f64 v[58:59], v[56:57], v[32:33], v[22:23]
	v_add_f64 v[56:57], v[34:35], v[42:43]
	ds_read_b128 v[34:37], v30 offset:8496
	s_waitcnt lgkmcnt(2)
	v_mul_f64 v[20:21], v[28:29], v[10:11]
	v_mul_f64 v[22:23], v[26:27], v[10:11]
	s_waitcnt lgkmcnt(1)
	v_mul_f64 v[38:39], v[28:29], v[6:7]
	v_add_f64 v[54:55], v[44:45], v[0:1]
	s_waitcnt lgkmcnt(0)
	v_mul_f64 v[0:1], v[36:37], v[10:11]
	v_mul_f64 v[10:11], v[34:35], v[10:11]
	;; [unrolled: 1-line block ×3, first 2 shown]
	v_add_f64 v[12:13], v[58:59], v[12:13]
	v_fma_f64 v[32:33], v[26:27], v[8:9], -v[20:21]
	v_fma_f64 v[22:23], v[28:29], v[8:9], v[22:23]
	v_fma_f64 v[26:27], v[26:27], v[4:5], -v[38:39]
	v_fma_f64 v[0:1], v[34:35], v[8:9], -v[0:1]
	v_fma_f64 v[10:11], v[36:37], v[8:9], v[10:11]
	v_mul_f64 v[8:9], v[36:37], v[6:7]
	v_mul_f64 v[6:7], v[34:35], v[6:7]
	v_fma_f64 v[28:29], v[28:29], v[4:5], v[40:41]
	v_add_f64 v[32:33], v[16:17], v[32:33]
	v_add_f64 v[14:15], v[22:23], v[14:15]
	;; [unrolled: 1-line block ×5, first 2 shown]
	v_fma_f64 v[20:21], v[34:35], v[4:5], -v[8:9]
	v_fma_f64 v[38:39], v[36:37], v[4:5], v[6:7]
	ds_read_b128 v[6:9], v30 offset:320
	ds_read_b128 v[34:37], v24 offset:10240
	;; [unrolled: 1-line block ×4, first 2 shown]
	v_add_f64 v[4:5], v[28:29], v[50:51]
	s_waitcnt lgkmcnt(2)
	v_mul_f64 v[42:43], v[6:7], v[36:37]
	v_mul_f64 v[40:41], v[8:9], v[36:37]
	s_waitcnt lgkmcnt(1)
	v_mul_f64 v[28:29], v[8:9], v[18:19]
	v_add_f64 v[56:57], v[38:39], v[12:13]
	v_mul_f64 v[12:13], v[6:7], v[18:19]
	v_add_f64 v[20:21], v[54:55], v[20:21]
	v_fma_f64 v[10:11], v[8:9], v[34:35], v[42:43]
	v_fma_f64 v[26:27], v[6:7], v[34:35], -v[40:41]
	v_fma_f64 v[6:7], v[6:7], v[16:17], -v[28:29]
	v_fma_f64 v[28:29], v[8:9], v[16:17], v[12:13]
	v_add_f64 v[54:55], v[10:11], v[14:15]
	s_waitcnt lgkmcnt(0)
	v_mul_f64 v[10:11], v[58:59], v[36:37]
	v_add_f64 v[52:53], v[32:33], v[26:27]
	v_mul_f64 v[26:27], v[60:61], v[36:37]
	v_mul_f64 v[14:15], v[60:61], v[18:19]
	;; [unrolled: 1-line block ×3, first 2 shown]
	v_add_f64 v[50:51], v[22:23], v[6:7]
	v_add_f64 v[28:29], v[28:29], v[4:5]
	v_fma_f64 v[32:33], v[60:61], v[34:35], v[10:11]
	v_fma_f64 v[26:27], v[58:59], v[34:35], -v[26:27]
	v_fma_f64 v[34:35], v[58:59], v[16:17], -v[14:15]
	ds_read_b128 v[12:15], v30 offset:336
	ds_read_b128 v[8:11], v24 offset:10752
	ds_read_b128 v[4:7], v24 offset:11008
	v_fma_f64 v[36:37], v[60:61], v[16:17], v[18:19]
	ds_read_b128 v[16:19], v30 offset:8528
	v_add_f64 v[60:61], v[32:33], v[44:45]
	s_waitcnt lgkmcnt(2)
	v_mul_f64 v[22:23], v[14:15], v[10:11]
	s_waitcnt lgkmcnt(1)
	v_mul_f64 v[32:33], v[14:15], v[6:7]
	v_add_f64 v[62:63], v[0:1], v[26:27]
	v_mul_f64 v[40:41], v[12:13], v[10:11]
	v_mul_f64 v[26:27], v[12:13], v[6:7]
	v_add_f64 v[58:59], v[20:21], v[34:35]
	s_waitcnt lgkmcnt(0)
	v_mul_f64 v[34:35], v[18:19], v[10:11]
	v_mul_f64 v[10:11], v[16:17], v[10:11]
	v_fma_f64 v[0:1], v[12:13], v[8:9], -v[22:23]
	v_fma_f64 v[12:13], v[12:13], v[4:5], -v[32:33]
	v_add_f64 v[22:23], v[36:37], v[56:57]
	v_fma_f64 v[20:21], v[14:15], v[8:9], v[40:41]
	v_fma_f64 v[14:15], v[14:15], v[4:5], v[26:27]
	v_mul_f64 v[32:33], v[18:19], v[6:7]
	v_fma_f64 v[34:35], v[16:17], v[8:9], -v[34:35]
	v_add_f64 v[0:1], v[52:53], v[0:1]
	v_add_f64 v[36:37], v[50:51], v[12:13]
	v_mul_f64 v[12:13], v[16:17], v[6:7]
	v_add_f64 v[20:21], v[20:21], v[54:55]
	v_add_f64 v[38:39], v[14:15], v[28:29]
	v_fma_f64 v[14:15], v[18:19], v[8:9], v[10:11]
	ds_read_b128 v[8:11], v30 offset:352
	ds_read_b128 v[26:29], v24 offset:11264
	v_fma_f64 v[16:17], v[16:17], v[4:5], -v[32:33]
	v_add_f64 v[6:7], v[62:63], v[34:35]
	ds_read_b128 v[32:35], v24 offset:11520
	ds_read_b128 v[54:57], v30 offset:8544
	v_fma_f64 v[4:5], v[18:19], v[4:5], v[12:13]
	s_waitcnt lgkmcnt(2)
	v_mul_f64 v[18:19], v[10:11], v[28:29]
	v_mul_f64 v[40:41], v[8:9], v[28:29]
	v_add_f64 v[42:43], v[14:15], v[60:61]
	s_waitcnt lgkmcnt(1)
	v_mul_f64 v[14:15], v[10:11], v[34:35]
	v_add_f64 v[44:45], v[58:59], v[16:17]
	v_mul_f64 v[16:17], v[8:9], v[34:35]
	v_add_f64 v[12:13], v[4:5], v[22:23]
	v_fma_f64 v[4:5], v[8:9], v[26:27], -v[18:19]
	v_fma_f64 v[18:19], v[10:11], v[26:27], v[40:41]
	s_waitcnt lgkmcnt(0)
	v_mul_f64 v[22:23], v[56:57], v[28:29]
	v_mul_f64 v[28:29], v[54:55], v[28:29]
	v_fma_f64 v[8:9], v[8:9], v[32:33], -v[14:15]
	v_fma_f64 v[10:11], v[10:11], v[32:33], v[16:17]
	v_add_f64 v[16:17], v[0:1], v[4:5]
	v_add_f64 v[14:15], v[18:19], v[20:21]
	v_fma_f64 v[0:1], v[54:55], v[26:27], -v[22:23]
	v_mul_f64 v[20:21], v[56:57], v[34:35]
	v_mul_f64 v[22:23], v[54:55], v[34:35]
	v_fma_f64 v[34:35], v[56:57], v[26:27], v[28:29]
	v_add_f64 v[18:19], v[36:37], v[8:9]
	v_add_f64 v[50:51], v[10:11], v[38:39]
	ds_read_b128 v[26:29], v30 offset:368
	ds_read_b128 v[8:11], v24 offset:11776
	v_add_f64 v[52:53], v[6:7], v[0:1]
	v_fma_f64 v[0:1], v[54:55], v[32:33], -v[20:21]
	ds_read_b128 v[4:7], v24 offset:12032
	v_fma_f64 v[58:59], v[56:57], v[32:33], v[22:23]
	v_add_f64 v[56:57], v[34:35], v[42:43]
	ds_read_b128 v[34:37], v30 offset:8560
	s_waitcnt lgkmcnt(2)
	v_mul_f64 v[20:21], v[28:29], v[10:11]
	v_mul_f64 v[22:23], v[26:27], v[10:11]
	s_waitcnt lgkmcnt(1)
	v_mul_f64 v[38:39], v[28:29], v[6:7]
	v_add_f64 v[54:55], v[44:45], v[0:1]
	s_waitcnt lgkmcnt(0)
	v_mul_f64 v[0:1], v[36:37], v[10:11]
	v_mul_f64 v[10:11], v[34:35], v[10:11]
	v_mul_f64 v[40:41], v[26:27], v[6:7]
	v_add_f64 v[12:13], v[58:59], v[12:13]
	v_fma_f64 v[32:33], v[26:27], v[8:9], -v[20:21]
	v_fma_f64 v[22:23], v[28:29], v[8:9], v[22:23]
	v_fma_f64 v[26:27], v[26:27], v[4:5], -v[38:39]
	v_fma_f64 v[0:1], v[34:35], v[8:9], -v[0:1]
	v_fma_f64 v[10:11], v[36:37], v[8:9], v[10:11]
	v_mul_f64 v[8:9], v[36:37], v[6:7]
	v_mul_f64 v[6:7], v[34:35], v[6:7]
	v_fma_f64 v[28:29], v[28:29], v[4:5], v[40:41]
	v_add_f64 v[32:33], v[16:17], v[32:33]
	v_add_f64 v[14:15], v[22:23], v[14:15]
	;; [unrolled: 1-line block ×5, first 2 shown]
	v_fma_f64 v[20:21], v[34:35], v[4:5], -v[8:9]
	v_fma_f64 v[38:39], v[36:37], v[4:5], v[6:7]
	ds_read_b128 v[6:9], v30 offset:384
	ds_read_b128 v[34:37], v24 offset:12288
	;; [unrolled: 1-line block ×4, first 2 shown]
	v_add_f64 v[4:5], v[28:29], v[50:51]
	s_waitcnt lgkmcnt(2)
	v_mul_f64 v[42:43], v[6:7], v[36:37]
	v_mul_f64 v[40:41], v[8:9], v[36:37]
	s_waitcnt lgkmcnt(1)
	v_mul_f64 v[28:29], v[8:9], v[18:19]
	v_add_f64 v[56:57], v[38:39], v[12:13]
	v_mul_f64 v[12:13], v[6:7], v[18:19]
	v_add_f64 v[20:21], v[54:55], v[20:21]
	v_fma_f64 v[10:11], v[8:9], v[34:35], v[42:43]
	v_fma_f64 v[26:27], v[6:7], v[34:35], -v[40:41]
	v_fma_f64 v[6:7], v[6:7], v[16:17], -v[28:29]
	v_fma_f64 v[28:29], v[8:9], v[16:17], v[12:13]
	v_add_f64 v[54:55], v[10:11], v[14:15]
	s_waitcnt lgkmcnt(0)
	v_mul_f64 v[10:11], v[58:59], v[36:37]
	v_add_f64 v[52:53], v[32:33], v[26:27]
	v_mul_f64 v[26:27], v[60:61], v[36:37]
	v_mul_f64 v[14:15], v[60:61], v[18:19]
	;; [unrolled: 1-line block ×3, first 2 shown]
	v_add_f64 v[50:51], v[22:23], v[6:7]
	v_add_f64 v[28:29], v[28:29], v[4:5]
	v_fma_f64 v[32:33], v[60:61], v[34:35], v[10:11]
	v_fma_f64 v[26:27], v[58:59], v[34:35], -v[26:27]
	v_fma_f64 v[34:35], v[58:59], v[16:17], -v[14:15]
	ds_read_b128 v[12:15], v30 offset:400
	ds_read_b128 v[8:11], v24 offset:12800
	;; [unrolled: 1-line block ×3, first 2 shown]
	v_fma_f64 v[36:37], v[60:61], v[16:17], v[18:19]
	ds_read_b128 v[16:19], v30 offset:8592
	v_add_f64 v[60:61], v[32:33], v[44:45]
	s_waitcnt lgkmcnt(2)
	v_mul_f64 v[22:23], v[14:15], v[10:11]
	s_waitcnt lgkmcnt(1)
	v_mul_f64 v[32:33], v[14:15], v[6:7]
	v_add_f64 v[62:63], v[0:1], v[26:27]
	v_mul_f64 v[40:41], v[12:13], v[10:11]
	v_mul_f64 v[26:27], v[12:13], v[6:7]
	v_add_f64 v[58:59], v[20:21], v[34:35]
	s_waitcnt lgkmcnt(0)
	v_mul_f64 v[34:35], v[18:19], v[10:11]
	v_mul_f64 v[10:11], v[16:17], v[10:11]
	v_fma_f64 v[0:1], v[12:13], v[8:9], -v[22:23]
	v_fma_f64 v[12:13], v[12:13], v[4:5], -v[32:33]
	v_add_f64 v[22:23], v[36:37], v[56:57]
	v_fma_f64 v[20:21], v[14:15], v[8:9], v[40:41]
	v_fma_f64 v[14:15], v[14:15], v[4:5], v[26:27]
	v_mul_f64 v[32:33], v[18:19], v[6:7]
	v_fma_f64 v[34:35], v[16:17], v[8:9], -v[34:35]
	v_add_f64 v[0:1], v[52:53], v[0:1]
	v_add_f64 v[36:37], v[50:51], v[12:13]
	v_mul_f64 v[12:13], v[16:17], v[6:7]
	v_add_f64 v[20:21], v[20:21], v[54:55]
	v_add_f64 v[38:39], v[14:15], v[28:29]
	v_fma_f64 v[14:15], v[18:19], v[8:9], v[10:11]
	ds_read_b128 v[8:11], v30 offset:416
	ds_read_b128 v[26:29], v24 offset:13312
	v_fma_f64 v[16:17], v[16:17], v[4:5], -v[32:33]
	v_add_f64 v[6:7], v[62:63], v[34:35]
	ds_read_b128 v[32:35], v24 offset:13568
	ds_read_b128 v[54:57], v30 offset:8608
	v_fma_f64 v[4:5], v[18:19], v[4:5], v[12:13]
	s_waitcnt lgkmcnt(2)
	v_mul_f64 v[18:19], v[10:11], v[28:29]
	v_mul_f64 v[40:41], v[8:9], v[28:29]
	v_add_f64 v[42:43], v[14:15], v[60:61]
	s_waitcnt lgkmcnt(1)
	v_mul_f64 v[14:15], v[10:11], v[34:35]
	v_add_f64 v[44:45], v[58:59], v[16:17]
	v_mul_f64 v[16:17], v[8:9], v[34:35]
	v_add_f64 v[12:13], v[4:5], v[22:23]
	v_fma_f64 v[4:5], v[8:9], v[26:27], -v[18:19]
	v_fma_f64 v[18:19], v[10:11], v[26:27], v[40:41]
	s_waitcnt lgkmcnt(0)
	v_mul_f64 v[22:23], v[56:57], v[28:29]
	v_mul_f64 v[28:29], v[54:55], v[28:29]
	v_fma_f64 v[8:9], v[8:9], v[32:33], -v[14:15]
	v_fma_f64 v[10:11], v[10:11], v[32:33], v[16:17]
	v_add_f64 v[16:17], v[0:1], v[4:5]
	v_add_f64 v[14:15], v[18:19], v[20:21]
	v_fma_f64 v[0:1], v[54:55], v[26:27], -v[22:23]
	v_mul_f64 v[20:21], v[56:57], v[34:35]
	v_mul_f64 v[22:23], v[54:55], v[34:35]
	v_fma_f64 v[34:35], v[56:57], v[26:27], v[28:29]
	v_add_f64 v[18:19], v[36:37], v[8:9]
	v_add_f64 v[50:51], v[10:11], v[38:39]
	ds_read_b128 v[26:29], v30 offset:432
	ds_read_b128 v[8:11], v24 offset:13824
	v_add_f64 v[52:53], v[6:7], v[0:1]
	v_fma_f64 v[0:1], v[54:55], v[32:33], -v[20:21]
	ds_read_b128 v[4:7], v24 offset:14080
	v_fma_f64 v[58:59], v[56:57], v[32:33], v[22:23]
	v_add_f64 v[56:57], v[34:35], v[42:43]
	ds_read_b128 v[34:37], v30 offset:8624
	s_waitcnt lgkmcnt(2)
	v_mul_f64 v[20:21], v[28:29], v[10:11]
	v_mul_f64 v[22:23], v[26:27], v[10:11]
	s_waitcnt lgkmcnt(1)
	v_mul_f64 v[38:39], v[28:29], v[6:7]
	v_add_f64 v[54:55], v[44:45], v[0:1]
	s_waitcnt lgkmcnt(0)
	v_mul_f64 v[0:1], v[36:37], v[10:11]
	v_mul_f64 v[10:11], v[34:35], v[10:11]
	;; [unrolled: 1-line block ×3, first 2 shown]
	v_add_f64 v[12:13], v[58:59], v[12:13]
	v_fma_f64 v[32:33], v[26:27], v[8:9], -v[20:21]
	v_fma_f64 v[22:23], v[28:29], v[8:9], v[22:23]
	v_fma_f64 v[26:27], v[26:27], v[4:5], -v[38:39]
	v_fma_f64 v[0:1], v[34:35], v[8:9], -v[0:1]
	v_fma_f64 v[10:11], v[36:37], v[8:9], v[10:11]
	v_mul_f64 v[8:9], v[36:37], v[6:7]
	v_mul_f64 v[6:7], v[34:35], v[6:7]
	v_fma_f64 v[28:29], v[28:29], v[4:5], v[40:41]
	v_add_f64 v[32:33], v[16:17], v[32:33]
	v_add_f64 v[14:15], v[22:23], v[14:15]
	;; [unrolled: 1-line block ×5, first 2 shown]
	v_fma_f64 v[20:21], v[34:35], v[4:5], -v[8:9]
	v_fma_f64 v[38:39], v[36:37], v[4:5], v[6:7]
	ds_read_b128 v[6:9], v30 offset:448
	ds_read_b128 v[34:37], v24 offset:14336
	;; [unrolled: 1-line block ×4, first 2 shown]
	v_add_f64 v[4:5], v[28:29], v[50:51]
	s_waitcnt lgkmcnt(2)
	v_mul_f64 v[40:41], v[8:9], v[36:37]
	v_mul_f64 v[42:43], v[6:7], v[36:37]
	s_waitcnt lgkmcnt(1)
	v_mul_f64 v[28:29], v[8:9], v[18:19]
	v_add_f64 v[56:57], v[38:39], v[12:13]
	v_mul_f64 v[12:13], v[6:7], v[18:19]
	v_add_f64 v[20:21], v[54:55], v[20:21]
	v_fma_f64 v[26:27], v[6:7], v[34:35], -v[40:41]
	v_fma_f64 v[10:11], v[8:9], v[34:35], v[42:43]
	v_fma_f64 v[6:7], v[6:7], v[16:17], -v[28:29]
	v_fma_f64 v[28:29], v[8:9], v[16:17], v[12:13]
	v_add_f64 v[52:53], v[32:33], v[26:27]
	s_waitcnt lgkmcnt(0)
	v_mul_f64 v[26:27], v[60:61], v[36:37]
	v_add_f64 v[54:55], v[10:11], v[14:15]
	v_mul_f64 v[10:11], v[58:59], v[36:37]
	v_mul_f64 v[14:15], v[60:61], v[18:19]
	;; [unrolled: 1-line block ×3, first 2 shown]
	v_add_f64 v[50:51], v[22:23], v[6:7]
	v_add_f64 v[28:29], v[28:29], v[4:5]
	v_fma_f64 v[26:27], v[58:59], v[34:35], -v[26:27]
	v_fma_f64 v[32:33], v[60:61], v[34:35], v[10:11]
	v_fma_f64 v[34:35], v[58:59], v[16:17], -v[14:15]
	ds_read_b128 v[12:15], v30 offset:464
	ds_read_b128 v[8:11], v24 offset:14848
	;; [unrolled: 1-line block ×3, first 2 shown]
	v_fma_f64 v[36:37], v[60:61], v[16:17], v[18:19]
	ds_read_b128 v[16:19], v30 offset:8656
	v_add_f64 v[62:63], v[0:1], v[26:27]
	s_waitcnt lgkmcnt(2)
	v_mul_f64 v[22:23], v[14:15], v[10:11]
	v_mul_f64 v[40:41], v[12:13], v[10:11]
	v_add_f64 v[60:61], v[32:33], v[44:45]
	s_waitcnt lgkmcnt(1)
	v_mul_f64 v[32:33], v[14:15], v[6:7]
	v_mul_f64 v[26:27], v[12:13], v[6:7]
	;; [unrolled: 4-line block ×3, first 2 shown]
	v_fma_f64 v[0:1], v[12:13], v[8:9], -v[22:23]
	v_fma_f64 v[20:21], v[14:15], v[8:9], v[40:41]
	v_add_f64 v[22:23], v[36:37], v[56:57]
	v_fma_f64 v[12:13], v[12:13], v[4:5], -v[32:33]
	v_fma_f64 v[14:15], v[14:15], v[4:5], v[26:27]
	v_mul_f64 v[26:27], v[18:19], v[6:7]
	v_fma_f64 v[32:33], v[16:17], v[8:9], -v[34:35]
	v_mul_f64 v[34:35], v[16:17], v[6:7]
	v_fma_f64 v[40:41], v[18:19], v[8:9], v[10:11]
	v_add_f64 v[0:1], v[52:53], v[0:1]
	v_add_f64 v[20:21], v[20:21], v[54:55]
	v_add_f64 v[36:37], v[50:51], v[12:13]
	v_add_f64 v[38:39], v[14:15], v[28:29]
	ds_read_b128 v[8:11], v30 offset:480
	ds_read_b128 v[12:15], v24 offset:15360
	v_fma_f64 v[16:17], v[16:17], v[4:5], -v[26:27]
	ds_read_b128 v[26:29], v24 offset:15616
	v_fma_f64 v[4:5], v[18:19], v[4:5], v[34:35]
	v_add_f64 v[6:7], v[62:63], v[32:33]
	s_waitcnt lgkmcnt(1)
	v_mul_f64 v[18:19], v[10:11], v[14:15]
	ds_read_b128 v[32:35], v30 offset:8672
	s_waitcnt lgkmcnt(1)
	v_mul_f64 v[44:45], v[10:11], v[28:29]
	v_mul_f64 v[42:43], v[8:9], v[14:15]
	v_add_f64 v[58:59], v[58:59], v[16:17]
	v_mul_f64 v[16:17], v[8:9], v[28:29]
	v_add_f64 v[52:53], v[4:5], v[22:23]
	s_waitcnt lgkmcnt(0)
	v_mul_f64 v[22:23], v[34:35], v[14:15]
	v_fma_f64 v[4:5], v[8:9], v[12:13], -v[18:19]
	v_mul_f64 v[14:15], v[32:33], v[14:15]
	v_fma_f64 v[8:9], v[8:9], v[26:27], -v[44:45]
	v_fma_f64 v[18:19], v[10:11], v[12:13], v[42:43]
	v_add_f64 v[40:41], v[40:41], v[60:61]
	v_fma_f64 v[10:11], v[10:11], v[26:27], v[16:17]
	v_add_f64 v[16:17], v[0:1], v[4:5]
	v_fma_f64 v[0:1], v[32:33], v[12:13], -v[22:23]
	v_add_f64 v[50:51], v[36:37], v[8:9]
	v_mul_f64 v[36:37], v[34:35], v[28:29]
	v_mul_f64 v[28:29], v[32:33], v[28:29]
	v_fma_f64 v[12:13], v[34:35], v[12:13], v[14:15]
	v_add_f64 v[18:19], v[18:19], v[20:21]
	v_add_f64 v[56:57], v[10:11], v[38:39]
	ds_read_b128 v[20:23], v30 offset:496
	ds_read_b128 v[8:11], v24 offset:15872
	v_add_f64 v[60:61], v[6:7], v[0:1]
	ds_read_b128 v[4:7], v24 offset:16128
	v_fma_f64 v[0:1], v[32:33], v[26:27], -v[36:37]
	v_fma_f64 v[54:55], v[34:35], v[26:27], v[28:29]
	s_waitcnt lgkmcnt(1)
	v_mul_f64 v[26:27], v[22:23], v[10:11]
	v_mul_f64 v[32:33], v[20:21], v[10:11]
	v_add_f64 v[28:29], v[12:13], v[40:41]
	ds_read_b128 v[12:15], v30 offset:8688
	s_waitcnt lgkmcnt(1)
	v_mul_f64 v[34:35], v[22:23], v[6:7]
	v_mul_f64 v[36:37], v[20:21], v[6:7]
	v_add_f64 v[62:63], v[58:59], v[0:1]
	v_fma_f64 v[0:1], v[20:21], v[8:9], -v[26:27]
	v_fma_f64 v[26:27], v[22:23], v[8:9], v[32:33]
	s_waitcnt lgkmcnt(0)
	v_mul_f64 v[32:33], v[14:15], v[10:11]
	v_mul_f64 v[10:11], v[12:13], v[10:11]
	v_fma_f64 v[20:21], v[20:21], v[4:5], -v[34:35]
	v_fma_f64 v[22:23], v[22:23], v[4:5], v[36:37]
	v_add_f64 v[34:35], v[54:55], v[52:53]
	v_add_f64 v[58:59], v[26:27], v[18:19]
	v_fma_f64 v[32:33], v[12:13], v[8:9], -v[32:33]
	v_fma_f64 v[8:9], v[14:15], v[8:9], v[10:11]
	v_add_f64 v[54:55], v[50:51], v[20:21]
	v_add_f64 v[56:57], v[22:23], v[56:57]
	buffer_load_dword v22, off, s[60:63], 0 offset:24 ; 4-byte Folded Reload
	buffer_load_dword v23, off, s[60:63], 0 offset:28 ; 4-byte Folded Reload
	s_waitcnt vmcnt(0)
	s_barrier
	buffer_load_dword v20, off, s[60:63], 0 offset:16 ; 4-byte Folded Reload
	buffer_load_dword v21, off, s[60:63], 0 offset:20 ; 4-byte Folded Reload
	v_mul_f64 v[10:11], v[14:15], v[6:7]
	v_mul_f64 v[6:7], v[12:13], v[6:7]
	v_add_f64 v[18:19], v[60:61], v[32:33]
	v_add_f64 v[52:53], v[8:9], v[28:29]
	v_fma_f64 v[10:11], v[12:13], v[4:5], -v[10:11]
	v_fma_f64 v[4:5], v[14:15], v[4:5], v[6:7]
	v_add_f64 v[6:7], v[16:17], v[0:1]
	v_mov_b32_e32 v0, s51
	v_add_f64 v[16:17], v[62:63], v[10:11]
	v_add_f64 v[50:51], v[4:5], v[34:35]
	s_waitcnt vmcnt(1)
	v_add_co_u32_e32 v20, vcc, s45, v20
	s_waitcnt vmcnt(0)
	v_addc_co_u32_e32 v21, vcc, 0, v21, vcc
	v_add_co_u32_e32 v48, vcc, s50, v48
	v_addc_co_u32_e32 v49, vcc, v49, v0, vcc
	v_add_co_u32_e32 v46, vcc, s50, v46
	;; [unrolled: 2-line block ×3, first 2 shown]
	v_addc_co_u32_e32 v23, vcc, 0, v23, vcc
	s_cbranch_scc1 .LBB108_55
.LBB108_7:                              ;   Parent Loop BB108_4 Depth=1
                                        ; =>  This Inner Loop Header: Depth=2
	buffer_load_dword v1, off, s[60:63], 0 offset:32 ; 4-byte Folded Reload
	v_mov_b32_e32 v0, s21
	s_waitcnt vmcnt(0)
	v_add_co_u32_e32 v8, vcc, s20, v1
	v_addc_co_u32_e32 v9, vcc, 0, v0, vcc
	buffer_load_dword v0, off, s[60:63], 0  ; 4-byte Folded Reload
	buffer_load_dword v1, off, s[60:63], 0 offset:4 ; 4-byte Folded Reload
	v_cmp_le_i64_e64 s[12:13], s[42:43], v[8:9]
	s_waitcnt vmcnt(1)
	v_add_co_u32_e32 v10, vcc, v46, v0
	s_waitcnt vmcnt(0)
	v_addc_co_u32_e32 v11, vcc, v47, v1, vcc
	buffer_load_dword v0, off, s[60:63], 0 offset:48 ; 4-byte Folded Reload
	buffer_load_dword v1, off, s[60:63], 0 offset:52 ; 4-byte Folded Reload
	s_waitcnt vmcnt(0)
	v_cmp_eq_u64_e64 s[16:17], s[20:21], v[0:1]
	buffer_load_dword v0, off, s[60:63], 0 offset:8 ; 4-byte Folded Reload
	buffer_load_dword v1, off, s[60:63], 0 offset:12 ; 4-byte Folded Reload
	s_and_b64 s[26:27], s[40:41], s[16:17]
	s_waitcnt vmcnt(0)
	v_cmp_gt_i64_e32 vcc, v[8:9], v[0:1]
	s_or_b64 s[16:17], s[12:13], vcc
	s_or_b64 s[16:17], s[16:17], s[26:27]
	s_nor_b64 s[16:17], s[0:1], s[16:17]
	s_and_saveexec_b64 s[18:19], s[16:17]
	s_xor_b64 s[16:17], exec, s[18:19]
	s_cbranch_execz .LBB108_9
; %bb.8:                                ;   in Loop: Header=BB108_7 Depth=2
	global_load_dwordx4 v[12:15], v[10:11], off offset:-256
	s_waitcnt vmcnt(0)
	ds_write2_b64 v25, v[12:13], v[14:15] offset1:1
.LBB108_9:                              ;   in Loop: Header=BB108_7 Depth=2
	s_or_saveexec_b64 s[16:17], s[16:17]
	s_xor_b64 s[22:23], s[26:27], -1
	s_xor_b64 exec, exec, s[16:17]
	s_cbranch_execz .LBB108_15
; %bb.10:                               ;   in Loop: Header=BB108_7 Depth=2
	s_and_saveexec_b64 s[18:19], s[22:23]
	s_xor_b64 s[18:19], exec, s[18:19]
; %bb.11:                               ;   in Loop: Header=BB108_7 Depth=2
	v_mov_b32_e32 v12, v2
	v_mov_b32_e32 v13, v2
	;; [unrolled: 1-line block ×4, first 2 shown]
	ds_write_b128 v25, v[12:15]
; %bb.12:                               ;   in Loop: Header=BB108_7 Depth=2
	s_andn2_saveexec_b64 s[18:19], s[18:19]
; %bb.13:                               ;   in Loop: Header=BB108_7 Depth=2
	v_mov_b32_e32 v4, v2
	v_mov_b32_e32 v5, v2
	ds_write_b128 v25, v[2:5]
; %bb.14:                               ;   in Loop: Header=BB108_7 Depth=2
	s_or_b64 exec, exec, s[18:19]
.LBB108_15:                             ;   in Loop: Header=BB108_7 Depth=2
	s_or_b64 exec, exec, s[16:17]
	buffer_load_dword v0, off, s[60:63], 0 offset:56 ; 4-byte Folded Reload
	buffer_load_dword v1, off, s[60:63], 0 offset:60 ; 4-byte Folded Reload
	s_waitcnt vmcnt(0)
	v_cmp_eq_u64_e64 s[16:17], s[20:21], v[0:1]
	buffer_load_dword v0, off, s[60:63], 0 offset:40 ; 4-byte Folded Reload
	buffer_load_dword v1, off, s[60:63], 0 offset:44 ; 4-byte Folded Reload
	s_and_b64 s[16:17], s[40:41], s[16:17]
	s_waitcnt vmcnt(0)
	v_cmp_lt_i64_e64 s[18:19], v[0:1], v[8:9]
	s_or_b64 s[12:13], s[12:13], s[18:19]
	s_or_b64 s[12:13], s[12:13], s[16:17]
	s_nor_b64 s[12:13], s[2:3], s[12:13]
	s_and_saveexec_b64 s[18:19], s[12:13]
	s_xor_b64 s[12:13], exec, s[18:19]
	s_cbranch_execz .LBB108_17
; %bb.16:                               ;   in Loop: Header=BB108_7 Depth=2
	global_load_dwordx4 v[10:13], v[10:11], off
	v_add_u32_e32 v0, 0x100, v25
	s_waitcnt vmcnt(0)
	ds_write2_b64 v0, v[10:11], v[12:13] offset1:1
.LBB108_17:                             ;   in Loop: Header=BB108_7 Depth=2
	s_andn2_saveexec_b64 s[12:13], s[12:13]
	s_cbranch_execz .LBB108_23
; %bb.18:                               ;   in Loop: Header=BB108_7 Depth=2
	s_xor_b64 s[16:17], s[16:17], -1
	s_and_saveexec_b64 s[18:19], s[16:17]
	s_xor_b64 s[16:17], exec, s[18:19]
; %bb.19:                               ;   in Loop: Header=BB108_7 Depth=2
	v_mov_b32_e32 v10, v2
	v_mov_b32_e32 v11, v2
	;; [unrolled: 1-line block ×4, first 2 shown]
	ds_write_b128 v25, v[10:13] offset:256
; %bb.20:                               ;   in Loop: Header=BB108_7 Depth=2
	s_andn2_saveexec_b64 s[16:17], s[16:17]
; %bb.21:                               ;   in Loop: Header=BB108_7 Depth=2
	v_mov_b32_e32 v4, v2
	v_mov_b32_e32 v5, v2
	ds_write_b128 v25, v[2:5] offset:256
; %bb.22:                               ;   in Loop: Header=BB108_7 Depth=2
	s_or_b64 exec, exec, s[16:17]
.LBB108_23:                             ;   in Loop: Header=BB108_7 Depth=2
	s_or_b64 exec, exec, s[12:13]
	buffer_load_dword v0, off, s[60:63], 0  ; 4-byte Folded Reload
	buffer_load_dword v1, off, s[60:63], 0 offset:4 ; 4-byte Folded Reload
	v_add_co_u32_e64 v4, s[12:13], 16, v8
	v_addc_co_u32_e64 v5, s[12:13], 0, v9, s[12:13]
	v_cmp_le_i64_e64 s[12:13], s[42:43], v[4:5]
	s_waitcnt vmcnt(1)
	v_add_co_u32_e64 v8, s[16:17], v48, v0
	s_waitcnt vmcnt(0)
	v_addc_co_u32_e64 v9, s[16:17], v49, v1, s[16:17]
	buffer_load_dword v0, off, s[60:63], 0 offset:64 ; 4-byte Folded Reload
	buffer_load_dword v1, off, s[60:63], 0 offset:68 ; 4-byte Folded Reload
	s_waitcnt vmcnt(0)
	v_cmp_eq_u64_e64 s[16:17], s[20:21], v[0:1]
	buffer_load_dword v0, off, s[60:63], 0 offset:8 ; 4-byte Folded Reload
	buffer_load_dword v1, off, s[60:63], 0 offset:12 ; 4-byte Folded Reload
	s_and_b64 s[38:39], s[40:41], s[16:17]
	s_waitcnt vmcnt(0)
	v_cmp_gt_i64_e64 s[18:19], v[4:5], v[0:1]
	s_or_b64 s[16:17], s[12:13], s[18:19]
	s_or_b64 s[16:17], s[16:17], s[38:39]
	s_nor_b64 s[16:17], s[0:1], s[16:17]
	s_and_saveexec_b64 s[18:19], s[16:17]
	s_xor_b64 s[16:17], exec, s[18:19]
	s_cbranch_execz .LBB108_25
; %bb.24:                               ;   in Loop: Header=BB108_7 Depth=2
	global_load_dwordx4 v[10:13], v[8:9], off offset:-256
	v_add_u32_e32 v0, 0x2000, v25
	s_waitcnt vmcnt(0)
	ds_write2_b64 v0, v[10:11], v[12:13] offset1:1
.LBB108_25:                             ;   in Loop: Header=BB108_7 Depth=2
	s_andn2_saveexec_b64 s[16:17], s[16:17]
	s_cbranch_execz .LBB108_31
; %bb.26:                               ;   in Loop: Header=BB108_7 Depth=2
	s_xor_b64 s[18:19], s[38:39], -1
	s_and_saveexec_b64 s[38:39], s[18:19]
	s_xor_b64 s[18:19], exec, s[38:39]
; %bb.27:                               ;   in Loop: Header=BB108_7 Depth=2
	v_mov_b32_e32 v10, v2
	v_mov_b32_e32 v11, v2
	;; [unrolled: 1-line block ×4, first 2 shown]
	ds_write_b128 v25, v[10:13] offset:8192
; %bb.28:                               ;   in Loop: Header=BB108_7 Depth=2
	s_andn2_saveexec_b64 s[18:19], s[18:19]
; %bb.29:                               ;   in Loop: Header=BB108_7 Depth=2
	v_mov_b32_e32 v4, v2
	v_mov_b32_e32 v5, v2
	ds_write_b128 v25, v[2:5] offset:8192
; %bb.30:                               ;   in Loop: Header=BB108_7 Depth=2
	s_or_b64 exec, exec, s[18:19]
.LBB108_31:                             ;   in Loop: Header=BB108_7 Depth=2
	s_or_b64 exec, exec, s[16:17]
	s_or_b64 s[12:13], s[12:13], vcc
	s_or_b64 s[12:13], s[12:13], s[26:27]
	s_nor_b64 s[12:13], s[2:3], s[12:13]
	s_and_saveexec_b64 s[16:17], s[12:13]
	s_xor_b64 s[12:13], exec, s[16:17]
	s_cbranch_execz .LBB108_33
; %bb.32:                               ;   in Loop: Header=BB108_7 Depth=2
	global_load_dwordx4 v[8:11], v[8:9], off
	v_add_u32_e32 v0, 0x2100, v25
	s_waitcnt vmcnt(0)
	ds_write2_b64 v0, v[8:9], v[10:11] offset1:1
.LBB108_33:                             ;   in Loop: Header=BB108_7 Depth=2
	s_andn2_saveexec_b64 s[12:13], s[12:13]
	s_cbranch_execz .LBB108_39
; %bb.34:                               ;   in Loop: Header=BB108_7 Depth=2
	s_and_saveexec_b64 s[16:17], s[22:23]
	s_xor_b64 s[16:17], exec, s[16:17]
; %bb.35:                               ;   in Loop: Header=BB108_7 Depth=2
	v_mov_b32_e32 v8, v2
	v_mov_b32_e32 v9, v2
	v_mov_b32_e32 v10, v2
	v_mov_b32_e32 v11, v2
	ds_write_b128 v25, v[8:11] offset:8448
; %bb.36:                               ;   in Loop: Header=BB108_7 Depth=2
	s_andn2_saveexec_b64 s[16:17], s[16:17]
; %bb.37:                               ;   in Loop: Header=BB108_7 Depth=2
	v_mov_b32_e32 v4, v2
	v_mov_b32_e32 v5, v2
	ds_write_b128 v25, v[2:5] offset:8448
; %bb.38:                               ;   in Loop: Header=BB108_7 Depth=2
	s_or_b64 exec, exec, s[16:17]
.LBB108_39:                             ;   in Loop: Header=BB108_7 Depth=2
	s_or_b64 exec, exec, s[12:13]
	buffer_load_dword v1, off, s[60:63], 0 offset:36 ; 4-byte Folded Reload
	v_mov_b32_e32 v0, s21
	s_waitcnt vmcnt(0)
	v_add_co_u32_e32 v4, vcc, s20, v1
	v_addc_co_u32_e32 v5, vcc, 0, v0, vcc
	v_cmp_gt_i64_e32 vcc, s[42:43], v[4:5]
	s_and_b64 s[12:13], s[8:9], vcc
	s_xor_b64 s[12:13], s[12:13], -1
	s_and_saveexec_b64 s[16:17], s[12:13]
	s_xor_b64 s[12:13], exec, s[16:17]
; %bb.40:                               ;   in Loop: Header=BB108_7 Depth=2
	v_mov_b32_e32 v8, v2
	v_mov_b32_e32 v9, v2
	;; [unrolled: 1-line block ×4, first 2 shown]
	ds_write_b128 v31, v[8:11]
; %bb.41:                               ;   in Loop: Header=BB108_7 Depth=2
	s_andn2_saveexec_b64 s[12:13], s[12:13]
	s_cbranch_execz .LBB108_43
; %bb.42:                               ;   in Loop: Header=BB108_7 Depth=2
	global_load_dwordx4 v[8:11], v[20:21], off offset:-256
	s_waitcnt vmcnt(0)
	ds_write2_b64 v31, v[8:9], v[10:11] offset1:1
.LBB108_43:                             ;   in Loop: Header=BB108_7 Depth=2
	s_or_b64 exec, exec, s[12:13]
	v_cmp_gt_i64_e64 s[12:13], s[52:53], v[4:5]
	s_and_b64 s[16:17], s[8:9], s[12:13]
	s_xor_b64 s[16:17], s[16:17], -1
	s_and_saveexec_b64 s[18:19], s[16:17]
	s_xor_b64 s[16:17], exec, s[18:19]
; %bb.44:                               ;   in Loop: Header=BB108_7 Depth=2
	v_mov_b32_e32 v8, v2
	v_mov_b32_e32 v9, v2
	;; [unrolled: 1-line block ×4, first 2 shown]
	ds_write_b128 v31, v[8:11] offset:256
; %bb.45:                               ;   in Loop: Header=BB108_7 Depth=2
	s_andn2_saveexec_b64 s[16:17], s[16:17]
	s_cbranch_execz .LBB108_47
; %bb.46:                               ;   in Loop: Header=BB108_7 Depth=2
	global_load_dwordx4 v[8:11], v[20:21], off
	v_add_u32_e32 v0, 0x100, v31
	s_waitcnt vmcnt(0)
	ds_write2_b64 v0, v[8:9], v[10:11] offset1:1
.LBB108_47:                             ;   in Loop: Header=BB108_7 Depth=2
	s_or_b64 exec, exec, s[16:17]
	s_and_b64 s[16:17], s[10:11], vcc
	s_xor_b64 s[16:17], s[16:17], -1
	s_and_saveexec_b64 s[18:19], s[16:17]
	s_xor_b64 s[16:17], exec, s[18:19]
; %bb.48:                               ;   in Loop: Header=BB108_7 Depth=2
	v_mov_b32_e32 v8, v2
	v_mov_b32_e32 v9, v2
	;; [unrolled: 1-line block ×4, first 2 shown]
	ds_write_b128 v31, v[8:11] offset:8192
; %bb.49:                               ;   in Loop: Header=BB108_7 Depth=2
	s_andn2_saveexec_b64 s[16:17], s[16:17]
	s_cbranch_execz .LBB108_51
; %bb.50:                               ;   in Loop: Header=BB108_7 Depth=2
	global_load_dwordx4 v[8:11], v[22:23], off offset:-256
	v_add_u32_e32 v0, 0x2000, v31
	s_waitcnt vmcnt(0)
	ds_write2_b64 v0, v[8:9], v[10:11] offset1:1
.LBB108_51:                             ;   in Loop: Header=BB108_7 Depth=2
	s_or_b64 exec, exec, s[16:17]
	s_and_b64 s[12:13], s[10:11], s[12:13]
	s_xor_b64 s[12:13], s[12:13], -1
	s_and_saveexec_b64 s[16:17], s[12:13]
	s_xor_b64 s[12:13], exec, s[16:17]
; %bb.52:                               ;   in Loop: Header=BB108_7 Depth=2
	v_mov_b32_e32 v8, v2
	v_mov_b32_e32 v9, v2
	;; [unrolled: 1-line block ×4, first 2 shown]
	ds_write_b128 v31, v[8:11] offset:8448
; %bb.53:                               ;   in Loop: Header=BB108_7 Depth=2
	s_or_saveexec_b64 s[12:13], s[12:13]
	buffer_store_dword v20, off, s[60:63], 0 offset:16 ; 4-byte Folded Spill
	s_nop 0
	buffer_store_dword v21, off, s[60:63], 0 offset:20 ; 4-byte Folded Spill
	s_xor_b64 exec, exec, s[12:13]
	s_cbranch_execz .LBB108_6
; %bb.54:                               ;   in Loop: Header=BB108_7 Depth=2
	global_load_dwordx4 v[8:11], v[22:23], off
	v_add_u32_e32 v0, 0x2100, v31
	s_waitcnt vmcnt(0)
	ds_write2_b64 v0, v[8:9], v[10:11] offset1:1
	s_branch .LBB108_6
.LBB108_55:                             ;   in Loop: Header=BB108_4 Depth=1
	buffer_load_dword v8, off, s[60:63], 0 offset:72 ; 4-byte Folded Reload
	buffer_load_dword v1, off, s[60:63], 0 offset:84 ; 4-byte Folded Reload
	s_waitcnt vmcnt(1)
	v_mul_lo_u32 v0, s49, v8
	s_waitcnt vmcnt(0)
	v_mul_lo_u32 v1, s48, v1
	v_mad_u64_u32 v[4:5], s[8:9], s48, v8, 0
	v_cmp_gt_i32_e32 vcc, s46, v8
	v_add3_u32 v5, v5, v1, v0
	v_lshlrev_b64 v[4:5], 4, v[4:5]
	v_mov_b32_e32 v0, s55
	v_add_co_u32_e64 v4, s[8:9], s54, v4
	v_addc_co_u32_e64 v5, s[8:9], v0, v5, s[8:9]
	s_and_b64 s[8:9], s[4:5], vcc
	s_and_saveexec_b64 s[10:11], s[8:9]
	s_cbranch_execz .LBB108_57
; %bb.56:                               ;   in Loop: Header=BB108_4 Depth=1
	buffer_load_dword v0, off, s[60:63], 0  ; 4-byte Folded Reload
	buffer_load_dword v1, off, s[60:63], 0 offset:4 ; 4-byte Folded Reload
	v_mul_f64 v[12:13], s[30:31], v[58:59]
	v_mul_f64 v[14:15], s[28:29], v[58:59]
	v_fma_f64 v[12:13], s[28:29], v[6:7], -v[12:13]
	v_fma_f64 v[14:15], s[30:31], v[6:7], v[14:15]
	s_waitcnt vmcnt(1)
	v_add_co_u32_e64 v0, s[8:9], v4, v0
	s_waitcnt vmcnt(0)
	v_addc_co_u32_e64 v1, s[8:9], v5, v1, s[8:9]
	global_load_dwordx4 v[8:11], v[0:1], off
	s_waitcnt vmcnt(0)
	v_add_f64 v[6:7], v[8:9], v[12:13]
	v_add_f64 v[8:9], v[14:15], v[10:11]
	global_store_dwordx4 v[0:1], v[6:9], off
.LBB108_57:                             ;   in Loop: Header=BB108_4 Depth=1
	s_or_b64 exec, exec, s[10:11]
	s_and_b64 s[10:11], s[14:15], vcc
	s_and_saveexec_b64 s[8:9], s[10:11]
	s_cbranch_execz .LBB108_59
; %bb.58:                               ;   in Loop: Header=BB108_4 Depth=1
	buffer_load_dword v0, off, s[60:63], 0 offset:88 ; 4-byte Folded Reload
	buffer_load_dword v1, off, s[60:63], 0 offset:92 ; 4-byte Folded Reload
	v_mul_f64 v[8:9], s[30:31], v[56:57]
	v_mul_f64 v[10:11], s[28:29], v[56:57]
	v_fma_f64 v[8:9], s[28:29], v[54:55], -v[8:9]
	v_fma_f64 v[10:11], s[30:31], v[54:55], v[10:11]
	s_waitcnt vmcnt(1)
	v_add_co_u32_e32 v0, vcc, v4, v0
	s_waitcnt vmcnt(0)
	v_addc_co_u32_e32 v1, vcc, v5, v1, vcc
	global_load_dwordx4 v[4:7], v[0:1], off
	s_waitcnt vmcnt(0)
	v_add_f64 v[4:5], v[4:5], v[8:9]
	v_add_f64 v[6:7], v[10:11], v[6:7]
	global_store_dwordx4 v[0:1], v[4:7], off
.LBB108_59:                             ;   in Loop: Header=BB108_4 Depth=1
	s_or_b64 exec, exec, s[8:9]
	buffer_load_dword v0, off, s[60:63], 0 offset:72 ; 4-byte Folded Reload
	s_waitcnt vmcnt(0)
	v_add_u32_e32 v4, 16, v0
	v_ashrrev_i32_e32 v0, 31, v4
	v_mul_lo_u32 v5, s48, v0
	v_mul_lo_u32 v6, s49, v4
	v_mad_u64_u32 v[0:1], s[8:9], s48, v4, 0
	v_cmp_gt_i32_e32 vcc, s46, v4
	v_add3_u32 v1, v1, v5, v6
	v_lshlrev_b64 v[0:1], 4, v[0:1]
	v_mov_b32_e32 v5, s55
	v_add_co_u32_e64 v4, s[8:9], s54, v0
	v_addc_co_u32_e64 v5, s[8:9], v5, v1, s[8:9]
	s_and_b64 s[8:9], s[4:5], vcc
	s_mov_b64 s[10:11], exec
	buffer_load_dword v14, off, s[60:63], 0 offset:76 ; 4-byte Folded Reload
	buffer_load_dword v15, off, s[60:63], 0 offset:80 ; 4-byte Folded Reload
	s_and_b64 s[8:9], s[10:11], s[8:9]
	s_mov_b64 exec, s[8:9]
	s_cbranch_execz .LBB108_61
; %bb.60:                               ;   in Loop: Header=BB108_4 Depth=1
	buffer_load_dword v0, off, s[60:63], 0  ; 4-byte Folded Reload
	buffer_load_dword v1, off, s[60:63], 0 offset:4 ; 4-byte Folded Reload
	v_mul_f64 v[10:11], s[30:31], v[52:53]
	v_mul_f64 v[12:13], s[28:29], v[52:53]
	v_fma_f64 v[10:11], s[28:29], v[18:19], -v[10:11]
	v_fma_f64 v[12:13], s[30:31], v[18:19], v[12:13]
	s_waitcnt vmcnt(1)
	v_add_co_u32_e64 v0, s[8:9], v4, v0
	s_waitcnt vmcnt(0)
	v_addc_co_u32_e64 v1, s[8:9], v5, v1, s[8:9]
	global_load_dwordx4 v[6:9], v[0:1], off
	s_waitcnt vmcnt(0)
	v_add_f64 v[6:7], v[6:7], v[10:11]
	v_add_f64 v[8:9], v[12:13], v[8:9]
	global_store_dwordx4 v[0:1], v[6:9], off
.LBB108_61:                             ;   in Loop: Header=BB108_4 Depth=1
	s_or_b64 exec, exec, s[10:11]
	s_and_b64 s[10:11], s[14:15], vcc
	s_and_saveexec_b64 s[8:9], s[10:11]
	s_cbranch_execz .LBB108_3
; %bb.62:                               ;   in Loop: Header=BB108_4 Depth=1
	buffer_load_dword v0, off, s[60:63], 0 offset:88 ; 4-byte Folded Reload
	buffer_load_dword v1, off, s[60:63], 0 offset:92 ; 4-byte Folded Reload
	v_mul_f64 v[8:9], s[30:31], v[50:51]
	v_mul_f64 v[10:11], s[28:29], v[50:51]
	v_fma_f64 v[8:9], s[28:29], v[16:17], -v[8:9]
	v_fma_f64 v[10:11], s[30:31], v[16:17], v[10:11]
	s_waitcnt vmcnt(1)
	v_add_co_u32_e32 v0, vcc, v4, v0
	s_waitcnt vmcnt(0)
	v_addc_co_u32_e32 v1, vcc, v5, v1, vcc
	global_load_dwordx4 v[4:7], v[0:1], off
	s_waitcnt vmcnt(0)
	v_add_f64 v[4:5], v[4:5], v[8:9]
	v_add_f64 v[6:7], v[10:11], v[6:7]
	global_store_dwordx4 v[0:1], v[4:7], off
	s_branch .LBB108_3
.LBB108_63:
	s_endpgm
	.section	.rodata,"a",@progbits
	.p2align	6, 0x0
	.amdhsa_kernel _ZL30rocblas_trmm_outofplace_kernelI19rocblas_complex_numIdELi32ELi2ELb1ELb0ELb0ELb0EPKS1_S2_S1_Ev17rocblas_diagonal_iiT6_lPT7_lllS7_lllPT8_llli
		.amdhsa_group_segment_fixed_size 32768
		.amdhsa_private_segment_fixed_size 124
		.amdhsa_kernarg_size 392
		.amdhsa_user_sgpr_count 6
		.amdhsa_user_sgpr_private_segment_buffer 1
		.amdhsa_user_sgpr_dispatch_ptr 0
		.amdhsa_user_sgpr_queue_ptr 0
		.amdhsa_user_sgpr_kernarg_segment_ptr 1
		.amdhsa_user_sgpr_dispatch_id 0
		.amdhsa_user_sgpr_flat_scratch_init 0
		.amdhsa_user_sgpr_private_segment_size 0
		.amdhsa_uses_dynamic_stack 0
		.amdhsa_system_sgpr_private_segment_wavefront_offset 1
		.amdhsa_system_sgpr_workgroup_id_x 1
		.amdhsa_system_sgpr_workgroup_id_y 1
		.amdhsa_system_sgpr_workgroup_id_z 1
		.amdhsa_system_sgpr_workgroup_info 0
		.amdhsa_system_vgpr_workitem_id 1
		.amdhsa_next_free_vgpr 64
		.amdhsa_next_free_sgpr 64
		.amdhsa_reserve_vcc 1
		.amdhsa_reserve_flat_scratch 0
		.amdhsa_float_round_mode_32 0
		.amdhsa_float_round_mode_16_64 0
		.amdhsa_float_denorm_mode_32 3
		.amdhsa_float_denorm_mode_16_64 3
		.amdhsa_dx10_clamp 1
		.amdhsa_ieee_mode 1
		.amdhsa_fp16_overflow 0
		.amdhsa_exception_fp_ieee_invalid_op 0
		.amdhsa_exception_fp_denorm_src 0
		.amdhsa_exception_fp_ieee_div_zero 0
		.amdhsa_exception_fp_ieee_overflow 0
		.amdhsa_exception_fp_ieee_underflow 0
		.amdhsa_exception_fp_ieee_inexact 0
		.amdhsa_exception_int_div_zero 0
	.end_amdhsa_kernel
	.section	.text._ZL30rocblas_trmm_outofplace_kernelI19rocblas_complex_numIdELi32ELi2ELb1ELb0ELb0ELb0EPKS1_S2_S1_Ev17rocblas_diagonal_iiT6_lPT7_lllS7_lllPT8_llli,"axG",@progbits,_ZL30rocblas_trmm_outofplace_kernelI19rocblas_complex_numIdELi32ELi2ELb1ELb0ELb0ELb0EPKS1_S2_S1_Ev17rocblas_diagonal_iiT6_lPT7_lllS7_lllPT8_llli,comdat
.Lfunc_end108:
	.size	_ZL30rocblas_trmm_outofplace_kernelI19rocblas_complex_numIdELi32ELi2ELb1ELb0ELb0ELb0EPKS1_S2_S1_Ev17rocblas_diagonal_iiT6_lPT7_lllS7_lllPT8_llli, .Lfunc_end108-_ZL30rocblas_trmm_outofplace_kernelI19rocblas_complex_numIdELi32ELi2ELb1ELb0ELb0ELb0EPKS1_S2_S1_Ev17rocblas_diagonal_iiT6_lPT7_lllS7_lllPT8_llli
                                        ; -- End function
	.set _ZL30rocblas_trmm_outofplace_kernelI19rocblas_complex_numIdELi32ELi2ELb1ELb0ELb0ELb0EPKS1_S2_S1_Ev17rocblas_diagonal_iiT6_lPT7_lllS7_lllPT8_llli.num_vgpr, 64
	.set _ZL30rocblas_trmm_outofplace_kernelI19rocblas_complex_numIdELi32ELi2ELb1ELb0ELb0ELb0EPKS1_S2_S1_Ev17rocblas_diagonal_iiT6_lPT7_lllS7_lllPT8_llli.num_agpr, 0
	.set _ZL30rocblas_trmm_outofplace_kernelI19rocblas_complex_numIdELi32ELi2ELb1ELb0ELb0ELb0EPKS1_S2_S1_Ev17rocblas_diagonal_iiT6_lPT7_lllS7_lllPT8_llli.numbered_sgpr, 64
	.set _ZL30rocblas_trmm_outofplace_kernelI19rocblas_complex_numIdELi32ELi2ELb1ELb0ELb0ELb0EPKS1_S2_S1_Ev17rocblas_diagonal_iiT6_lPT7_lllS7_lllPT8_llli.num_named_barrier, 0
	.set _ZL30rocblas_trmm_outofplace_kernelI19rocblas_complex_numIdELi32ELi2ELb1ELb0ELb0ELb0EPKS1_S2_S1_Ev17rocblas_diagonal_iiT6_lPT7_lllS7_lllPT8_llli.private_seg_size, 124
	.set _ZL30rocblas_trmm_outofplace_kernelI19rocblas_complex_numIdELi32ELi2ELb1ELb0ELb0ELb0EPKS1_S2_S1_Ev17rocblas_diagonal_iiT6_lPT7_lllS7_lllPT8_llli.uses_vcc, 1
	.set _ZL30rocblas_trmm_outofplace_kernelI19rocblas_complex_numIdELi32ELi2ELb1ELb0ELb0ELb0EPKS1_S2_S1_Ev17rocblas_diagonal_iiT6_lPT7_lllS7_lllPT8_llli.uses_flat_scratch, 0
	.set _ZL30rocblas_trmm_outofplace_kernelI19rocblas_complex_numIdELi32ELi2ELb1ELb0ELb0ELb0EPKS1_S2_S1_Ev17rocblas_diagonal_iiT6_lPT7_lllS7_lllPT8_llli.has_dyn_sized_stack, 0
	.set _ZL30rocblas_trmm_outofplace_kernelI19rocblas_complex_numIdELi32ELi2ELb1ELb0ELb0ELb0EPKS1_S2_S1_Ev17rocblas_diagonal_iiT6_lPT7_lllS7_lllPT8_llli.has_recursion, 0
	.set _ZL30rocblas_trmm_outofplace_kernelI19rocblas_complex_numIdELi32ELi2ELb1ELb0ELb0ELb0EPKS1_S2_S1_Ev17rocblas_diagonal_iiT6_lPT7_lllS7_lllPT8_llli.has_indirect_call, 0
	.section	.AMDGPU.csdata,"",@progbits
; Kernel info:
; codeLenInByte = 10860
; TotalNumSgprs: 68
; NumVgprs: 64
; ScratchSize: 124
; MemoryBound: 0
; FloatMode: 240
; IeeeMode: 1
; LDSByteSize: 32768 bytes/workgroup (compile time only)
; SGPRBlocks: 8
; VGPRBlocks: 15
; NumSGPRsForWavesPerEU: 68
; NumVGPRsForWavesPerEU: 64
; Occupancy: 4
; WaveLimiterHint : 0
; COMPUTE_PGM_RSRC2:SCRATCH_EN: 1
; COMPUTE_PGM_RSRC2:USER_SGPR: 6
; COMPUTE_PGM_RSRC2:TRAP_HANDLER: 0
; COMPUTE_PGM_RSRC2:TGID_X_EN: 1
; COMPUTE_PGM_RSRC2:TGID_Y_EN: 1
; COMPUTE_PGM_RSRC2:TGID_Z_EN: 1
; COMPUTE_PGM_RSRC2:TIDIG_COMP_CNT: 1
	.section	.text._ZL30rocblas_trmm_outofplace_kernelI19rocblas_complex_numIdELi32ELi2ELb1ELb0ELb0ELb0ES1_KS1_S1_Ev17rocblas_diagonal_iiT6_lPT7_lllS6_lllPT8_llli,"axG",@progbits,_ZL30rocblas_trmm_outofplace_kernelI19rocblas_complex_numIdELi32ELi2ELb1ELb0ELb0ELb0ES1_KS1_S1_Ev17rocblas_diagonal_iiT6_lPT7_lllS6_lllPT8_llli,comdat
	.globl	_ZL30rocblas_trmm_outofplace_kernelI19rocblas_complex_numIdELi32ELi2ELb1ELb0ELb0ELb0ES1_KS1_S1_Ev17rocblas_diagonal_iiT6_lPT7_lllS6_lllPT8_llli ; -- Begin function _ZL30rocblas_trmm_outofplace_kernelI19rocblas_complex_numIdELi32ELi2ELb1ELb0ELb0ELb0ES1_KS1_S1_Ev17rocblas_diagonal_iiT6_lPT7_lllS6_lllPT8_llli
	.p2align	8
	.type	_ZL30rocblas_trmm_outofplace_kernelI19rocblas_complex_numIdELi32ELi2ELb1ELb0ELb0ELb0ES1_KS1_S1_Ev17rocblas_diagonal_iiT6_lPT7_lllS6_lllPT8_llli,@function
_ZL30rocblas_trmm_outofplace_kernelI19rocblas_complex_numIdELi32ELi2ELb1ELb0ELb0ELb0ES1_KS1_S1_Ev17rocblas_diagonal_iiT6_lPT7_lllS6_lllPT8_llli: ; @_ZL30rocblas_trmm_outofplace_kernelI19rocblas_complex_numIdELi32ELi2ELb1ELb0ELb0ELb0ES1_KS1_S1_Ev17rocblas_diagonal_iiT6_lPT7_lllS6_lllPT8_llli
; %bb.0:
	s_load_dwordx4 s[44:47], s[4:5], 0x10
	s_mov_b64 s[62:63], s[2:3]
	s_mov_b64 s[60:61], s[0:1]
	s_add_u32 s60, s60, s9
	s_addc_u32 s61, s61, 0
	s_waitcnt lgkmcnt(0)
	v_cmp_eq_f64_e64 s[0:1], s[44:45], 0
	v_cmp_eq_f64_e64 s[2:3], s[46:47], 0
	buffer_store_dword v1, off, s[60:63], 0 offset:32 ; 4-byte Folded Spill
	buffer_store_dword v0, off, s[60:63], 0 offset:36 ; 4-byte Folded Spill
	s_and_b64 s[0:1], s[0:1], s[2:3]
	s_and_b64 vcc, exec, s[0:1]
	s_cbranch_vccnz .LBB109_63
; %bb.1:
	s_load_dwordx4 s[48:51], s[4:5], 0x0
	s_waitcnt lgkmcnt(0)
	s_add_i32 s0, s50, -1
	s_ashr_i32 s1, s0, 31
	s_lshr_b32 s1, s1, 27
	s_add_i32 s0, s0, s1
	s_ashr_i32 s33, s0, 5
	s_cmp_gt_i32 s7, s33
	s_cbranch_scc1 .LBB109_63
; %bb.2:
	s_load_dwordx8 s[36:43], s[4:5], 0x68
	s_load_dwordx16 s[16:31], s[4:5], 0x28
	buffer_load_dword v1, off, s[60:63], 0 offset:36 ; 4-byte Folded Reload
	buffer_load_dword v10, off, s[60:63], 0 offset:32 ; 4-byte Folded Reload
	v_mov_b32_e32 v3, 0x100
	s_waitcnt lgkmcnt(0)
	s_mul_i32 s1, s43, s8
	s_mul_hi_u32 s2, s42, s8
	s_mul_i32 s0, s42, s8
	s_add_i32 s1, s2, s1
	s_lshl_b64 s[0:1], s[0:1], 4
	s_add_u32 s2, s36, s0
	s_addc_u32 s3, s37, s1
	s_lshl_b64 s[0:1], s[38:39], 4
	s_add_u32 s51, s2, s0
	s_addc_u32 s54, s3, s1
	s_lshl_b32 s55, s6, 5
	s_cmp_gt_i32 s6, -1
	s_cselect_b64 s[34:35], -1, 0
	s_cmpk_eq_i32 s48, 0x84
	s_load_dword s48, s[4:5], 0x94
	s_cselect_b64 s[36:37], -1, 0
	s_ashr_i32 s39, s49, 31
	s_ashr_i32 s6, s50, 31
	s_lshl_b64 s[42:43], s[20:21], 9
	s_add_u32 s52, s49, -16
	s_mul_i32 s9, s31, s8
	s_mul_hi_u32 s10, s30, s8
	s_addc_u32 s53, s39, -1
	s_add_i32 s11, s10, s9
	s_mul_i32 s10, s30, s8
	s_lshl_b64 s[10:11], s[10:11], 4
	s_lshl_b64 s[12:13], s[26:27], 4
	s_add_u32 s9, s10, s12
	s_addc_u32 s10, s11, s13
	s_add_u32 s9, s24, s9
	s_mov_b32 s38, s49
	s_addc_u32 s10, s25, s10
	s_lshl_b64 s[24:25], s[28:29], 4
	s_movk_i32 s56, 0x100
	v_mov_b32_e32 v2, 0
	s_waitcnt vmcnt(1)
	v_add_u32_e32 v11, s55, v1
	s_waitcnt vmcnt(0)
	v_lshlrev_b32_e32 v0, 9, v10
	v_lshlrev_b32_e32 v24, 4, v1
	v_ashrrev_i32_e32 v12, 31, v11
	v_add_u32_e32 v25, v24, v0
	v_add_u32_e32 v30, 0x4000, v0
	v_add_co_u32_e32 v0, vcc, 16, v11
	v_addc_co_u32_e32 v1, vcc, 0, v12, vcc
	buffer_store_dword v0, off, s[60:63], 0 offset:40 ; 4-byte Folded Spill
	s_nop 0
	buffer_store_dword v1, off, s[60:63], 0 offset:44 ; 4-byte Folded Spill
	v_sub_co_u32_e32 v13, vcc, v11, v10
	v_subbrev_co_u32_e32 v14, vcc, 0, v12, vcc
	v_add_u32_e32 v4, 16, v11
	v_cmp_le_i32_e64 s[0:1], s49, v11
	v_cmp_gt_i32_e64 s[4:5], s49, v11
	v_cmp_gt_i32_e64 s[14:15], s49, v4
	s_waitcnt lgkmcnt(0)
	s_lshl_b32 s49, s48, 5
	v_lshl_add_u32 v8, v10, 4, v3
	v_ashrrev_i32_e32 v5, 31, v4
	v_add_u32_e32 v31, v30, v24
	v_cmp_le_i64_e64 s[2:3], s[38:39], v[0:1]
	v_mov_b32_e32 v0, s10
	v_add_co_u32_e32 v1, vcc, s9, v24
	s_mul_i32 s9, s23, s8
	s_mul_hi_u32 s10, s22, s8
	s_add_i32 s9, s10, s9
	s_mul_i32 s8, s22, s8
	s_lshl_b64 s[8:9], s[8:9], 4
	s_lshl_b64 s[10:11], s[18:19], 4
	s_add_u32 s10, s16, s10
	s_addc_u32 s11, s17, s11
	s_add_u32 s8, s10, s8
	s_addc_u32 s9, s11, s9
	v_mov_b32_e32 v6, s8
	v_mov_b32_e32 v7, s9
	v_mad_u64_u32 v[6:7], s[10:11], s20, v8, v[6:7]
	v_addc_co_u32_e32 v0, vcc, 0, v0, vcc
	v_mov_b32_e32 v3, v7
	v_mad_u64_u32 v[7:8], s[10:11], s21, v8, v[3:4]
	v_mad_u64_u32 v[8:9], s[10:11], s20, v10, 0
	v_add_co_u32_e32 v15, vcc, s56, v1
	v_addc_co_u32_e32 v16, vcc, 0, v0, vcc
	v_add_co_u32_e32 v0, vcc, s56, v6
	v_mov_b32_e32 v3, v9
	v_addc_co_u32_e32 v1, vcc, 0, v7, vcc
	v_mad_u64_u32 v[6:7], s[10:11], s21, v10, v[3:4]
	buffer_store_dword v15, off, s[60:63], 0 offset:96 ; 4-byte Folded Spill
	s_nop 0
	buffer_store_dword v16, off, s[60:63], 0 offset:100 ; 4-byte Folded Spill
	buffer_store_dword v0, off, s[60:63], 0 offset:104 ; 4-byte Folded Spill
	s_nop 0
	buffer_store_dword v1, off, s[60:63], 0 offset:108 ; 4-byte Folded Spill
	v_add_co_u32_e32 v0, vcc, 16, v13
	v_mov_b32_e32 v9, v6
	v_addc_co_u32_e32 v1, vcc, 0, v14, vcc
	v_lshlrev_b64 v[6:7], 4, v[8:9]
	buffer_store_dword v0, off, s[60:63], 0 offset:56 ; 4-byte Folded Spill
	s_nop 0
	buffer_store_dword v1, off, s[60:63], 0 offset:60 ; 4-byte Folded Spill
	v_mov_b32_e32 v0, s9
	v_add_co_u32_e32 v1, vcc, s8, v6
	v_addc_co_u32_e32 v0, vcc, v0, v7, vcc
	v_add_co_u32_e32 v6, vcc, 0x100, v1
	v_addc_co_u32_e32 v7, vcc, 0, v0, vcc
	buffer_store_dword v6, off, s[60:63], 0 offset:112 ; 4-byte Folded Spill
	s_nop 0
	buffer_store_dword v7, off, s[60:63], 0 offset:116 ; 4-byte Folded Spill
	v_add_co_u32_e32 v0, vcc, -16, v13
	buffer_store_dword v13, off, s[60:63], 0 offset:48 ; 4-byte Folded Spill
	s_nop 0
	buffer_store_dword v14, off, s[60:63], 0 offset:52 ; 4-byte Folded Spill
	v_mov_b32_e32 v3, 0x3ff00000
	s_movk_i32 s56, 0x200
	v_addc_co_u32_e32 v1, vcc, -1, v14, vcc
	buffer_store_dword v0, off, s[60:63], 0 offset:64 ; 4-byte Folded Spill
	s_nop 0
	buffer_store_dword v1, off, s[60:63], 0 offset:68 ; 4-byte Folded Spill
	v_lshlrev_b64 v[0:1], 4, v[4:5]
	buffer_store_dword v0, off, s[60:63], 0 offset:88 ; 4-byte Folded Spill
	s_nop 0
	buffer_store_dword v1, off, s[60:63], 0 offset:92 ; 4-byte Folded Spill
	buffer_store_dword v11, off, s[60:63], 0 offset:8 ; 4-byte Folded Spill
	s_nop 0
	buffer_store_dword v12, off, s[60:63], 0 offset:12 ; 4-byte Folded Spill
	v_lshl_add_u32 v14, s7, 5, v10
	v_lshlrev_b64 v[0:1], 4, v[11:12]
	buffer_store_dword v0, off, s[60:63], 0 ; 4-byte Folded Spill
	s_nop 0
	buffer_store_dword v1, off, s[60:63], 0 offset:4 ; 4-byte Folded Spill
	s_branch .LBB109_4
.LBB109_3:                              ;   in Loop: Header=BB109_4 Depth=1
	s_or_b64 exec, exec, s[8:9]
	s_add_i32 s7, s48, s7
	s_cmp_le_i32 s7, s33
	s_waitcnt vmcnt(1)
	v_add_u32_e32 v14, s49, v14
	s_cbranch_scc0 .LBB109_63
.LBB109_4:                              ; =>This Loop Header: Depth=1
                                        ;     Child Loop BB109_7 Depth 2
	buffer_store_dword v14, off, s[60:63], 0 offset:76 ; 4-byte Folded Spill
	s_waitcnt vmcnt(1)
	buffer_store_dword v15, off, s[60:63], 0 offset:80 ; 4-byte Folded Spill
	buffer_load_dword v0, off, s[60:63], 0 offset:32 ; 4-byte Folded Reload
	v_mov_b32_e32 v6, 0
	v_mov_b32_e32 v58, 0
	;; [unrolled: 1-line block ×9, first 2 shown]
	s_andn2_b64 vcc, exec, s[34:35]
	v_mov_b32_e32 v59, 0
	v_mov_b32_e32 v55, 0
	;; [unrolled: 1-line block ×7, first 2 shown]
	s_waitcnt vmcnt(0)
	v_lshl_add_u32 v0, s7, 5, v0
	buffer_store_dword v0, off, s[60:63], 0 offset:72 ; 4-byte Folded Spill
	v_ashrrev_i32_e32 v0, 31, v0
	buffer_store_dword v0, off, s[60:63], 0 offset:84 ; 4-byte Folded Spill
	s_cbranch_vccnz .LBB109_55
; %bb.5:                                ;   in Loop: Header=BB109_4 Depth=1
	buffer_load_dword v0, off, s[60:63], 0 offset:76 ; 4-byte Folded Reload
	buffer_load_dword v1, off, s[60:63], 0 offset:80 ; 4-byte Folded Reload
	;; [unrolled: 1-line block ×4, first 2 shown]
	v_mov_b32_e32 v50, 0
	v_mov_b32_e32 v16, 0
	v_mov_b32_e32 v52, 0
	v_mov_b32_e32 v18, 0
	v_mov_b32_e32 v56, 0
	v_mov_b32_e32 v54, 0
	v_mov_b32_e32 v58, 0
	s_mov_b64 s[20:21], 0
	v_mov_b32_e32 v51, 0
	v_mov_b32_e32 v17, 0
	;; [unrolled: 1-line block ×7, first 2 shown]
	s_waitcnt vmcnt(3)
	v_mov_b32_e32 v5, v0
	v_ashrrev_i32_e32 v6, 31, v5
	s_waitcnt vmcnt(0)
	v_mad_u64_u32 v[20:21], s[8:9], s24, v5, v[7:8]
	v_mul_lo_u32 v0, s25, v5
	v_mul_lo_u32 v1, s24, v6
	v_mov_b32_e32 v4, v5
	buffer_store_dword v4, off, s[60:63], 0 offset:76 ; 4-byte Folded Spill
	s_nop 0
	buffer_store_dword v5, off, s[60:63], 0 offset:80 ; 4-byte Folded Spill
	v_add3_u32 v21, v0, v21, v1
	buffer_load_dword v1, off, s[60:63], 0 offset:72 ; 4-byte Folded Reload
	v_mov_b32_e32 v0, s6
	v_lshlrev_b64 v[4:5], 4, v[5:6]
	v_add_co_u32_e32 v4, vcc, 0x100, v4
	v_addc_co_u32_e32 v5, vcc, 0, v5, vcc
	v_mul_lo_u32 v6, s29, v4
	v_mad_u64_u32 v[22:23], s[8:9], s28, v4, v[7:8]
	s_waitcnt vmcnt(0)
	v_sub_co_u32_e32 v4, vcc, s50, v1
	buffer_load_dword v1, off, s[60:63], 0 offset:84 ; 4-byte Folded Reload
	buffer_load_dword v46, off, s[60:63], 0 offset:112 ; 4-byte Folded Reload
	buffer_load_dword v47, off, s[60:63], 0 offset:116 ; 4-byte Folded Reload
	buffer_load_dword v48, off, s[60:63], 0 offset:104 ; 4-byte Folded Reload
	buffer_load_dword v49, off, s[60:63], 0 offset:108 ; 4-byte Folded Reload
	v_mul_lo_u32 v5, s28, v5
	v_add3_u32 v23, v6, v23, v5
	v_mov_b32_e32 v6, 0
	v_mov_b32_e32 v7, 0
	s_waitcnt vmcnt(4)
	v_subb_co_u32_e32 v5, vcc, v0, v1, vcc
	v_cmp_lt_i64_e64 s[8:9], 0, v[4:5]
	v_cmp_lt_i64_e64 s[10:11], 16, v[4:5]
	s_branch .LBB109_7
.LBB109_6:                              ;   in Loop: Header=BB109_7 Depth=2
	s_or_b64 exec, exec, s[12:13]
	s_waitcnt vmcnt(0) lgkmcnt(0)
	s_barrier
	ds_read_b128 v[8:11], v30
	ds_read_b128 v[12:15], v24
	ds_read_b128 v[26:29], v24 offset:256
	buffer_store_dword v22, off, s[60:63], 0 offset:24 ; 4-byte Folded Spill
	s_nop 0
	buffer_store_dword v23, off, s[60:63], 0 offset:28 ; 4-byte Folded Spill
	ds_read_b128 v[60:63], v30 offset:8192
	s_add_u32 s20, s20, 32
	s_waitcnt lgkmcnt(2)
	v_mul_f64 v[4:5], v[10:11], v[14:15]
	v_mul_f64 v[20:21], v[8:9], v[14:15]
	s_waitcnt lgkmcnt(1)
	v_mul_f64 v[22:23], v[10:11], v[28:29]
	v_mul_f64 v[32:33], v[8:9], v[28:29]
	s_addc_u32 s21, s21, 0
	s_sub_i32 s12, s20, 32
	s_cmp_ge_i32 s12, s55
	v_fma_f64 v[4:5], v[8:9], v[12:13], -v[4:5]
	v_fma_f64 v[20:21], v[10:11], v[12:13], v[20:21]
	v_fma_f64 v[22:23], v[8:9], v[26:27], -v[22:23]
	v_fma_f64 v[32:33], v[10:11], v[26:27], v[32:33]
	s_waitcnt lgkmcnt(0)
	v_mul_f64 v[8:9], v[62:63], v[14:15]
	v_mul_f64 v[10:11], v[60:61], v[14:15]
	v_add_f64 v[36:37], v[6:7], v[4:5]
	v_fma_f64 v[34:35], v[60:61], v[12:13], -v[8:9]
	v_fma_f64 v[0:1], v[62:63], v[12:13], v[10:11]
	v_mul_f64 v[8:9], v[62:63], v[28:29]
	v_mul_f64 v[10:11], v[60:61], v[28:29]
	v_add_f64 v[52:53], v[0:1], v[52:53]
	v_fma_f64 v[38:39], v[60:61], v[26:27], -v[8:9]
	v_fma_f64 v[28:29], v[62:63], v[26:27], v[10:11]
	ds_read_b128 v[12:15], v30 offset:16
	ds_read_b128 v[8:11], v24 offset:512
	;; [unrolled: 1-line block ×3, first 2 shown]
	v_add_f64 v[60:61], v[20:21], v[58:59]
	v_add_f64 v[62:63], v[54:55], v[22:23]
	;; [unrolled: 1-line block ×3, first 2 shown]
	s_waitcnt lgkmcnt(1)
	v_mul_f64 v[26:27], v[12:13], v[10:11]
	v_mul_f64 v[20:21], v[14:15], v[10:11]
	v_add_f64 v[58:59], v[18:19], v[34:35]
	v_add_f64 v[56:57], v[16:17], v[38:39]
	ds_read_b128 v[16:19], v30 offset:8208
	s_waitcnt lgkmcnt(1)
	v_mul_f64 v[40:41], v[14:15], v[6:7]
	v_fma_f64 v[32:33], v[14:15], v[8:9], v[26:27]
	v_mul_f64 v[26:27], v[12:13], v[6:7]
	v_fma_f64 v[22:23], v[12:13], v[8:9], -v[20:21]
	v_add_f64 v[20:21], v[28:29], v[50:51]
	s_waitcnt lgkmcnt(0)
	v_mul_f64 v[28:29], v[18:19], v[10:11]
	v_mul_f64 v[34:35], v[16:17], v[10:11]
	v_fma_f64 v[0:1], v[12:13], v[4:5], -v[40:41]
	ds_read_b128 v[10:13], v30 offset:32
	v_add_f64 v[32:33], v[32:33], v[60:61]
	v_fma_f64 v[14:15], v[14:15], v[4:5], v[26:27]
	v_mul_f64 v[26:27], v[18:19], v[6:7]
	v_add_f64 v[22:23], v[36:37], v[22:23]
	v_mul_f64 v[36:37], v[16:17], v[6:7]
	v_fma_f64 v[38:39], v[16:17], v[8:9], -v[28:29]
	v_fma_f64 v[34:35], v[18:19], v[8:9], v[34:35]
	ds_read_b128 v[6:9], v24 offset:1024
	v_add_f64 v[0:1], v[62:63], v[0:1]
	v_fma_f64 v[16:17], v[16:17], v[4:5], -v[26:27]
	ds_read_b128 v[26:29], v24 offset:1280
	v_fma_f64 v[4:5], v[18:19], v[4:5], v[36:37]
	v_add_f64 v[38:39], v[58:59], v[38:39]
	v_add_f64 v[36:37], v[14:15], v[54:55]
	;; [unrolled: 1-line block ×4, first 2 shown]
	ds_read_b128 v[56:59], v30 offset:8224
	s_waitcnt lgkmcnt(2)
	v_mul_f64 v[18:19], v[12:13], v[8:9]
	s_waitcnt lgkmcnt(1)
	v_mul_f64 v[40:41], v[12:13], v[28:29]
	v_mul_f64 v[14:15], v[10:11], v[8:9]
	;; [unrolled: 1-line block ×3, first 2 shown]
	v_add_f64 v[16:17], v[4:5], v[20:21]
	v_fma_f64 v[18:19], v[10:11], v[6:7], -v[18:19]
	v_fma_f64 v[10:11], v[10:11], v[26:27], -v[40:41]
	v_fma_f64 v[4:5], v[12:13], v[6:7], v[14:15]
	s_waitcnt lgkmcnt(0)
	v_mul_f64 v[14:15], v[58:59], v[8:9]
	v_fma_f64 v[20:21], v[12:13], v[26:27], v[50:51]
	v_mul_f64 v[8:9], v[56:57], v[8:9]
	v_add_f64 v[18:19], v[22:23], v[18:19]
	v_add_f64 v[52:53], v[0:1], v[10:11]
	v_mul_f64 v[0:1], v[58:59], v[28:29]
	v_mul_f64 v[22:23], v[56:57], v[28:29]
	v_add_f64 v[60:61], v[20:21], v[36:37]
	v_fma_f64 v[20:21], v[58:59], v[6:7], v[8:9]
	v_add_f64 v[50:51], v[4:5], v[32:33]
	v_fma_f64 v[4:5], v[56:57], v[6:7], -v[14:15]
	ds_read_b128 v[12:15], v30 offset:48
	ds_read_b128 v[8:11], v24 offset:1536
	v_fma_f64 v[0:1], v[56:57], v[26:27], -v[0:1]
	v_fma_f64 v[62:63], v[58:59], v[26:27], v[22:23]
	v_add_f64 v[58:59], v[20:21], v[34:35]
	ds_read_b128 v[32:35], v30 offset:8240
	v_add_f64 v[54:55], v[38:39], v[4:5]
	ds_read_b128 v[4:7], v24 offset:1792
	s_waitcnt lgkmcnt(2)
	v_mul_f64 v[22:23], v[14:15], v[10:11]
	v_mul_f64 v[28:29], v[12:13], v[10:11]
	v_add_f64 v[56:57], v[42:43], v[0:1]
	s_waitcnt lgkmcnt(1)
	v_mul_f64 v[0:1], v[34:35], v[10:11]
	v_mul_f64 v[10:11], v[32:33], v[10:11]
	s_waitcnt lgkmcnt(0)
	v_mul_f64 v[36:37], v[14:15], v[6:7]
	v_mul_f64 v[38:39], v[12:13], v[6:7]
	v_fma_f64 v[26:27], v[12:13], v[8:9], -v[22:23]
	v_fma_f64 v[22:23], v[14:15], v[8:9], v[28:29]
	v_fma_f64 v[0:1], v[32:33], v[8:9], -v[0:1]
	v_fma_f64 v[10:11], v[34:35], v[8:9], v[10:11]
	v_mul_f64 v[8:9], v[34:35], v[6:7]
	v_mul_f64 v[6:7], v[32:33], v[6:7]
	v_fma_f64 v[14:15], v[14:15], v[4:5], v[38:39]
	v_fma_f64 v[12:13], v[12:13], v[4:5], -v[36:37]
	v_add_f64 v[26:27], v[18:19], v[26:27]
	v_add_f64 v[36:37], v[62:63], v[16:17]
	;; [unrolled: 1-line block ×4, first 2 shown]
	v_fma_f64 v[20:21], v[32:33], v[4:5], -v[8:9]
	v_fma_f64 v[28:29], v[34:35], v[4:5], v[6:7]
	ds_read_b128 v[6:9], v30 offset:64
	ds_read_b128 v[32:35], v24 offset:2048
	v_add_f64 v[4:5], v[14:15], v[60:61]
	ds_read_b128 v[16:19], v24 offset:2304
	v_add_f64 v[12:13], v[52:53], v[12:13]
	s_waitcnt lgkmcnt(1)
	v_mul_f64 v[38:39], v[8:9], v[34:35]
	v_mul_f64 v[40:41], v[6:7], v[34:35]
	v_add_f64 v[20:21], v[56:57], v[20:21]
	v_add_f64 v[56:57], v[28:29], v[36:37]
	v_fma_f64 v[14:15], v[6:7], v[32:33], -v[38:39]
	v_add_f64 v[38:39], v[10:11], v[58:59]
	v_fma_f64 v[10:11], v[8:9], v[32:33], v[40:41]
	ds_read_b128 v[58:61], v30 offset:8256
	s_waitcnt lgkmcnt(1)
	v_mul_f64 v[40:41], v[8:9], v[18:19]
	v_add_f64 v[52:53], v[26:27], v[14:15]
	v_mul_f64 v[14:15], v[6:7], v[18:19]
	s_waitcnt lgkmcnt(0)
	v_mul_f64 v[26:27], v[60:61], v[34:35]
	v_add_f64 v[54:55], v[10:11], v[22:23]
	v_mul_f64 v[10:11], v[58:59], v[34:35]
	v_fma_f64 v[6:7], v[6:7], v[16:17], -v[40:41]
	v_mul_f64 v[22:23], v[60:61], v[18:19]
	v_mul_f64 v[18:19], v[58:59], v[18:19]
	v_fma_f64 v[28:29], v[8:9], v[16:17], v[14:15]
	v_fma_f64 v[26:27], v[58:59], v[32:33], -v[26:27]
	v_fma_f64 v[32:33], v[60:61], v[32:33], v[10:11]
	v_add_f64 v[50:51], v[12:13], v[6:7]
	ds_read_b128 v[12:15], v30 offset:80
	ds_read_b128 v[8:11], v24 offset:2560
	v_fma_f64 v[34:35], v[58:59], v[16:17], -v[22:23]
	v_fma_f64 v[36:37], v[60:61], v[16:17], v[18:19]
	v_add_f64 v[28:29], v[28:29], v[4:5]
	ds_read_b128 v[4:7], v24 offset:2816
	ds_read_b128 v[16:19], v30 offset:8272
	s_waitcnt lgkmcnt(2)
	v_mul_f64 v[40:41], v[14:15], v[10:11]
	v_add_f64 v[60:61], v[32:33], v[38:39]
	v_add_f64 v[62:63], v[0:1], v[26:27]
	s_waitcnt lgkmcnt(1)
	v_mul_f64 v[32:33], v[14:15], v[6:7]
	v_mul_f64 v[22:23], v[12:13], v[10:11]
	;; [unrolled: 1-line block ×3, first 2 shown]
	v_add_f64 v[58:59], v[20:21], v[34:35]
	s_waitcnt lgkmcnt(0)
	v_mul_f64 v[34:35], v[18:19], v[10:11]
	v_fma_f64 v[0:1], v[12:13], v[8:9], -v[40:41]
	v_mul_f64 v[10:11], v[16:17], v[10:11]
	v_fma_f64 v[12:13], v[12:13], v[4:5], -v[32:33]
	v_fma_f64 v[20:21], v[14:15], v[8:9], v[22:23]
	v_fma_f64 v[14:15], v[14:15], v[4:5], v[26:27]
	v_add_f64 v[22:23], v[36:37], v[56:57]
	v_mul_f64 v[32:33], v[18:19], v[6:7]
	v_fma_f64 v[34:35], v[16:17], v[8:9], -v[34:35]
	v_add_f64 v[0:1], v[52:53], v[0:1]
	v_add_f64 v[36:37], v[50:51], v[12:13]
	v_mul_f64 v[12:13], v[16:17], v[6:7]
	v_add_f64 v[38:39], v[14:15], v[28:29]
	v_fma_f64 v[14:15], v[18:19], v[8:9], v[10:11]
	ds_read_b128 v[8:11], v30 offset:96
	ds_read_b128 v[26:29], v24 offset:3072
	v_fma_f64 v[16:17], v[16:17], v[4:5], -v[32:33]
	v_add_f64 v[20:21], v[20:21], v[54:55]
	v_add_f64 v[6:7], v[62:63], v[34:35]
	ds_read_b128 v[32:35], v24 offset:3328
	ds_read_b128 v[54:57], v30 offset:8288
	v_fma_f64 v[4:5], v[18:19], v[4:5], v[12:13]
	s_waitcnt lgkmcnt(2)
	v_mul_f64 v[18:19], v[10:11], v[28:29]
	v_mul_f64 v[40:41], v[8:9], v[28:29]
	v_add_f64 v[42:43], v[14:15], v[60:61]
	s_waitcnt lgkmcnt(1)
	v_mul_f64 v[14:15], v[10:11], v[34:35]
	v_add_f64 v[60:61], v[58:59], v[16:17]
	v_mul_f64 v[16:17], v[8:9], v[34:35]
	v_add_f64 v[12:13], v[4:5], v[22:23]
	v_fma_f64 v[4:5], v[8:9], v[26:27], -v[18:19]
	v_fma_f64 v[18:19], v[10:11], v[26:27], v[40:41]
	s_waitcnt lgkmcnt(0)
	v_mul_f64 v[22:23], v[56:57], v[28:29]
	v_mul_f64 v[28:29], v[54:55], v[28:29]
	v_fma_f64 v[8:9], v[8:9], v[32:33], -v[14:15]
	v_fma_f64 v[10:11], v[10:11], v[32:33], v[16:17]
	v_add_f64 v[16:17], v[0:1], v[4:5]
	v_add_f64 v[14:15], v[18:19], v[20:21]
	v_fma_f64 v[0:1], v[54:55], v[26:27], -v[22:23]
	v_mul_f64 v[20:21], v[56:57], v[34:35]
	v_mul_f64 v[22:23], v[54:55], v[34:35]
	v_fma_f64 v[34:35], v[56:57], v[26:27], v[28:29]
	v_add_f64 v[18:19], v[36:37], v[8:9]
	v_add_f64 v[50:51], v[10:11], v[38:39]
	ds_read_b128 v[26:29], v30 offset:112
	ds_read_b128 v[8:11], v24 offset:3584
	v_add_f64 v[52:53], v[6:7], v[0:1]
	v_fma_f64 v[0:1], v[54:55], v[32:33], -v[20:21]
	ds_read_b128 v[4:7], v24 offset:3840
	v_fma_f64 v[58:59], v[56:57], v[32:33], v[22:23]
	v_add_f64 v[56:57], v[34:35], v[42:43]
	ds_read_b128 v[34:37], v30 offset:8304
	s_waitcnt lgkmcnt(2)
	v_mul_f64 v[20:21], v[28:29], v[10:11]
	v_mul_f64 v[22:23], v[26:27], v[10:11]
	s_waitcnt lgkmcnt(1)
	v_mul_f64 v[38:39], v[28:29], v[6:7]
	v_add_f64 v[54:55], v[60:61], v[0:1]
	s_waitcnt lgkmcnt(0)
	v_mul_f64 v[0:1], v[36:37], v[10:11]
	v_mul_f64 v[10:11], v[34:35], v[10:11]
	;; [unrolled: 1-line block ×3, first 2 shown]
	v_add_f64 v[12:13], v[58:59], v[12:13]
	v_fma_f64 v[32:33], v[26:27], v[8:9], -v[20:21]
	v_fma_f64 v[22:23], v[28:29], v[8:9], v[22:23]
	v_fma_f64 v[26:27], v[26:27], v[4:5], -v[38:39]
	v_fma_f64 v[0:1], v[34:35], v[8:9], -v[0:1]
	v_fma_f64 v[10:11], v[36:37], v[8:9], v[10:11]
	v_mul_f64 v[8:9], v[36:37], v[6:7]
	v_mul_f64 v[6:7], v[34:35], v[6:7]
	v_fma_f64 v[28:29], v[28:29], v[4:5], v[40:41]
	v_add_f64 v[32:33], v[16:17], v[32:33]
	v_add_f64 v[14:15], v[22:23], v[14:15]
	;; [unrolled: 1-line block ×5, first 2 shown]
	v_fma_f64 v[20:21], v[34:35], v[4:5], -v[8:9]
	v_fma_f64 v[38:39], v[36:37], v[4:5], v[6:7]
	ds_read_b128 v[6:9], v30 offset:128
	ds_read_b128 v[34:37], v24 offset:4096
	ds_read_b128 v[16:19], v24 offset:4352
	ds_read_b128 v[58:61], v30 offset:8320
	v_add_f64 v[4:5], v[28:29], v[50:51]
	s_waitcnt lgkmcnt(2)
	v_mul_f64 v[42:43], v[6:7], v[36:37]
	v_mul_f64 v[40:41], v[8:9], v[36:37]
	s_waitcnt lgkmcnt(1)
	v_mul_f64 v[28:29], v[8:9], v[18:19]
	v_add_f64 v[56:57], v[38:39], v[12:13]
	v_mul_f64 v[12:13], v[6:7], v[18:19]
	v_add_f64 v[20:21], v[54:55], v[20:21]
	v_fma_f64 v[10:11], v[8:9], v[34:35], v[42:43]
	v_fma_f64 v[26:27], v[6:7], v[34:35], -v[40:41]
	v_fma_f64 v[6:7], v[6:7], v[16:17], -v[28:29]
	v_fma_f64 v[28:29], v[8:9], v[16:17], v[12:13]
	v_add_f64 v[54:55], v[10:11], v[14:15]
	s_waitcnt lgkmcnt(0)
	v_mul_f64 v[10:11], v[58:59], v[36:37]
	v_add_f64 v[52:53], v[32:33], v[26:27]
	v_mul_f64 v[26:27], v[60:61], v[36:37]
	v_mul_f64 v[14:15], v[60:61], v[18:19]
	;; [unrolled: 1-line block ×3, first 2 shown]
	v_add_f64 v[50:51], v[22:23], v[6:7]
	v_add_f64 v[28:29], v[28:29], v[4:5]
	v_fma_f64 v[32:33], v[60:61], v[34:35], v[10:11]
	v_fma_f64 v[26:27], v[58:59], v[34:35], -v[26:27]
	v_fma_f64 v[34:35], v[58:59], v[16:17], -v[14:15]
	ds_read_b128 v[12:15], v30 offset:144
	ds_read_b128 v[8:11], v24 offset:4608
	;; [unrolled: 1-line block ×3, first 2 shown]
	v_fma_f64 v[36:37], v[60:61], v[16:17], v[18:19]
	ds_read_b128 v[16:19], v30 offset:8336
	v_add_f64 v[60:61], v[32:33], v[44:45]
	s_waitcnt lgkmcnt(2)
	v_mul_f64 v[22:23], v[14:15], v[10:11]
	s_waitcnt lgkmcnt(1)
	v_mul_f64 v[32:33], v[14:15], v[6:7]
	v_add_f64 v[62:63], v[0:1], v[26:27]
	v_mul_f64 v[40:41], v[12:13], v[10:11]
	v_mul_f64 v[26:27], v[12:13], v[6:7]
	v_add_f64 v[58:59], v[20:21], v[34:35]
	s_waitcnt lgkmcnt(0)
	v_mul_f64 v[34:35], v[18:19], v[10:11]
	v_mul_f64 v[10:11], v[16:17], v[10:11]
	v_fma_f64 v[0:1], v[12:13], v[8:9], -v[22:23]
	v_fma_f64 v[12:13], v[12:13], v[4:5], -v[32:33]
	v_add_f64 v[22:23], v[36:37], v[56:57]
	v_fma_f64 v[20:21], v[14:15], v[8:9], v[40:41]
	v_fma_f64 v[14:15], v[14:15], v[4:5], v[26:27]
	v_mul_f64 v[32:33], v[18:19], v[6:7]
	v_fma_f64 v[34:35], v[16:17], v[8:9], -v[34:35]
	v_add_f64 v[0:1], v[52:53], v[0:1]
	v_add_f64 v[36:37], v[50:51], v[12:13]
	v_mul_f64 v[12:13], v[16:17], v[6:7]
	v_add_f64 v[20:21], v[20:21], v[54:55]
	v_add_f64 v[38:39], v[14:15], v[28:29]
	v_fma_f64 v[14:15], v[18:19], v[8:9], v[10:11]
	ds_read_b128 v[8:11], v30 offset:160
	ds_read_b128 v[26:29], v24 offset:5120
	v_fma_f64 v[16:17], v[16:17], v[4:5], -v[32:33]
	v_add_f64 v[6:7], v[62:63], v[34:35]
	ds_read_b128 v[32:35], v24 offset:5376
	ds_read_b128 v[54:57], v30 offset:8352
	v_fma_f64 v[4:5], v[18:19], v[4:5], v[12:13]
	s_waitcnt lgkmcnt(2)
	v_mul_f64 v[18:19], v[10:11], v[28:29]
	v_mul_f64 v[40:41], v[8:9], v[28:29]
	v_add_f64 v[42:43], v[14:15], v[60:61]
	s_waitcnt lgkmcnt(1)
	v_mul_f64 v[14:15], v[10:11], v[34:35]
	v_add_f64 v[44:45], v[58:59], v[16:17]
	v_mul_f64 v[16:17], v[8:9], v[34:35]
	v_add_f64 v[12:13], v[4:5], v[22:23]
	v_fma_f64 v[4:5], v[8:9], v[26:27], -v[18:19]
	v_fma_f64 v[18:19], v[10:11], v[26:27], v[40:41]
	s_waitcnt lgkmcnt(0)
	v_mul_f64 v[22:23], v[56:57], v[28:29]
	v_mul_f64 v[28:29], v[54:55], v[28:29]
	v_fma_f64 v[8:9], v[8:9], v[32:33], -v[14:15]
	v_fma_f64 v[10:11], v[10:11], v[32:33], v[16:17]
	v_add_f64 v[16:17], v[0:1], v[4:5]
	v_add_f64 v[14:15], v[18:19], v[20:21]
	v_fma_f64 v[0:1], v[54:55], v[26:27], -v[22:23]
	v_mul_f64 v[20:21], v[56:57], v[34:35]
	v_mul_f64 v[22:23], v[54:55], v[34:35]
	v_fma_f64 v[34:35], v[56:57], v[26:27], v[28:29]
	v_add_f64 v[18:19], v[36:37], v[8:9]
	v_add_f64 v[50:51], v[10:11], v[38:39]
	ds_read_b128 v[26:29], v30 offset:176
	ds_read_b128 v[8:11], v24 offset:5632
	v_add_f64 v[52:53], v[6:7], v[0:1]
	v_fma_f64 v[0:1], v[54:55], v[32:33], -v[20:21]
	ds_read_b128 v[4:7], v24 offset:5888
	v_fma_f64 v[58:59], v[56:57], v[32:33], v[22:23]
	v_add_f64 v[56:57], v[34:35], v[42:43]
	ds_read_b128 v[34:37], v30 offset:8368
	s_waitcnt lgkmcnt(2)
	v_mul_f64 v[20:21], v[28:29], v[10:11]
	v_mul_f64 v[22:23], v[26:27], v[10:11]
	s_waitcnt lgkmcnt(1)
	v_mul_f64 v[38:39], v[28:29], v[6:7]
	v_add_f64 v[54:55], v[44:45], v[0:1]
	s_waitcnt lgkmcnt(0)
	v_mul_f64 v[0:1], v[36:37], v[10:11]
	v_mul_f64 v[10:11], v[34:35], v[10:11]
	;; [unrolled: 1-line block ×3, first 2 shown]
	v_add_f64 v[12:13], v[58:59], v[12:13]
	v_fma_f64 v[32:33], v[26:27], v[8:9], -v[20:21]
	v_fma_f64 v[22:23], v[28:29], v[8:9], v[22:23]
	v_fma_f64 v[26:27], v[26:27], v[4:5], -v[38:39]
	v_fma_f64 v[0:1], v[34:35], v[8:9], -v[0:1]
	v_fma_f64 v[10:11], v[36:37], v[8:9], v[10:11]
	v_mul_f64 v[8:9], v[36:37], v[6:7]
	v_mul_f64 v[6:7], v[34:35], v[6:7]
	v_fma_f64 v[28:29], v[28:29], v[4:5], v[40:41]
	v_add_f64 v[32:33], v[16:17], v[32:33]
	v_add_f64 v[14:15], v[22:23], v[14:15]
	;; [unrolled: 1-line block ×5, first 2 shown]
	v_fma_f64 v[20:21], v[34:35], v[4:5], -v[8:9]
	v_fma_f64 v[38:39], v[36:37], v[4:5], v[6:7]
	ds_read_b128 v[6:9], v30 offset:192
	ds_read_b128 v[34:37], v24 offset:6144
	;; [unrolled: 1-line block ×4, first 2 shown]
	v_add_f64 v[4:5], v[28:29], v[50:51]
	s_waitcnt lgkmcnt(2)
	v_mul_f64 v[42:43], v[6:7], v[36:37]
	v_mul_f64 v[40:41], v[8:9], v[36:37]
	s_waitcnt lgkmcnt(1)
	v_mul_f64 v[28:29], v[8:9], v[18:19]
	v_add_f64 v[56:57], v[38:39], v[12:13]
	v_mul_f64 v[12:13], v[6:7], v[18:19]
	v_add_f64 v[20:21], v[54:55], v[20:21]
	v_fma_f64 v[10:11], v[8:9], v[34:35], v[42:43]
	v_fma_f64 v[26:27], v[6:7], v[34:35], -v[40:41]
	v_fma_f64 v[6:7], v[6:7], v[16:17], -v[28:29]
	v_fma_f64 v[28:29], v[8:9], v[16:17], v[12:13]
	v_add_f64 v[54:55], v[10:11], v[14:15]
	s_waitcnt lgkmcnt(0)
	v_mul_f64 v[10:11], v[58:59], v[36:37]
	v_add_f64 v[52:53], v[32:33], v[26:27]
	v_mul_f64 v[26:27], v[60:61], v[36:37]
	v_mul_f64 v[14:15], v[60:61], v[18:19]
	v_mul_f64 v[18:19], v[58:59], v[18:19]
	v_add_f64 v[50:51], v[22:23], v[6:7]
	v_add_f64 v[28:29], v[28:29], v[4:5]
	v_fma_f64 v[32:33], v[60:61], v[34:35], v[10:11]
	v_fma_f64 v[26:27], v[58:59], v[34:35], -v[26:27]
	v_fma_f64 v[34:35], v[58:59], v[16:17], -v[14:15]
	ds_read_b128 v[12:15], v30 offset:208
	ds_read_b128 v[8:11], v24 offset:6656
	ds_read_b128 v[4:7], v24 offset:6912
	v_fma_f64 v[36:37], v[60:61], v[16:17], v[18:19]
	ds_read_b128 v[16:19], v30 offset:8400
	v_add_f64 v[60:61], v[32:33], v[44:45]
	s_waitcnt lgkmcnt(2)
	v_mul_f64 v[22:23], v[14:15], v[10:11]
	s_waitcnt lgkmcnt(1)
	v_mul_f64 v[32:33], v[14:15], v[6:7]
	v_add_f64 v[62:63], v[0:1], v[26:27]
	v_mul_f64 v[40:41], v[12:13], v[10:11]
	v_mul_f64 v[26:27], v[12:13], v[6:7]
	v_add_f64 v[58:59], v[20:21], v[34:35]
	s_waitcnt lgkmcnt(0)
	v_mul_f64 v[34:35], v[18:19], v[10:11]
	v_mul_f64 v[10:11], v[16:17], v[10:11]
	v_fma_f64 v[0:1], v[12:13], v[8:9], -v[22:23]
	v_fma_f64 v[12:13], v[12:13], v[4:5], -v[32:33]
	v_add_f64 v[22:23], v[36:37], v[56:57]
	v_fma_f64 v[20:21], v[14:15], v[8:9], v[40:41]
	v_fma_f64 v[14:15], v[14:15], v[4:5], v[26:27]
	v_mul_f64 v[32:33], v[18:19], v[6:7]
	v_fma_f64 v[34:35], v[16:17], v[8:9], -v[34:35]
	v_add_f64 v[0:1], v[52:53], v[0:1]
	v_add_f64 v[36:37], v[50:51], v[12:13]
	v_mul_f64 v[12:13], v[16:17], v[6:7]
	v_add_f64 v[20:21], v[20:21], v[54:55]
	v_add_f64 v[38:39], v[14:15], v[28:29]
	v_fma_f64 v[14:15], v[18:19], v[8:9], v[10:11]
	ds_read_b128 v[8:11], v30 offset:224
	ds_read_b128 v[26:29], v24 offset:7168
	v_fma_f64 v[16:17], v[16:17], v[4:5], -v[32:33]
	v_add_f64 v[6:7], v[62:63], v[34:35]
	ds_read_b128 v[32:35], v24 offset:7424
	ds_read_b128 v[54:57], v30 offset:8416
	v_fma_f64 v[4:5], v[18:19], v[4:5], v[12:13]
	s_waitcnt lgkmcnt(2)
	v_mul_f64 v[18:19], v[10:11], v[28:29]
	v_mul_f64 v[40:41], v[8:9], v[28:29]
	v_add_f64 v[42:43], v[14:15], v[60:61]
	s_waitcnt lgkmcnt(1)
	v_mul_f64 v[14:15], v[10:11], v[34:35]
	v_add_f64 v[44:45], v[58:59], v[16:17]
	v_mul_f64 v[16:17], v[8:9], v[34:35]
	v_add_f64 v[12:13], v[4:5], v[22:23]
	v_fma_f64 v[4:5], v[8:9], v[26:27], -v[18:19]
	v_fma_f64 v[18:19], v[10:11], v[26:27], v[40:41]
	s_waitcnt lgkmcnt(0)
	v_mul_f64 v[22:23], v[56:57], v[28:29]
	v_mul_f64 v[28:29], v[54:55], v[28:29]
	v_fma_f64 v[8:9], v[8:9], v[32:33], -v[14:15]
	v_fma_f64 v[10:11], v[10:11], v[32:33], v[16:17]
	v_add_f64 v[16:17], v[0:1], v[4:5]
	v_add_f64 v[14:15], v[18:19], v[20:21]
	v_fma_f64 v[0:1], v[54:55], v[26:27], -v[22:23]
	v_mul_f64 v[20:21], v[56:57], v[34:35]
	v_mul_f64 v[22:23], v[54:55], v[34:35]
	v_fma_f64 v[34:35], v[56:57], v[26:27], v[28:29]
	v_add_f64 v[18:19], v[36:37], v[8:9]
	v_add_f64 v[50:51], v[10:11], v[38:39]
	ds_read_b128 v[26:29], v30 offset:240
	ds_read_b128 v[8:11], v24 offset:7680
	v_add_f64 v[52:53], v[6:7], v[0:1]
	v_fma_f64 v[0:1], v[54:55], v[32:33], -v[20:21]
	ds_read_b128 v[4:7], v24 offset:7936
	v_fma_f64 v[58:59], v[56:57], v[32:33], v[22:23]
	v_add_f64 v[56:57], v[34:35], v[42:43]
	ds_read_b128 v[34:37], v30 offset:8432
	s_waitcnt lgkmcnt(2)
	v_mul_f64 v[20:21], v[28:29], v[10:11]
	v_mul_f64 v[22:23], v[26:27], v[10:11]
	s_waitcnt lgkmcnt(1)
	v_mul_f64 v[38:39], v[28:29], v[6:7]
	v_add_f64 v[54:55], v[44:45], v[0:1]
	s_waitcnt lgkmcnt(0)
	v_mul_f64 v[0:1], v[36:37], v[10:11]
	v_mul_f64 v[10:11], v[34:35], v[10:11]
	;; [unrolled: 1-line block ×3, first 2 shown]
	v_add_f64 v[12:13], v[58:59], v[12:13]
	v_fma_f64 v[32:33], v[26:27], v[8:9], -v[20:21]
	v_fma_f64 v[22:23], v[28:29], v[8:9], v[22:23]
	v_fma_f64 v[26:27], v[26:27], v[4:5], -v[38:39]
	v_fma_f64 v[0:1], v[34:35], v[8:9], -v[0:1]
	v_fma_f64 v[10:11], v[36:37], v[8:9], v[10:11]
	v_mul_f64 v[8:9], v[36:37], v[6:7]
	v_mul_f64 v[6:7], v[34:35], v[6:7]
	v_fma_f64 v[28:29], v[28:29], v[4:5], v[40:41]
	v_add_f64 v[32:33], v[16:17], v[32:33]
	v_add_f64 v[14:15], v[22:23], v[14:15]
	;; [unrolled: 1-line block ×5, first 2 shown]
	v_fma_f64 v[20:21], v[34:35], v[4:5], -v[8:9]
	v_fma_f64 v[38:39], v[36:37], v[4:5], v[6:7]
	ds_read_b128 v[6:9], v30 offset:256
	ds_read_b128 v[34:37], v24 offset:8192
	;; [unrolled: 1-line block ×4, first 2 shown]
	v_add_f64 v[4:5], v[28:29], v[50:51]
	s_waitcnt lgkmcnt(2)
	v_mul_f64 v[42:43], v[6:7], v[36:37]
	v_mul_f64 v[40:41], v[8:9], v[36:37]
	s_waitcnt lgkmcnt(1)
	v_mul_f64 v[28:29], v[8:9], v[18:19]
	v_add_f64 v[56:57], v[38:39], v[12:13]
	v_mul_f64 v[12:13], v[6:7], v[18:19]
	v_add_f64 v[20:21], v[54:55], v[20:21]
	v_fma_f64 v[10:11], v[8:9], v[34:35], v[42:43]
	v_fma_f64 v[26:27], v[6:7], v[34:35], -v[40:41]
	v_fma_f64 v[6:7], v[6:7], v[16:17], -v[28:29]
	v_fma_f64 v[28:29], v[8:9], v[16:17], v[12:13]
	v_add_f64 v[54:55], v[10:11], v[14:15]
	s_waitcnt lgkmcnt(0)
	v_mul_f64 v[10:11], v[58:59], v[36:37]
	v_add_f64 v[52:53], v[32:33], v[26:27]
	v_mul_f64 v[26:27], v[60:61], v[36:37]
	v_mul_f64 v[14:15], v[60:61], v[18:19]
	;; [unrolled: 1-line block ×3, first 2 shown]
	v_add_f64 v[50:51], v[22:23], v[6:7]
	v_add_f64 v[28:29], v[28:29], v[4:5]
	v_fma_f64 v[32:33], v[60:61], v[34:35], v[10:11]
	v_fma_f64 v[26:27], v[58:59], v[34:35], -v[26:27]
	v_fma_f64 v[34:35], v[58:59], v[16:17], -v[14:15]
	ds_read_b128 v[12:15], v30 offset:272
	ds_read_b128 v[8:11], v24 offset:8704
	;; [unrolled: 1-line block ×3, first 2 shown]
	v_fma_f64 v[36:37], v[60:61], v[16:17], v[18:19]
	ds_read_b128 v[16:19], v30 offset:8464
	v_add_f64 v[60:61], v[32:33], v[44:45]
	s_waitcnt lgkmcnt(2)
	v_mul_f64 v[22:23], v[14:15], v[10:11]
	s_waitcnt lgkmcnt(1)
	v_mul_f64 v[32:33], v[14:15], v[6:7]
	v_add_f64 v[62:63], v[0:1], v[26:27]
	v_mul_f64 v[40:41], v[12:13], v[10:11]
	v_mul_f64 v[26:27], v[12:13], v[6:7]
	v_add_f64 v[58:59], v[20:21], v[34:35]
	s_waitcnt lgkmcnt(0)
	v_mul_f64 v[34:35], v[18:19], v[10:11]
	v_mul_f64 v[10:11], v[16:17], v[10:11]
	v_fma_f64 v[0:1], v[12:13], v[8:9], -v[22:23]
	v_fma_f64 v[12:13], v[12:13], v[4:5], -v[32:33]
	v_add_f64 v[22:23], v[36:37], v[56:57]
	v_fma_f64 v[20:21], v[14:15], v[8:9], v[40:41]
	v_fma_f64 v[14:15], v[14:15], v[4:5], v[26:27]
	v_mul_f64 v[32:33], v[18:19], v[6:7]
	v_fma_f64 v[34:35], v[16:17], v[8:9], -v[34:35]
	v_add_f64 v[0:1], v[52:53], v[0:1]
	v_add_f64 v[36:37], v[50:51], v[12:13]
	v_mul_f64 v[12:13], v[16:17], v[6:7]
	v_add_f64 v[20:21], v[20:21], v[54:55]
	v_add_f64 v[38:39], v[14:15], v[28:29]
	v_fma_f64 v[14:15], v[18:19], v[8:9], v[10:11]
	ds_read_b128 v[8:11], v30 offset:288
	ds_read_b128 v[26:29], v24 offset:9216
	v_fma_f64 v[16:17], v[16:17], v[4:5], -v[32:33]
	v_add_f64 v[6:7], v[62:63], v[34:35]
	ds_read_b128 v[32:35], v24 offset:9472
	ds_read_b128 v[54:57], v30 offset:8480
	v_fma_f64 v[4:5], v[18:19], v[4:5], v[12:13]
	s_waitcnt lgkmcnt(2)
	v_mul_f64 v[18:19], v[10:11], v[28:29]
	v_mul_f64 v[40:41], v[8:9], v[28:29]
	v_add_f64 v[42:43], v[14:15], v[60:61]
	s_waitcnt lgkmcnt(1)
	v_mul_f64 v[14:15], v[10:11], v[34:35]
	v_add_f64 v[44:45], v[58:59], v[16:17]
	v_mul_f64 v[16:17], v[8:9], v[34:35]
	v_add_f64 v[12:13], v[4:5], v[22:23]
	v_fma_f64 v[4:5], v[8:9], v[26:27], -v[18:19]
	v_fma_f64 v[18:19], v[10:11], v[26:27], v[40:41]
	s_waitcnt lgkmcnt(0)
	v_mul_f64 v[22:23], v[56:57], v[28:29]
	v_mul_f64 v[28:29], v[54:55], v[28:29]
	v_fma_f64 v[8:9], v[8:9], v[32:33], -v[14:15]
	v_fma_f64 v[10:11], v[10:11], v[32:33], v[16:17]
	v_add_f64 v[16:17], v[0:1], v[4:5]
	v_add_f64 v[14:15], v[18:19], v[20:21]
	v_fma_f64 v[0:1], v[54:55], v[26:27], -v[22:23]
	v_mul_f64 v[20:21], v[56:57], v[34:35]
	v_mul_f64 v[22:23], v[54:55], v[34:35]
	v_fma_f64 v[34:35], v[56:57], v[26:27], v[28:29]
	v_add_f64 v[18:19], v[36:37], v[8:9]
	v_add_f64 v[50:51], v[10:11], v[38:39]
	ds_read_b128 v[26:29], v30 offset:304
	ds_read_b128 v[8:11], v24 offset:9728
	v_add_f64 v[52:53], v[6:7], v[0:1]
	v_fma_f64 v[0:1], v[54:55], v[32:33], -v[20:21]
	ds_read_b128 v[4:7], v24 offset:9984
	v_fma_f64 v[58:59], v[56:57], v[32:33], v[22:23]
	v_add_f64 v[56:57], v[34:35], v[42:43]
	ds_read_b128 v[34:37], v30 offset:8496
	s_waitcnt lgkmcnt(2)
	v_mul_f64 v[20:21], v[28:29], v[10:11]
	v_mul_f64 v[22:23], v[26:27], v[10:11]
	s_waitcnt lgkmcnt(1)
	v_mul_f64 v[38:39], v[28:29], v[6:7]
	v_add_f64 v[54:55], v[44:45], v[0:1]
	s_waitcnt lgkmcnt(0)
	v_mul_f64 v[0:1], v[36:37], v[10:11]
	v_mul_f64 v[10:11], v[34:35], v[10:11]
	v_mul_f64 v[40:41], v[26:27], v[6:7]
	v_add_f64 v[12:13], v[58:59], v[12:13]
	v_fma_f64 v[32:33], v[26:27], v[8:9], -v[20:21]
	v_fma_f64 v[22:23], v[28:29], v[8:9], v[22:23]
	v_fma_f64 v[26:27], v[26:27], v[4:5], -v[38:39]
	v_fma_f64 v[0:1], v[34:35], v[8:9], -v[0:1]
	v_fma_f64 v[10:11], v[36:37], v[8:9], v[10:11]
	v_mul_f64 v[8:9], v[36:37], v[6:7]
	v_mul_f64 v[6:7], v[34:35], v[6:7]
	v_fma_f64 v[28:29], v[28:29], v[4:5], v[40:41]
	v_add_f64 v[32:33], v[16:17], v[32:33]
	v_add_f64 v[14:15], v[22:23], v[14:15]
	;; [unrolled: 1-line block ×5, first 2 shown]
	v_fma_f64 v[20:21], v[34:35], v[4:5], -v[8:9]
	v_fma_f64 v[38:39], v[36:37], v[4:5], v[6:7]
	ds_read_b128 v[6:9], v30 offset:320
	ds_read_b128 v[34:37], v24 offset:10240
	;; [unrolled: 1-line block ×4, first 2 shown]
	v_add_f64 v[4:5], v[28:29], v[50:51]
	s_waitcnt lgkmcnt(2)
	v_mul_f64 v[42:43], v[6:7], v[36:37]
	v_mul_f64 v[40:41], v[8:9], v[36:37]
	s_waitcnt lgkmcnt(1)
	v_mul_f64 v[28:29], v[8:9], v[18:19]
	v_add_f64 v[56:57], v[38:39], v[12:13]
	v_mul_f64 v[12:13], v[6:7], v[18:19]
	v_add_f64 v[20:21], v[54:55], v[20:21]
	v_fma_f64 v[10:11], v[8:9], v[34:35], v[42:43]
	v_fma_f64 v[26:27], v[6:7], v[34:35], -v[40:41]
	v_fma_f64 v[6:7], v[6:7], v[16:17], -v[28:29]
	v_fma_f64 v[28:29], v[8:9], v[16:17], v[12:13]
	v_add_f64 v[54:55], v[10:11], v[14:15]
	s_waitcnt lgkmcnt(0)
	v_mul_f64 v[10:11], v[58:59], v[36:37]
	v_add_f64 v[52:53], v[32:33], v[26:27]
	v_mul_f64 v[26:27], v[60:61], v[36:37]
	v_mul_f64 v[14:15], v[60:61], v[18:19]
	;; [unrolled: 1-line block ×3, first 2 shown]
	v_add_f64 v[50:51], v[22:23], v[6:7]
	v_add_f64 v[28:29], v[28:29], v[4:5]
	v_fma_f64 v[32:33], v[60:61], v[34:35], v[10:11]
	v_fma_f64 v[26:27], v[58:59], v[34:35], -v[26:27]
	v_fma_f64 v[34:35], v[58:59], v[16:17], -v[14:15]
	ds_read_b128 v[12:15], v30 offset:336
	ds_read_b128 v[8:11], v24 offset:10752
	;; [unrolled: 1-line block ×3, first 2 shown]
	v_fma_f64 v[36:37], v[60:61], v[16:17], v[18:19]
	ds_read_b128 v[16:19], v30 offset:8528
	v_add_f64 v[60:61], v[32:33], v[44:45]
	s_waitcnt lgkmcnt(2)
	v_mul_f64 v[22:23], v[14:15], v[10:11]
	s_waitcnt lgkmcnt(1)
	v_mul_f64 v[32:33], v[14:15], v[6:7]
	v_add_f64 v[62:63], v[0:1], v[26:27]
	v_mul_f64 v[40:41], v[12:13], v[10:11]
	v_mul_f64 v[26:27], v[12:13], v[6:7]
	v_add_f64 v[58:59], v[20:21], v[34:35]
	s_waitcnt lgkmcnt(0)
	v_mul_f64 v[34:35], v[18:19], v[10:11]
	v_mul_f64 v[10:11], v[16:17], v[10:11]
	v_fma_f64 v[0:1], v[12:13], v[8:9], -v[22:23]
	v_fma_f64 v[12:13], v[12:13], v[4:5], -v[32:33]
	v_add_f64 v[22:23], v[36:37], v[56:57]
	v_fma_f64 v[20:21], v[14:15], v[8:9], v[40:41]
	v_fma_f64 v[14:15], v[14:15], v[4:5], v[26:27]
	v_mul_f64 v[32:33], v[18:19], v[6:7]
	v_fma_f64 v[34:35], v[16:17], v[8:9], -v[34:35]
	v_add_f64 v[0:1], v[52:53], v[0:1]
	v_add_f64 v[36:37], v[50:51], v[12:13]
	v_mul_f64 v[12:13], v[16:17], v[6:7]
	v_add_f64 v[20:21], v[20:21], v[54:55]
	v_add_f64 v[38:39], v[14:15], v[28:29]
	v_fma_f64 v[14:15], v[18:19], v[8:9], v[10:11]
	ds_read_b128 v[8:11], v30 offset:352
	ds_read_b128 v[26:29], v24 offset:11264
	v_fma_f64 v[16:17], v[16:17], v[4:5], -v[32:33]
	v_add_f64 v[6:7], v[62:63], v[34:35]
	ds_read_b128 v[32:35], v24 offset:11520
	ds_read_b128 v[54:57], v30 offset:8544
	v_fma_f64 v[4:5], v[18:19], v[4:5], v[12:13]
	s_waitcnt lgkmcnt(2)
	v_mul_f64 v[18:19], v[10:11], v[28:29]
	v_mul_f64 v[40:41], v[8:9], v[28:29]
	v_add_f64 v[42:43], v[14:15], v[60:61]
	s_waitcnt lgkmcnt(1)
	v_mul_f64 v[14:15], v[10:11], v[34:35]
	v_add_f64 v[44:45], v[58:59], v[16:17]
	v_mul_f64 v[16:17], v[8:9], v[34:35]
	v_add_f64 v[12:13], v[4:5], v[22:23]
	v_fma_f64 v[4:5], v[8:9], v[26:27], -v[18:19]
	v_fma_f64 v[18:19], v[10:11], v[26:27], v[40:41]
	s_waitcnt lgkmcnt(0)
	v_mul_f64 v[22:23], v[56:57], v[28:29]
	v_mul_f64 v[28:29], v[54:55], v[28:29]
	v_fma_f64 v[8:9], v[8:9], v[32:33], -v[14:15]
	v_fma_f64 v[10:11], v[10:11], v[32:33], v[16:17]
	v_add_f64 v[16:17], v[0:1], v[4:5]
	v_add_f64 v[14:15], v[18:19], v[20:21]
	v_fma_f64 v[0:1], v[54:55], v[26:27], -v[22:23]
	v_mul_f64 v[20:21], v[56:57], v[34:35]
	v_mul_f64 v[22:23], v[54:55], v[34:35]
	v_fma_f64 v[34:35], v[56:57], v[26:27], v[28:29]
	v_add_f64 v[18:19], v[36:37], v[8:9]
	v_add_f64 v[50:51], v[10:11], v[38:39]
	ds_read_b128 v[26:29], v30 offset:368
	ds_read_b128 v[8:11], v24 offset:11776
	v_add_f64 v[52:53], v[6:7], v[0:1]
	v_fma_f64 v[0:1], v[54:55], v[32:33], -v[20:21]
	ds_read_b128 v[4:7], v24 offset:12032
	v_fma_f64 v[58:59], v[56:57], v[32:33], v[22:23]
	v_add_f64 v[56:57], v[34:35], v[42:43]
	ds_read_b128 v[34:37], v30 offset:8560
	s_waitcnt lgkmcnt(2)
	v_mul_f64 v[20:21], v[28:29], v[10:11]
	v_mul_f64 v[22:23], v[26:27], v[10:11]
	s_waitcnt lgkmcnt(1)
	v_mul_f64 v[38:39], v[28:29], v[6:7]
	v_add_f64 v[54:55], v[44:45], v[0:1]
	s_waitcnt lgkmcnt(0)
	v_mul_f64 v[0:1], v[36:37], v[10:11]
	v_mul_f64 v[10:11], v[34:35], v[10:11]
	;; [unrolled: 1-line block ×3, first 2 shown]
	v_add_f64 v[12:13], v[58:59], v[12:13]
	v_fma_f64 v[32:33], v[26:27], v[8:9], -v[20:21]
	v_fma_f64 v[22:23], v[28:29], v[8:9], v[22:23]
	v_fma_f64 v[26:27], v[26:27], v[4:5], -v[38:39]
	v_fma_f64 v[0:1], v[34:35], v[8:9], -v[0:1]
	v_fma_f64 v[10:11], v[36:37], v[8:9], v[10:11]
	v_mul_f64 v[8:9], v[36:37], v[6:7]
	v_mul_f64 v[6:7], v[34:35], v[6:7]
	v_fma_f64 v[28:29], v[28:29], v[4:5], v[40:41]
	v_add_f64 v[32:33], v[16:17], v[32:33]
	v_add_f64 v[14:15], v[22:23], v[14:15]
	;; [unrolled: 1-line block ×5, first 2 shown]
	v_fma_f64 v[20:21], v[34:35], v[4:5], -v[8:9]
	v_fma_f64 v[38:39], v[36:37], v[4:5], v[6:7]
	ds_read_b128 v[6:9], v30 offset:384
	ds_read_b128 v[34:37], v24 offset:12288
	;; [unrolled: 1-line block ×4, first 2 shown]
	v_add_f64 v[4:5], v[28:29], v[50:51]
	s_waitcnt lgkmcnt(2)
	v_mul_f64 v[42:43], v[6:7], v[36:37]
	v_mul_f64 v[40:41], v[8:9], v[36:37]
	s_waitcnt lgkmcnt(1)
	v_mul_f64 v[28:29], v[8:9], v[18:19]
	v_add_f64 v[56:57], v[38:39], v[12:13]
	v_mul_f64 v[12:13], v[6:7], v[18:19]
	v_add_f64 v[20:21], v[54:55], v[20:21]
	v_fma_f64 v[10:11], v[8:9], v[34:35], v[42:43]
	v_fma_f64 v[26:27], v[6:7], v[34:35], -v[40:41]
	v_fma_f64 v[6:7], v[6:7], v[16:17], -v[28:29]
	v_fma_f64 v[28:29], v[8:9], v[16:17], v[12:13]
	v_add_f64 v[54:55], v[10:11], v[14:15]
	s_waitcnt lgkmcnt(0)
	v_mul_f64 v[10:11], v[58:59], v[36:37]
	v_add_f64 v[52:53], v[32:33], v[26:27]
	v_mul_f64 v[26:27], v[60:61], v[36:37]
	v_mul_f64 v[14:15], v[60:61], v[18:19]
	;; [unrolled: 1-line block ×3, first 2 shown]
	v_add_f64 v[50:51], v[22:23], v[6:7]
	v_add_f64 v[28:29], v[28:29], v[4:5]
	v_fma_f64 v[32:33], v[60:61], v[34:35], v[10:11]
	v_fma_f64 v[26:27], v[58:59], v[34:35], -v[26:27]
	v_fma_f64 v[34:35], v[58:59], v[16:17], -v[14:15]
	ds_read_b128 v[12:15], v30 offset:400
	ds_read_b128 v[8:11], v24 offset:12800
	;; [unrolled: 1-line block ×3, first 2 shown]
	v_fma_f64 v[36:37], v[60:61], v[16:17], v[18:19]
	ds_read_b128 v[16:19], v30 offset:8592
	v_add_f64 v[60:61], v[32:33], v[44:45]
	s_waitcnt lgkmcnt(2)
	v_mul_f64 v[22:23], v[14:15], v[10:11]
	s_waitcnt lgkmcnt(1)
	v_mul_f64 v[32:33], v[14:15], v[6:7]
	v_add_f64 v[62:63], v[0:1], v[26:27]
	v_mul_f64 v[40:41], v[12:13], v[10:11]
	v_mul_f64 v[26:27], v[12:13], v[6:7]
	v_add_f64 v[58:59], v[20:21], v[34:35]
	s_waitcnt lgkmcnt(0)
	v_mul_f64 v[34:35], v[18:19], v[10:11]
	v_mul_f64 v[10:11], v[16:17], v[10:11]
	v_fma_f64 v[0:1], v[12:13], v[8:9], -v[22:23]
	v_fma_f64 v[12:13], v[12:13], v[4:5], -v[32:33]
	v_add_f64 v[22:23], v[36:37], v[56:57]
	v_fma_f64 v[20:21], v[14:15], v[8:9], v[40:41]
	v_fma_f64 v[14:15], v[14:15], v[4:5], v[26:27]
	v_mul_f64 v[32:33], v[18:19], v[6:7]
	v_fma_f64 v[34:35], v[16:17], v[8:9], -v[34:35]
	v_add_f64 v[0:1], v[52:53], v[0:1]
	v_add_f64 v[36:37], v[50:51], v[12:13]
	v_mul_f64 v[12:13], v[16:17], v[6:7]
	v_add_f64 v[20:21], v[20:21], v[54:55]
	v_add_f64 v[38:39], v[14:15], v[28:29]
	v_fma_f64 v[14:15], v[18:19], v[8:9], v[10:11]
	ds_read_b128 v[8:11], v30 offset:416
	ds_read_b128 v[26:29], v24 offset:13312
	v_fma_f64 v[16:17], v[16:17], v[4:5], -v[32:33]
	v_add_f64 v[6:7], v[62:63], v[34:35]
	ds_read_b128 v[32:35], v24 offset:13568
	ds_read_b128 v[54:57], v30 offset:8608
	v_fma_f64 v[4:5], v[18:19], v[4:5], v[12:13]
	s_waitcnt lgkmcnt(2)
	v_mul_f64 v[18:19], v[10:11], v[28:29]
	v_mul_f64 v[40:41], v[8:9], v[28:29]
	v_add_f64 v[42:43], v[14:15], v[60:61]
	s_waitcnt lgkmcnt(1)
	v_mul_f64 v[14:15], v[10:11], v[34:35]
	v_add_f64 v[44:45], v[58:59], v[16:17]
	v_mul_f64 v[16:17], v[8:9], v[34:35]
	v_add_f64 v[12:13], v[4:5], v[22:23]
	v_fma_f64 v[4:5], v[8:9], v[26:27], -v[18:19]
	v_fma_f64 v[18:19], v[10:11], v[26:27], v[40:41]
	s_waitcnt lgkmcnt(0)
	v_mul_f64 v[22:23], v[56:57], v[28:29]
	v_mul_f64 v[28:29], v[54:55], v[28:29]
	v_fma_f64 v[8:9], v[8:9], v[32:33], -v[14:15]
	v_fma_f64 v[10:11], v[10:11], v[32:33], v[16:17]
	v_add_f64 v[16:17], v[0:1], v[4:5]
	v_add_f64 v[14:15], v[18:19], v[20:21]
	v_fma_f64 v[0:1], v[54:55], v[26:27], -v[22:23]
	v_mul_f64 v[20:21], v[56:57], v[34:35]
	v_mul_f64 v[22:23], v[54:55], v[34:35]
	v_fma_f64 v[34:35], v[56:57], v[26:27], v[28:29]
	v_add_f64 v[18:19], v[36:37], v[8:9]
	v_add_f64 v[50:51], v[10:11], v[38:39]
	ds_read_b128 v[26:29], v30 offset:432
	ds_read_b128 v[8:11], v24 offset:13824
	v_add_f64 v[52:53], v[6:7], v[0:1]
	v_fma_f64 v[0:1], v[54:55], v[32:33], -v[20:21]
	ds_read_b128 v[4:7], v24 offset:14080
	v_fma_f64 v[58:59], v[56:57], v[32:33], v[22:23]
	v_add_f64 v[56:57], v[34:35], v[42:43]
	ds_read_b128 v[34:37], v30 offset:8624
	s_waitcnt lgkmcnt(2)
	v_mul_f64 v[20:21], v[28:29], v[10:11]
	v_mul_f64 v[22:23], v[26:27], v[10:11]
	s_waitcnt lgkmcnt(1)
	v_mul_f64 v[38:39], v[28:29], v[6:7]
	v_add_f64 v[54:55], v[44:45], v[0:1]
	s_waitcnt lgkmcnt(0)
	v_mul_f64 v[0:1], v[36:37], v[10:11]
	v_mul_f64 v[10:11], v[34:35], v[10:11]
	;; [unrolled: 1-line block ×3, first 2 shown]
	v_add_f64 v[12:13], v[58:59], v[12:13]
	v_fma_f64 v[32:33], v[26:27], v[8:9], -v[20:21]
	v_fma_f64 v[22:23], v[28:29], v[8:9], v[22:23]
	v_fma_f64 v[26:27], v[26:27], v[4:5], -v[38:39]
	v_fma_f64 v[0:1], v[34:35], v[8:9], -v[0:1]
	v_fma_f64 v[10:11], v[36:37], v[8:9], v[10:11]
	v_mul_f64 v[8:9], v[36:37], v[6:7]
	v_mul_f64 v[6:7], v[34:35], v[6:7]
	v_fma_f64 v[28:29], v[28:29], v[4:5], v[40:41]
	v_add_f64 v[32:33], v[16:17], v[32:33]
	v_add_f64 v[14:15], v[22:23], v[14:15]
	v_add_f64 v[22:23], v[18:19], v[26:27]
	v_add_f64 v[0:1], v[52:53], v[0:1]
	v_add_f64 v[44:45], v[10:11], v[56:57]
	v_fma_f64 v[20:21], v[34:35], v[4:5], -v[8:9]
	v_fma_f64 v[38:39], v[36:37], v[4:5], v[6:7]
	ds_read_b128 v[6:9], v30 offset:448
	ds_read_b128 v[34:37], v24 offset:14336
	;; [unrolled: 1-line block ×4, first 2 shown]
	v_add_f64 v[4:5], v[28:29], v[50:51]
	s_waitcnt lgkmcnt(2)
	v_mul_f64 v[40:41], v[8:9], v[36:37]
	v_mul_f64 v[42:43], v[6:7], v[36:37]
	s_waitcnt lgkmcnt(1)
	v_mul_f64 v[28:29], v[8:9], v[18:19]
	v_add_f64 v[56:57], v[38:39], v[12:13]
	v_mul_f64 v[12:13], v[6:7], v[18:19]
	v_add_f64 v[20:21], v[54:55], v[20:21]
	v_fma_f64 v[26:27], v[6:7], v[34:35], -v[40:41]
	v_fma_f64 v[10:11], v[8:9], v[34:35], v[42:43]
	v_fma_f64 v[6:7], v[6:7], v[16:17], -v[28:29]
	v_fma_f64 v[28:29], v[8:9], v[16:17], v[12:13]
	v_add_f64 v[52:53], v[32:33], v[26:27]
	s_waitcnt lgkmcnt(0)
	v_mul_f64 v[26:27], v[60:61], v[36:37]
	v_add_f64 v[54:55], v[10:11], v[14:15]
	v_mul_f64 v[10:11], v[58:59], v[36:37]
	v_mul_f64 v[14:15], v[60:61], v[18:19]
	;; [unrolled: 1-line block ×3, first 2 shown]
	v_add_f64 v[50:51], v[22:23], v[6:7]
	v_add_f64 v[28:29], v[28:29], v[4:5]
	v_fma_f64 v[26:27], v[58:59], v[34:35], -v[26:27]
	v_fma_f64 v[32:33], v[60:61], v[34:35], v[10:11]
	v_fma_f64 v[34:35], v[58:59], v[16:17], -v[14:15]
	ds_read_b128 v[12:15], v30 offset:464
	ds_read_b128 v[8:11], v24 offset:14848
	;; [unrolled: 1-line block ×3, first 2 shown]
	v_fma_f64 v[36:37], v[60:61], v[16:17], v[18:19]
	ds_read_b128 v[16:19], v30 offset:8656
	v_add_f64 v[62:63], v[0:1], v[26:27]
	s_waitcnt lgkmcnt(2)
	v_mul_f64 v[22:23], v[14:15], v[10:11]
	v_mul_f64 v[40:41], v[12:13], v[10:11]
	v_add_f64 v[60:61], v[32:33], v[44:45]
	s_waitcnt lgkmcnt(1)
	v_mul_f64 v[32:33], v[14:15], v[6:7]
	v_mul_f64 v[26:27], v[12:13], v[6:7]
	;; [unrolled: 4-line block ×3, first 2 shown]
	v_fma_f64 v[0:1], v[12:13], v[8:9], -v[22:23]
	v_fma_f64 v[20:21], v[14:15], v[8:9], v[40:41]
	v_add_f64 v[22:23], v[36:37], v[56:57]
	v_fma_f64 v[12:13], v[12:13], v[4:5], -v[32:33]
	v_fma_f64 v[14:15], v[14:15], v[4:5], v[26:27]
	v_mul_f64 v[26:27], v[18:19], v[6:7]
	v_fma_f64 v[32:33], v[16:17], v[8:9], -v[34:35]
	v_mul_f64 v[34:35], v[16:17], v[6:7]
	v_fma_f64 v[40:41], v[18:19], v[8:9], v[10:11]
	v_add_f64 v[0:1], v[52:53], v[0:1]
	v_add_f64 v[20:21], v[20:21], v[54:55]
	;; [unrolled: 1-line block ×4, first 2 shown]
	ds_read_b128 v[8:11], v30 offset:480
	ds_read_b128 v[12:15], v24 offset:15360
	v_fma_f64 v[16:17], v[16:17], v[4:5], -v[26:27]
	ds_read_b128 v[26:29], v24 offset:15616
	v_fma_f64 v[4:5], v[18:19], v[4:5], v[34:35]
	v_add_f64 v[6:7], v[62:63], v[32:33]
	s_waitcnt lgkmcnt(1)
	v_mul_f64 v[18:19], v[10:11], v[14:15]
	ds_read_b128 v[32:35], v30 offset:8672
	s_waitcnt lgkmcnt(1)
	v_mul_f64 v[44:45], v[10:11], v[28:29]
	v_mul_f64 v[42:43], v[8:9], v[14:15]
	v_add_f64 v[58:59], v[58:59], v[16:17]
	v_mul_f64 v[16:17], v[8:9], v[28:29]
	v_add_f64 v[52:53], v[4:5], v[22:23]
	s_waitcnt lgkmcnt(0)
	v_mul_f64 v[22:23], v[34:35], v[14:15]
	v_fma_f64 v[4:5], v[8:9], v[12:13], -v[18:19]
	v_mul_f64 v[14:15], v[32:33], v[14:15]
	v_fma_f64 v[8:9], v[8:9], v[26:27], -v[44:45]
	v_fma_f64 v[18:19], v[10:11], v[12:13], v[42:43]
	v_add_f64 v[40:41], v[40:41], v[60:61]
	v_fma_f64 v[10:11], v[10:11], v[26:27], v[16:17]
	v_add_f64 v[16:17], v[0:1], v[4:5]
	v_fma_f64 v[0:1], v[32:33], v[12:13], -v[22:23]
	v_add_f64 v[50:51], v[36:37], v[8:9]
	v_mul_f64 v[36:37], v[34:35], v[28:29]
	v_mul_f64 v[28:29], v[32:33], v[28:29]
	v_fma_f64 v[12:13], v[34:35], v[12:13], v[14:15]
	v_add_f64 v[18:19], v[18:19], v[20:21]
	v_add_f64 v[56:57], v[10:11], v[38:39]
	ds_read_b128 v[20:23], v30 offset:496
	ds_read_b128 v[8:11], v24 offset:15872
	v_add_f64 v[60:61], v[6:7], v[0:1]
	ds_read_b128 v[4:7], v24 offset:16128
	v_fma_f64 v[0:1], v[32:33], v[26:27], -v[36:37]
	v_fma_f64 v[54:55], v[34:35], v[26:27], v[28:29]
	s_waitcnt lgkmcnt(1)
	v_mul_f64 v[26:27], v[22:23], v[10:11]
	v_mul_f64 v[32:33], v[20:21], v[10:11]
	v_add_f64 v[28:29], v[12:13], v[40:41]
	ds_read_b128 v[12:15], v30 offset:8688
	s_waitcnt lgkmcnt(1)
	v_mul_f64 v[34:35], v[22:23], v[6:7]
	v_mul_f64 v[36:37], v[20:21], v[6:7]
	v_add_f64 v[62:63], v[58:59], v[0:1]
	v_fma_f64 v[0:1], v[20:21], v[8:9], -v[26:27]
	v_fma_f64 v[26:27], v[22:23], v[8:9], v[32:33]
	s_waitcnt lgkmcnt(0)
	v_mul_f64 v[32:33], v[14:15], v[10:11]
	v_mul_f64 v[10:11], v[12:13], v[10:11]
	v_fma_f64 v[20:21], v[20:21], v[4:5], -v[34:35]
	v_fma_f64 v[22:23], v[22:23], v[4:5], v[36:37]
	v_add_f64 v[34:35], v[54:55], v[52:53]
	v_add_f64 v[58:59], v[26:27], v[18:19]
	v_fma_f64 v[32:33], v[12:13], v[8:9], -v[32:33]
	v_fma_f64 v[8:9], v[14:15], v[8:9], v[10:11]
	v_add_f64 v[54:55], v[50:51], v[20:21]
	v_add_f64 v[56:57], v[22:23], v[56:57]
	buffer_load_dword v22, off, s[60:63], 0 offset:24 ; 4-byte Folded Reload
	buffer_load_dword v23, off, s[60:63], 0 offset:28 ; 4-byte Folded Reload
	s_waitcnt vmcnt(0)
	s_barrier
	buffer_load_dword v20, off, s[60:63], 0 offset:16 ; 4-byte Folded Reload
	buffer_load_dword v21, off, s[60:63], 0 offset:20 ; 4-byte Folded Reload
	v_mul_f64 v[10:11], v[14:15], v[6:7]
	v_mul_f64 v[6:7], v[12:13], v[6:7]
	v_add_f64 v[18:19], v[60:61], v[32:33]
	v_add_f64 v[52:53], v[8:9], v[28:29]
	v_fma_f64 v[10:11], v[12:13], v[4:5], -v[10:11]
	v_fma_f64 v[4:5], v[14:15], v[4:5], v[6:7]
	v_add_f64 v[6:7], v[16:17], v[0:1]
	v_mov_b32_e32 v0, s43
	v_add_f64 v[16:17], v[62:63], v[10:11]
	v_add_f64 v[50:51], v[4:5], v[34:35]
	s_waitcnt vmcnt(1)
	v_add_co_u32_e32 v20, vcc, s56, v20
	s_waitcnt vmcnt(0)
	v_addc_co_u32_e32 v21, vcc, 0, v21, vcc
	v_add_co_u32_e32 v48, vcc, s42, v48
	v_addc_co_u32_e32 v49, vcc, v49, v0, vcc
	v_add_co_u32_e32 v46, vcc, s42, v46
	;; [unrolled: 2-line block ×3, first 2 shown]
	v_addc_co_u32_e32 v23, vcc, 0, v23, vcc
	s_cbranch_scc1 .LBB109_55
.LBB109_7:                              ;   Parent Loop BB109_4 Depth=1
                                        ; =>  This Inner Loop Header: Depth=2
	buffer_load_dword v1, off, s[60:63], 0 offset:32 ; 4-byte Folded Reload
	v_mov_b32_e32 v0, s21
	s_waitcnt vmcnt(0)
	v_add_co_u32_e32 v8, vcc, s20, v1
	v_addc_co_u32_e32 v9, vcc, 0, v0, vcc
	buffer_load_dword v0, off, s[60:63], 0  ; 4-byte Folded Reload
	buffer_load_dword v1, off, s[60:63], 0 offset:4 ; 4-byte Folded Reload
	v_cmp_le_i64_e64 s[12:13], s[38:39], v[8:9]
	s_waitcnt vmcnt(1)
	v_add_co_u32_e32 v10, vcc, v46, v0
	s_waitcnt vmcnt(0)
	v_addc_co_u32_e32 v11, vcc, v47, v1, vcc
	buffer_load_dword v0, off, s[60:63], 0 offset:48 ; 4-byte Folded Reload
	buffer_load_dword v1, off, s[60:63], 0 offset:52 ; 4-byte Folded Reload
	s_waitcnt vmcnt(0)
	v_cmp_eq_u64_e64 s[16:17], s[20:21], v[0:1]
	buffer_load_dword v0, off, s[60:63], 0 offset:8 ; 4-byte Folded Reload
	buffer_load_dword v1, off, s[60:63], 0 offset:12 ; 4-byte Folded Reload
	s_and_b64 s[26:27], s[36:37], s[16:17]
	s_waitcnt vmcnt(0)
	v_cmp_gt_i64_e32 vcc, v[8:9], v[0:1]
	s_or_b64 s[16:17], s[12:13], vcc
	s_or_b64 s[16:17], s[16:17], s[26:27]
	s_nor_b64 s[16:17], s[0:1], s[16:17]
	s_and_saveexec_b64 s[18:19], s[16:17]
	s_xor_b64 s[16:17], exec, s[18:19]
	s_cbranch_execz .LBB109_9
; %bb.8:                                ;   in Loop: Header=BB109_7 Depth=2
	global_load_dwordx4 v[12:15], v[10:11], off offset:-256
	s_waitcnt vmcnt(0)
	ds_write2_b64 v25, v[12:13], v[14:15] offset1:1
.LBB109_9:                              ;   in Loop: Header=BB109_7 Depth=2
	s_or_saveexec_b64 s[16:17], s[16:17]
	s_xor_b64 s[22:23], s[26:27], -1
	s_xor_b64 exec, exec, s[16:17]
	s_cbranch_execz .LBB109_15
; %bb.10:                               ;   in Loop: Header=BB109_7 Depth=2
	s_and_saveexec_b64 s[18:19], s[22:23]
	s_xor_b64 s[18:19], exec, s[18:19]
; %bb.11:                               ;   in Loop: Header=BB109_7 Depth=2
	v_mov_b32_e32 v12, v2
	v_mov_b32_e32 v13, v2
	;; [unrolled: 1-line block ×4, first 2 shown]
	ds_write_b128 v25, v[12:15]
; %bb.12:                               ;   in Loop: Header=BB109_7 Depth=2
	s_andn2_saveexec_b64 s[18:19], s[18:19]
; %bb.13:                               ;   in Loop: Header=BB109_7 Depth=2
	v_mov_b32_e32 v4, v2
	v_mov_b32_e32 v5, v2
	ds_write_b128 v25, v[2:5]
; %bb.14:                               ;   in Loop: Header=BB109_7 Depth=2
	s_or_b64 exec, exec, s[18:19]
.LBB109_15:                             ;   in Loop: Header=BB109_7 Depth=2
	s_or_b64 exec, exec, s[16:17]
	buffer_load_dword v0, off, s[60:63], 0 offset:56 ; 4-byte Folded Reload
	buffer_load_dword v1, off, s[60:63], 0 offset:60 ; 4-byte Folded Reload
	s_waitcnt vmcnt(0)
	v_cmp_eq_u64_e64 s[16:17], s[20:21], v[0:1]
	buffer_load_dword v0, off, s[60:63], 0 offset:40 ; 4-byte Folded Reload
	buffer_load_dword v1, off, s[60:63], 0 offset:44 ; 4-byte Folded Reload
	s_and_b64 s[16:17], s[36:37], s[16:17]
	s_waitcnt vmcnt(0)
	v_cmp_lt_i64_e64 s[18:19], v[0:1], v[8:9]
	s_or_b64 s[12:13], s[12:13], s[18:19]
	s_or_b64 s[12:13], s[12:13], s[16:17]
	s_nor_b64 s[12:13], s[2:3], s[12:13]
	s_and_saveexec_b64 s[18:19], s[12:13]
	s_xor_b64 s[12:13], exec, s[18:19]
	s_cbranch_execz .LBB109_17
; %bb.16:                               ;   in Loop: Header=BB109_7 Depth=2
	global_load_dwordx4 v[10:13], v[10:11], off
	v_add_u32_e32 v0, 0x100, v25
	s_waitcnt vmcnt(0)
	ds_write2_b64 v0, v[10:11], v[12:13] offset1:1
.LBB109_17:                             ;   in Loop: Header=BB109_7 Depth=2
	s_andn2_saveexec_b64 s[12:13], s[12:13]
	s_cbranch_execz .LBB109_23
; %bb.18:                               ;   in Loop: Header=BB109_7 Depth=2
	s_xor_b64 s[16:17], s[16:17], -1
	s_and_saveexec_b64 s[18:19], s[16:17]
	s_xor_b64 s[16:17], exec, s[18:19]
; %bb.19:                               ;   in Loop: Header=BB109_7 Depth=2
	v_mov_b32_e32 v10, v2
	v_mov_b32_e32 v11, v2
	;; [unrolled: 1-line block ×4, first 2 shown]
	ds_write_b128 v25, v[10:13] offset:256
; %bb.20:                               ;   in Loop: Header=BB109_7 Depth=2
	s_andn2_saveexec_b64 s[16:17], s[16:17]
; %bb.21:                               ;   in Loop: Header=BB109_7 Depth=2
	v_mov_b32_e32 v4, v2
	v_mov_b32_e32 v5, v2
	ds_write_b128 v25, v[2:5] offset:256
; %bb.22:                               ;   in Loop: Header=BB109_7 Depth=2
	s_or_b64 exec, exec, s[16:17]
.LBB109_23:                             ;   in Loop: Header=BB109_7 Depth=2
	s_or_b64 exec, exec, s[12:13]
	buffer_load_dword v0, off, s[60:63], 0  ; 4-byte Folded Reload
	buffer_load_dword v1, off, s[60:63], 0 offset:4 ; 4-byte Folded Reload
	v_add_co_u32_e64 v4, s[12:13], 16, v8
	v_addc_co_u32_e64 v5, s[12:13], 0, v9, s[12:13]
	v_cmp_le_i64_e64 s[12:13], s[38:39], v[4:5]
	s_waitcnt vmcnt(1)
	v_add_co_u32_e64 v8, s[16:17], v48, v0
	s_waitcnt vmcnt(0)
	v_addc_co_u32_e64 v9, s[16:17], v49, v1, s[16:17]
	buffer_load_dword v0, off, s[60:63], 0 offset:64 ; 4-byte Folded Reload
	buffer_load_dword v1, off, s[60:63], 0 offset:68 ; 4-byte Folded Reload
	s_waitcnt vmcnt(0)
	v_cmp_eq_u64_e64 s[16:17], s[20:21], v[0:1]
	buffer_load_dword v0, off, s[60:63], 0 offset:8 ; 4-byte Folded Reload
	buffer_load_dword v1, off, s[60:63], 0 offset:12 ; 4-byte Folded Reload
	s_and_b64 s[30:31], s[36:37], s[16:17]
	s_waitcnt vmcnt(0)
	v_cmp_gt_i64_e64 s[18:19], v[4:5], v[0:1]
	s_or_b64 s[16:17], s[12:13], s[18:19]
	s_or_b64 s[16:17], s[16:17], s[30:31]
	s_nor_b64 s[16:17], s[0:1], s[16:17]
	s_and_saveexec_b64 s[18:19], s[16:17]
	s_xor_b64 s[16:17], exec, s[18:19]
	s_cbranch_execz .LBB109_25
; %bb.24:                               ;   in Loop: Header=BB109_7 Depth=2
	global_load_dwordx4 v[10:13], v[8:9], off offset:-256
	v_add_u32_e32 v0, 0x2000, v25
	s_waitcnt vmcnt(0)
	ds_write2_b64 v0, v[10:11], v[12:13] offset1:1
.LBB109_25:                             ;   in Loop: Header=BB109_7 Depth=2
	s_andn2_saveexec_b64 s[16:17], s[16:17]
	s_cbranch_execz .LBB109_31
; %bb.26:                               ;   in Loop: Header=BB109_7 Depth=2
	s_xor_b64 s[18:19], s[30:31], -1
	s_and_saveexec_b64 s[30:31], s[18:19]
	s_xor_b64 s[18:19], exec, s[30:31]
; %bb.27:                               ;   in Loop: Header=BB109_7 Depth=2
	v_mov_b32_e32 v10, v2
	v_mov_b32_e32 v11, v2
	;; [unrolled: 1-line block ×4, first 2 shown]
	ds_write_b128 v25, v[10:13] offset:8192
; %bb.28:                               ;   in Loop: Header=BB109_7 Depth=2
	s_andn2_saveexec_b64 s[18:19], s[18:19]
; %bb.29:                               ;   in Loop: Header=BB109_7 Depth=2
	v_mov_b32_e32 v4, v2
	v_mov_b32_e32 v5, v2
	ds_write_b128 v25, v[2:5] offset:8192
; %bb.30:                               ;   in Loop: Header=BB109_7 Depth=2
	s_or_b64 exec, exec, s[18:19]
.LBB109_31:                             ;   in Loop: Header=BB109_7 Depth=2
	s_or_b64 exec, exec, s[16:17]
	s_or_b64 s[12:13], s[12:13], vcc
	s_or_b64 s[12:13], s[12:13], s[26:27]
	s_nor_b64 s[12:13], s[2:3], s[12:13]
	s_and_saveexec_b64 s[16:17], s[12:13]
	s_xor_b64 s[12:13], exec, s[16:17]
	s_cbranch_execz .LBB109_33
; %bb.32:                               ;   in Loop: Header=BB109_7 Depth=2
	global_load_dwordx4 v[8:11], v[8:9], off
	v_add_u32_e32 v0, 0x2100, v25
	s_waitcnt vmcnt(0)
	ds_write2_b64 v0, v[8:9], v[10:11] offset1:1
.LBB109_33:                             ;   in Loop: Header=BB109_7 Depth=2
	s_andn2_saveexec_b64 s[12:13], s[12:13]
	s_cbranch_execz .LBB109_39
; %bb.34:                               ;   in Loop: Header=BB109_7 Depth=2
	s_and_saveexec_b64 s[16:17], s[22:23]
	s_xor_b64 s[16:17], exec, s[16:17]
; %bb.35:                               ;   in Loop: Header=BB109_7 Depth=2
	v_mov_b32_e32 v8, v2
	v_mov_b32_e32 v9, v2
	;; [unrolled: 1-line block ×4, first 2 shown]
	ds_write_b128 v25, v[8:11] offset:8448
; %bb.36:                               ;   in Loop: Header=BB109_7 Depth=2
	s_andn2_saveexec_b64 s[16:17], s[16:17]
; %bb.37:                               ;   in Loop: Header=BB109_7 Depth=2
	v_mov_b32_e32 v4, v2
	v_mov_b32_e32 v5, v2
	ds_write_b128 v25, v[2:5] offset:8448
; %bb.38:                               ;   in Loop: Header=BB109_7 Depth=2
	s_or_b64 exec, exec, s[16:17]
.LBB109_39:                             ;   in Loop: Header=BB109_7 Depth=2
	s_or_b64 exec, exec, s[12:13]
	buffer_load_dword v1, off, s[60:63], 0 offset:36 ; 4-byte Folded Reload
	v_mov_b32_e32 v0, s21
	s_waitcnt vmcnt(0)
	v_add_co_u32_e32 v4, vcc, s20, v1
	v_addc_co_u32_e32 v5, vcc, 0, v0, vcc
	v_cmp_gt_i64_e32 vcc, s[38:39], v[4:5]
	s_and_b64 s[12:13], s[8:9], vcc
	s_xor_b64 s[12:13], s[12:13], -1
	s_and_saveexec_b64 s[16:17], s[12:13]
	s_xor_b64 s[12:13], exec, s[16:17]
; %bb.40:                               ;   in Loop: Header=BB109_7 Depth=2
	v_mov_b32_e32 v8, v2
	v_mov_b32_e32 v9, v2
	;; [unrolled: 1-line block ×4, first 2 shown]
	ds_write_b128 v31, v[8:11]
; %bb.41:                               ;   in Loop: Header=BB109_7 Depth=2
	s_andn2_saveexec_b64 s[12:13], s[12:13]
	s_cbranch_execz .LBB109_43
; %bb.42:                               ;   in Loop: Header=BB109_7 Depth=2
	global_load_dwordx4 v[8:11], v[20:21], off offset:-256
	s_waitcnt vmcnt(0)
	ds_write2_b64 v31, v[8:9], v[10:11] offset1:1
.LBB109_43:                             ;   in Loop: Header=BB109_7 Depth=2
	s_or_b64 exec, exec, s[12:13]
	v_cmp_gt_i64_e64 s[12:13], s[52:53], v[4:5]
	s_and_b64 s[16:17], s[8:9], s[12:13]
	s_xor_b64 s[16:17], s[16:17], -1
	s_and_saveexec_b64 s[18:19], s[16:17]
	s_xor_b64 s[16:17], exec, s[18:19]
; %bb.44:                               ;   in Loop: Header=BB109_7 Depth=2
	v_mov_b32_e32 v8, v2
	v_mov_b32_e32 v9, v2
	;; [unrolled: 1-line block ×4, first 2 shown]
	ds_write_b128 v31, v[8:11] offset:256
; %bb.45:                               ;   in Loop: Header=BB109_7 Depth=2
	s_andn2_saveexec_b64 s[16:17], s[16:17]
	s_cbranch_execz .LBB109_47
; %bb.46:                               ;   in Loop: Header=BB109_7 Depth=2
	global_load_dwordx4 v[8:11], v[20:21], off
	v_add_u32_e32 v0, 0x100, v31
	s_waitcnt vmcnt(0)
	ds_write2_b64 v0, v[8:9], v[10:11] offset1:1
.LBB109_47:                             ;   in Loop: Header=BB109_7 Depth=2
	s_or_b64 exec, exec, s[16:17]
	s_and_b64 s[16:17], s[10:11], vcc
	s_xor_b64 s[16:17], s[16:17], -1
	s_and_saveexec_b64 s[18:19], s[16:17]
	s_xor_b64 s[16:17], exec, s[18:19]
; %bb.48:                               ;   in Loop: Header=BB109_7 Depth=2
	v_mov_b32_e32 v8, v2
	v_mov_b32_e32 v9, v2
	;; [unrolled: 1-line block ×4, first 2 shown]
	ds_write_b128 v31, v[8:11] offset:8192
; %bb.49:                               ;   in Loop: Header=BB109_7 Depth=2
	s_andn2_saveexec_b64 s[16:17], s[16:17]
	s_cbranch_execz .LBB109_51
; %bb.50:                               ;   in Loop: Header=BB109_7 Depth=2
	global_load_dwordx4 v[8:11], v[22:23], off offset:-256
	v_add_u32_e32 v0, 0x2000, v31
	s_waitcnt vmcnt(0)
	ds_write2_b64 v0, v[8:9], v[10:11] offset1:1
.LBB109_51:                             ;   in Loop: Header=BB109_7 Depth=2
	s_or_b64 exec, exec, s[16:17]
	s_and_b64 s[12:13], s[10:11], s[12:13]
	s_xor_b64 s[12:13], s[12:13], -1
	s_and_saveexec_b64 s[16:17], s[12:13]
	s_xor_b64 s[12:13], exec, s[16:17]
; %bb.52:                               ;   in Loop: Header=BB109_7 Depth=2
	v_mov_b32_e32 v8, v2
	v_mov_b32_e32 v9, v2
	;; [unrolled: 1-line block ×4, first 2 shown]
	ds_write_b128 v31, v[8:11] offset:8448
; %bb.53:                               ;   in Loop: Header=BB109_7 Depth=2
	s_or_saveexec_b64 s[12:13], s[12:13]
	buffer_store_dword v20, off, s[60:63], 0 offset:16 ; 4-byte Folded Spill
	s_nop 0
	buffer_store_dword v21, off, s[60:63], 0 offset:20 ; 4-byte Folded Spill
	s_xor_b64 exec, exec, s[12:13]
	s_cbranch_execz .LBB109_6
; %bb.54:                               ;   in Loop: Header=BB109_7 Depth=2
	global_load_dwordx4 v[8:11], v[22:23], off
	v_add_u32_e32 v0, 0x2100, v31
	s_waitcnt vmcnt(0)
	ds_write2_b64 v0, v[8:9], v[10:11] offset1:1
	s_branch .LBB109_6
.LBB109_55:                             ;   in Loop: Header=BB109_4 Depth=1
	buffer_load_dword v8, off, s[60:63], 0 offset:72 ; 4-byte Folded Reload
	buffer_load_dword v1, off, s[60:63], 0 offset:84 ; 4-byte Folded Reload
	s_waitcnt vmcnt(1)
	v_mul_lo_u32 v0, s41, v8
	s_waitcnt vmcnt(0)
	v_mul_lo_u32 v1, s40, v1
	v_mad_u64_u32 v[4:5], s[8:9], s40, v8, 0
	v_cmp_gt_i32_e32 vcc, s50, v8
	v_add3_u32 v5, v5, v1, v0
	v_lshlrev_b64 v[4:5], 4, v[4:5]
	v_mov_b32_e32 v0, s54
	v_add_co_u32_e64 v4, s[8:9], s51, v4
	v_addc_co_u32_e64 v5, s[8:9], v0, v5, s[8:9]
	s_and_b64 s[8:9], s[4:5], vcc
	s_and_saveexec_b64 s[10:11], s[8:9]
	s_cbranch_execz .LBB109_57
; %bb.56:                               ;   in Loop: Header=BB109_4 Depth=1
	buffer_load_dword v0, off, s[60:63], 0  ; 4-byte Folded Reload
	buffer_load_dword v1, off, s[60:63], 0 offset:4 ; 4-byte Folded Reload
	v_mul_f64 v[12:13], s[46:47], v[58:59]
	v_mul_f64 v[14:15], s[44:45], v[58:59]
	v_fma_f64 v[12:13], s[44:45], v[6:7], -v[12:13]
	v_fma_f64 v[14:15], s[46:47], v[6:7], v[14:15]
	s_waitcnt vmcnt(1)
	v_add_co_u32_e64 v0, s[8:9], v4, v0
	s_waitcnt vmcnt(0)
	v_addc_co_u32_e64 v1, s[8:9], v5, v1, s[8:9]
	global_load_dwordx4 v[8:11], v[0:1], off
	s_waitcnt vmcnt(0)
	v_add_f64 v[6:7], v[8:9], v[12:13]
	v_add_f64 v[8:9], v[14:15], v[10:11]
	global_store_dwordx4 v[0:1], v[6:9], off
.LBB109_57:                             ;   in Loop: Header=BB109_4 Depth=1
	s_or_b64 exec, exec, s[10:11]
	s_and_b64 s[10:11], s[14:15], vcc
	s_and_saveexec_b64 s[8:9], s[10:11]
	s_cbranch_execz .LBB109_59
; %bb.58:                               ;   in Loop: Header=BB109_4 Depth=1
	buffer_load_dword v0, off, s[60:63], 0 offset:88 ; 4-byte Folded Reload
	buffer_load_dword v1, off, s[60:63], 0 offset:92 ; 4-byte Folded Reload
	v_mul_f64 v[8:9], s[46:47], v[56:57]
	v_mul_f64 v[10:11], s[44:45], v[56:57]
	v_fma_f64 v[8:9], s[44:45], v[54:55], -v[8:9]
	v_fma_f64 v[10:11], s[46:47], v[54:55], v[10:11]
	s_waitcnt vmcnt(1)
	v_add_co_u32_e32 v0, vcc, v4, v0
	s_waitcnt vmcnt(0)
	v_addc_co_u32_e32 v1, vcc, v5, v1, vcc
	global_load_dwordx4 v[4:7], v[0:1], off
	s_waitcnt vmcnt(0)
	v_add_f64 v[4:5], v[4:5], v[8:9]
	v_add_f64 v[6:7], v[10:11], v[6:7]
	global_store_dwordx4 v[0:1], v[4:7], off
.LBB109_59:                             ;   in Loop: Header=BB109_4 Depth=1
	s_or_b64 exec, exec, s[8:9]
	buffer_load_dword v0, off, s[60:63], 0 offset:72 ; 4-byte Folded Reload
	s_waitcnt vmcnt(0)
	v_add_u32_e32 v4, 16, v0
	v_ashrrev_i32_e32 v0, 31, v4
	v_mul_lo_u32 v5, s40, v0
	v_mul_lo_u32 v6, s41, v4
	v_mad_u64_u32 v[0:1], s[8:9], s40, v4, 0
	v_cmp_gt_i32_e32 vcc, s50, v4
	v_add3_u32 v1, v1, v5, v6
	v_lshlrev_b64 v[0:1], 4, v[0:1]
	v_mov_b32_e32 v5, s54
	v_add_co_u32_e64 v4, s[8:9], s51, v0
	v_addc_co_u32_e64 v5, s[8:9], v5, v1, s[8:9]
	s_and_b64 s[8:9], s[4:5], vcc
	s_mov_b64 s[10:11], exec
	buffer_load_dword v14, off, s[60:63], 0 offset:76 ; 4-byte Folded Reload
	buffer_load_dword v15, off, s[60:63], 0 offset:80 ; 4-byte Folded Reload
	s_and_b64 s[8:9], s[10:11], s[8:9]
	s_mov_b64 exec, s[8:9]
	s_cbranch_execz .LBB109_61
; %bb.60:                               ;   in Loop: Header=BB109_4 Depth=1
	buffer_load_dword v0, off, s[60:63], 0  ; 4-byte Folded Reload
	buffer_load_dword v1, off, s[60:63], 0 offset:4 ; 4-byte Folded Reload
	v_mul_f64 v[10:11], s[46:47], v[52:53]
	v_mul_f64 v[12:13], s[44:45], v[52:53]
	v_fma_f64 v[10:11], s[44:45], v[18:19], -v[10:11]
	v_fma_f64 v[12:13], s[46:47], v[18:19], v[12:13]
	s_waitcnt vmcnt(1)
	v_add_co_u32_e64 v0, s[8:9], v4, v0
	s_waitcnt vmcnt(0)
	v_addc_co_u32_e64 v1, s[8:9], v5, v1, s[8:9]
	global_load_dwordx4 v[6:9], v[0:1], off
	s_waitcnt vmcnt(0)
	v_add_f64 v[6:7], v[6:7], v[10:11]
	v_add_f64 v[8:9], v[12:13], v[8:9]
	global_store_dwordx4 v[0:1], v[6:9], off
.LBB109_61:                             ;   in Loop: Header=BB109_4 Depth=1
	s_or_b64 exec, exec, s[10:11]
	s_and_b64 s[10:11], s[14:15], vcc
	s_and_saveexec_b64 s[8:9], s[10:11]
	s_cbranch_execz .LBB109_3
; %bb.62:                               ;   in Loop: Header=BB109_4 Depth=1
	buffer_load_dword v0, off, s[60:63], 0 offset:88 ; 4-byte Folded Reload
	buffer_load_dword v1, off, s[60:63], 0 offset:92 ; 4-byte Folded Reload
	v_mul_f64 v[8:9], s[46:47], v[50:51]
	v_mul_f64 v[10:11], s[44:45], v[50:51]
	v_fma_f64 v[8:9], s[44:45], v[16:17], -v[8:9]
	v_fma_f64 v[10:11], s[46:47], v[16:17], v[10:11]
	s_waitcnt vmcnt(1)
	v_add_co_u32_e32 v0, vcc, v4, v0
	s_waitcnt vmcnt(0)
	v_addc_co_u32_e32 v1, vcc, v5, v1, vcc
	global_load_dwordx4 v[4:7], v[0:1], off
	s_waitcnt vmcnt(0)
	v_add_f64 v[4:5], v[4:5], v[8:9]
	v_add_f64 v[6:7], v[10:11], v[6:7]
	global_store_dwordx4 v[0:1], v[4:7], off
	s_branch .LBB109_3
.LBB109_63:
	s_endpgm
	.section	.rodata,"a",@progbits
	.p2align	6, 0x0
	.amdhsa_kernel _ZL30rocblas_trmm_outofplace_kernelI19rocblas_complex_numIdELi32ELi2ELb1ELb0ELb0ELb0ES1_KS1_S1_Ev17rocblas_diagonal_iiT6_lPT7_lllS6_lllPT8_llli
		.amdhsa_group_segment_fixed_size 32768
		.amdhsa_private_segment_fixed_size 124
		.amdhsa_kernarg_size 400
		.amdhsa_user_sgpr_count 6
		.amdhsa_user_sgpr_private_segment_buffer 1
		.amdhsa_user_sgpr_dispatch_ptr 0
		.amdhsa_user_sgpr_queue_ptr 0
		.amdhsa_user_sgpr_kernarg_segment_ptr 1
		.amdhsa_user_sgpr_dispatch_id 0
		.amdhsa_user_sgpr_flat_scratch_init 0
		.amdhsa_user_sgpr_private_segment_size 0
		.amdhsa_uses_dynamic_stack 0
		.amdhsa_system_sgpr_private_segment_wavefront_offset 1
		.amdhsa_system_sgpr_workgroup_id_x 1
		.amdhsa_system_sgpr_workgroup_id_y 1
		.amdhsa_system_sgpr_workgroup_id_z 1
		.amdhsa_system_sgpr_workgroup_info 0
		.amdhsa_system_vgpr_workitem_id 1
		.amdhsa_next_free_vgpr 64
		.amdhsa_next_free_sgpr 64
		.amdhsa_reserve_vcc 1
		.amdhsa_reserve_flat_scratch 0
		.amdhsa_float_round_mode_32 0
		.amdhsa_float_round_mode_16_64 0
		.amdhsa_float_denorm_mode_32 3
		.amdhsa_float_denorm_mode_16_64 3
		.amdhsa_dx10_clamp 1
		.amdhsa_ieee_mode 1
		.amdhsa_fp16_overflow 0
		.amdhsa_exception_fp_ieee_invalid_op 0
		.amdhsa_exception_fp_denorm_src 0
		.amdhsa_exception_fp_ieee_div_zero 0
		.amdhsa_exception_fp_ieee_overflow 0
		.amdhsa_exception_fp_ieee_underflow 0
		.amdhsa_exception_fp_ieee_inexact 0
		.amdhsa_exception_int_div_zero 0
	.end_amdhsa_kernel
	.section	.text._ZL30rocblas_trmm_outofplace_kernelI19rocblas_complex_numIdELi32ELi2ELb1ELb0ELb0ELb0ES1_KS1_S1_Ev17rocblas_diagonal_iiT6_lPT7_lllS6_lllPT8_llli,"axG",@progbits,_ZL30rocblas_trmm_outofplace_kernelI19rocblas_complex_numIdELi32ELi2ELb1ELb0ELb0ELb0ES1_KS1_S1_Ev17rocblas_diagonal_iiT6_lPT7_lllS6_lllPT8_llli,comdat
.Lfunc_end109:
	.size	_ZL30rocblas_trmm_outofplace_kernelI19rocblas_complex_numIdELi32ELi2ELb1ELb0ELb0ELb0ES1_KS1_S1_Ev17rocblas_diagonal_iiT6_lPT7_lllS6_lllPT8_llli, .Lfunc_end109-_ZL30rocblas_trmm_outofplace_kernelI19rocblas_complex_numIdELi32ELi2ELb1ELb0ELb0ELb0ES1_KS1_S1_Ev17rocblas_diagonal_iiT6_lPT7_lllS6_lllPT8_llli
                                        ; -- End function
	.set _ZL30rocblas_trmm_outofplace_kernelI19rocblas_complex_numIdELi32ELi2ELb1ELb0ELb0ELb0ES1_KS1_S1_Ev17rocblas_diagonal_iiT6_lPT7_lllS6_lllPT8_llli.num_vgpr, 64
	.set _ZL30rocblas_trmm_outofplace_kernelI19rocblas_complex_numIdELi32ELi2ELb1ELb0ELb0ELb0ES1_KS1_S1_Ev17rocblas_diagonal_iiT6_lPT7_lllS6_lllPT8_llli.num_agpr, 0
	.set _ZL30rocblas_trmm_outofplace_kernelI19rocblas_complex_numIdELi32ELi2ELb1ELb0ELb0ELb0ES1_KS1_S1_Ev17rocblas_diagonal_iiT6_lPT7_lllS6_lllPT8_llli.numbered_sgpr, 64
	.set _ZL30rocblas_trmm_outofplace_kernelI19rocblas_complex_numIdELi32ELi2ELb1ELb0ELb0ELb0ES1_KS1_S1_Ev17rocblas_diagonal_iiT6_lPT7_lllS6_lllPT8_llli.num_named_barrier, 0
	.set _ZL30rocblas_trmm_outofplace_kernelI19rocblas_complex_numIdELi32ELi2ELb1ELb0ELb0ELb0ES1_KS1_S1_Ev17rocblas_diagonal_iiT6_lPT7_lllS6_lllPT8_llli.private_seg_size, 124
	.set _ZL30rocblas_trmm_outofplace_kernelI19rocblas_complex_numIdELi32ELi2ELb1ELb0ELb0ELb0ES1_KS1_S1_Ev17rocblas_diagonal_iiT6_lPT7_lllS6_lllPT8_llli.uses_vcc, 1
	.set _ZL30rocblas_trmm_outofplace_kernelI19rocblas_complex_numIdELi32ELi2ELb1ELb0ELb0ELb0ES1_KS1_S1_Ev17rocblas_diagonal_iiT6_lPT7_lllS6_lllPT8_llli.uses_flat_scratch, 0
	.set _ZL30rocblas_trmm_outofplace_kernelI19rocblas_complex_numIdELi32ELi2ELb1ELb0ELb0ELb0ES1_KS1_S1_Ev17rocblas_diagonal_iiT6_lPT7_lllS6_lllPT8_llli.has_dyn_sized_stack, 0
	.set _ZL30rocblas_trmm_outofplace_kernelI19rocblas_complex_numIdELi32ELi2ELb1ELb0ELb0ELb0ES1_KS1_S1_Ev17rocblas_diagonal_iiT6_lPT7_lllS6_lllPT8_llli.has_recursion, 0
	.set _ZL30rocblas_trmm_outofplace_kernelI19rocblas_complex_numIdELi32ELi2ELb1ELb0ELb0ELb0ES1_KS1_S1_Ev17rocblas_diagonal_iiT6_lPT7_lllS6_lllPT8_llli.has_indirect_call, 0
	.section	.AMDGPU.csdata,"",@progbits
; Kernel info:
; codeLenInByte = 10824
; TotalNumSgprs: 68
; NumVgprs: 64
; ScratchSize: 124
; MemoryBound: 0
; FloatMode: 240
; IeeeMode: 1
; LDSByteSize: 32768 bytes/workgroup (compile time only)
; SGPRBlocks: 8
; VGPRBlocks: 15
; NumSGPRsForWavesPerEU: 68
; NumVGPRsForWavesPerEU: 64
; Occupancy: 4
; WaveLimiterHint : 0
; COMPUTE_PGM_RSRC2:SCRATCH_EN: 1
; COMPUTE_PGM_RSRC2:USER_SGPR: 6
; COMPUTE_PGM_RSRC2:TRAP_HANDLER: 0
; COMPUTE_PGM_RSRC2:TGID_X_EN: 1
; COMPUTE_PGM_RSRC2:TGID_Y_EN: 1
; COMPUTE_PGM_RSRC2:TGID_Z_EN: 1
; COMPUTE_PGM_RSRC2:TIDIG_COMP_CNT: 1
	.section	.text._ZL30rocblas_trmm_outofplace_kernelI19rocblas_complex_numIdELi32ELi2ELb1ELb1ELb0ELb0EPKS1_S2_S1_Ev17rocblas_diagonal_iiT6_lPT7_lllS7_lllPT8_llli,"axG",@progbits,_ZL30rocblas_trmm_outofplace_kernelI19rocblas_complex_numIdELi32ELi2ELb1ELb1ELb0ELb0EPKS1_S2_S1_Ev17rocblas_diagonal_iiT6_lPT7_lllS7_lllPT8_llli,comdat
	.globl	_ZL30rocblas_trmm_outofplace_kernelI19rocblas_complex_numIdELi32ELi2ELb1ELb1ELb0ELb0EPKS1_S2_S1_Ev17rocblas_diagonal_iiT6_lPT7_lllS7_lllPT8_llli ; -- Begin function _ZL30rocblas_trmm_outofplace_kernelI19rocblas_complex_numIdELi32ELi2ELb1ELb1ELb0ELb0EPKS1_S2_S1_Ev17rocblas_diagonal_iiT6_lPT7_lllS7_lllPT8_llli
	.p2align	8
	.type	_ZL30rocblas_trmm_outofplace_kernelI19rocblas_complex_numIdELi32ELi2ELb1ELb1ELb0ELb0EPKS1_S2_S1_Ev17rocblas_diagonal_iiT6_lPT7_lllS7_lllPT8_llli,@function
_ZL30rocblas_trmm_outofplace_kernelI19rocblas_complex_numIdELi32ELi2ELb1ELb1ELb0ELb0EPKS1_S2_S1_Ev17rocblas_diagonal_iiT6_lPT7_lllS7_lllPT8_llli: ; @_ZL30rocblas_trmm_outofplace_kernelI19rocblas_complex_numIdELi32ELi2ELb1ELb1ELb0ELb0EPKS1_S2_S1_Ev17rocblas_diagonal_iiT6_lPT7_lllS7_lllPT8_llli
; %bb.0:
	s_load_dwordx16 s[12:27], s[4:5], 0x10
	s_mov_b64 s[66:67], s[2:3]
	s_mov_b64 s[64:65], s[0:1]
	s_add_u32 s64, s64, s9
	s_addc_u32 s65, s65, 0
	s_waitcnt lgkmcnt(0)
	s_mul_i32 s0, s15, s8
	s_mul_hi_u32 s1, s14, s8
	s_add_i32 s1, s1, s0
	s_mul_i32 s0, s14, s8
	s_lshl_b64 s[0:1], s[0:1], 4
	s_add_u32 s0, s12, s0
	s_addc_u32 s1, s13, s1
	s_load_dwordx4 s[28:31], s[0:1], 0x0
	buffer_store_dword v1, off, s[64:67], 0 offset:72 ; 4-byte Folded Spill
	s_waitcnt lgkmcnt(0)
	v_cmp_eq_f64_e64 s[0:1], s[28:29], 0
	v_cmp_eq_f64_e64 s[2:3], s[30:31], 0
	s_and_b64 s[0:1], s[0:1], s[2:3]
	s_and_b64 vcc, exec, s[0:1]
	s_cbranch_vccnz .LBB110_64
; %bb.1:
	s_load_dwordx4 s[44:47], s[4:5], 0x0
	s_waitcnt lgkmcnt(0)
	s_add_i32 s0, s46, -1
	s_ashr_i32 s1, s0, 31
	s_lshr_b32 s1, s1, 27
	s_add_i32 s0, s0, s1
	s_ashr_i32 s33, s0, 5
	s_cmp_gt_i32 s7, s33
	s_cbranch_scc1 .LBB110_64
; %bb.2:
	s_load_dwordx4 s[48:51], s[4:5], 0x70
	s_load_dwordx8 s[36:43], s[4:5], 0x50
	s_load_dword s47, s[4:5], 0x8c
	buffer_load_dword v5, off, s[64:67], 0 offset:72 ; 4-byte Folded Reload
	v_lshlrev_b32_e32 v30, 4, v0
	s_waitcnt lgkmcnt(0)
	s_mul_i32 s1, s51, s8
	s_mul_hi_u32 s2, s50, s8
	s_mul_i32 s0, s50, s8
	s_add_i32 s1, s2, s1
	s_lshl_b64 s[0:1], s[0:1], 4
	s_add_u32 s2, s40, s0
	s_addc_u32 s3, s41, s1
	s_lshl_b64 s[0:1], s[42:43], 4
	s_add_u32 s56, s2, s0
	s_addc_u32 s57, s3, s1
	s_lshl_b32 s0, s6, 5
	v_add_u32_e32 v8, s0, v0
	v_ashrrev_i32_e32 v9, 31, v8
	v_add_co_u32_e32 v0, vcc, 16, v8
	s_sub_i32 s6, s45, s0
	s_cmp_gt_i32 s6, 0
	s_cselect_b64 s[34:35], -1, 0
	s_cmpk_eq_i32 s44, 0x84
	s_cselect_b64 s[40:41], -1, 0
	s_ashr_i32 s43, s45, 31
	s_mov_b32 s42, s45
	s_movk_i32 s44, 0x100
	s_ashr_i32 s58, s46, 31
	s_lshl_b64 s[50:51], s[20:21], 9
	s_add_u32 s52, s45, -16
	s_mul_i32 s9, s39, s8
	s_mul_hi_u32 s10, s38, s8
	s_addc_u32 s53, s43, -1
	s_add_i32 s11, s10, s9
	s_mul_i32 s10, s38, s8
	s_lshl_b64 s[10:11], s[10:11], 4
	s_lshl_b64 s[12:13], s[26:27], 4
	s_add_u32 s9, s10, s12
	s_addc_u32 s10, s11, s13
	s_add_u32 s24, s24, s9
	s_addc_u32 s25, s25, s10
	s_add_u32 s26, s24, 0x100
	s_mul_i32 s9, s23, s8
	s_mul_hi_u32 s10, s22, s8
	s_addc_u32 s27, s25, 0
	s_add_i32 s9, s10, s9
	s_mul_i32 s8, s22, s8
	s_lshl_b64 s[38:39], s[36:37], 4
	s_lshl_b32 s59, s47, 5
	s_lshl_b64 s[8:9], s[8:9], 4
	s_lshl_b64 s[10:11], s[18:19], 4
	s_add_u32 s10, s16, s10
	s_addc_u32 s11, s17, s11
	s_add_u32 s8, s10, s8
	s_addc_u32 s9, s11, s9
	v_cmp_gt_i32_e64 s[4:5], s45, v8
	s_movk_i32 s60, 0x200
	s_waitcnt vmcnt(0)
	v_lshlrev_b32_e32 v1, 9, v5
	v_add_u32_e32 v31, v30, v1
	v_add_u32_e32 v28, 0x4000, v1
	v_addc_co_u32_e32 v1, vcc, 0, v9, vcc
	buffer_store_dword v0, off, s[64:67], 0 offset:24 ; 4-byte Folded Spill
	s_nop 0
	buffer_store_dword v1, off, s[64:67], 0 offset:28 ; 4-byte Folded Spill
	v_add_u32_e32 v6, s0, v5
	v_ashrrev_i32_e32 v7, 31, v6
	v_sub_co_u32_e32 v10, vcc, v8, v6
	v_subb_co_u32_e32 v11, vcc, v9, v7, vcc
	v_mul_lo_u32 v4, s21, v6
	v_cmp_le_i32_e64 s[0:1], s45, v8
	v_add_u32_e32 v29, v28, v30
	v_cmp_le_i64_e64 s[2:3], s[42:43], v[0:1]
	v_add_u32_e32 v0, 16, v8
	v_ashrrev_i32_e32 v1, 31, v0
	v_cmp_gt_i32_e64 s[14:15], s45, v0
	buffer_store_dword v0, off, s[64:67], 0 offset:76 ; 4-byte Folded Spill
	s_nop 0
	buffer_store_dword v1, off, s[64:67], 0 offset:80 ; 4-byte Folded Spill
	v_add_co_u32_e32 v0, vcc, 16, v10
	v_addc_co_u32_e32 v1, vcc, 0, v11, vcc
	buffer_store_dword v0, off, s[64:67], 0 offset:40 ; 4-byte Folded Spill
	s_nop 0
	buffer_store_dword v1, off, s[64:67], 0 offset:44 ; 4-byte Folded Spill
	v_lshlrev_b64 v[0:1], 4, v[6:7]
	v_add_co_u32_e32 v2, vcc, s44, v0
	v_addc_co_u32_e32 v3, vcc, 0, v1, vcc
	v_add_co_u32_e32 v12, vcc, -16, v10
	buffer_store_dword v10, off, s[64:67], 0 offset:32 ; 4-byte Folded Spill
	s_nop 0
	buffer_store_dword v11, off, s[64:67], 0 offset:36 ; 4-byte Folded Spill
	v_mov_b32_e32 v0, s8
	v_mov_b32_e32 v1, s9
	v_mad_u64_u32 v[0:1], s[10:11], s20, v2, v[0:1]
	v_mul_lo_u32 v3, s20, v3
	v_mul_lo_u32 v2, s21, v2
	v_add3_u32 v2, v2, v1, v3
	v_mul_lo_u32 v3, s20, v7
	v_addc_co_u32_e32 v13, vcc, -1, v11, vcc
	buffer_store_dword v12, off, s[64:67], 0 offset:48 ; 4-byte Folded Spill
	s_nop 0
	buffer_store_dword v13, off, s[64:67], 0 offset:52 ; 4-byte Folded Spill
	buffer_store_dword v6, off, s[64:67], 0 offset:16 ; 4-byte Folded Spill
	s_nop 0
	buffer_store_dword v7, off, s[64:67], 0 offset:20 ; 4-byte Folded Spill
	v_add_co_u32_e32 v10, vcc, s44, v0
	v_addc_co_u32_e32 v11, vcc, 0, v2, vcc
	v_mov_b32_e32 v2, s9
	buffer_store_dword v10, off, s[64:67], 0 offset:84 ; 4-byte Folded Spill
	s_nop 0
	buffer_store_dword v11, off, s[64:67], 0 offset:88 ; 4-byte Folded Spill
	v_mad_u64_u32 v[0:1], s[10:11], s20, v6, 0
	v_lshl_add_u32 v6, s7, 5, v5
	v_add3_u32 v1, v1, v3, v4
	v_lshlrev_b64 v[0:1], 4, v[0:1]
	v_mov_b32_e32 v3, 0x3ff00000
	v_add_co_u32_e32 v0, vcc, s8, v0
	v_addc_co_u32_e32 v1, vcc, v2, v1, vcc
	v_add_co_u32_e32 v0, vcc, 0x100, v0
	v_addc_co_u32_e32 v1, vcc, 0, v1, vcc
	buffer_store_dword v0, off, s[64:67], 0 offset:92 ; 4-byte Folded Spill
	s_nop 0
	buffer_store_dword v1, off, s[64:67], 0 offset:96 ; 4-byte Folded Spill
	buffer_store_dword v8, off, s[64:67], 0 offset:8 ; 4-byte Folded Spill
	s_nop 0
	buffer_store_dword v9, off, s[64:67], 0 offset:12 ; 4-byte Folded Spill
	v_mov_b32_e32 v2, 0
	v_lshlrev_b64 v[0:1], 4, v[8:9]
	buffer_store_dword v0, off, s[64:67], 0 ; 4-byte Folded Spill
	s_nop 0
	buffer_store_dword v1, off, s[64:67], 0 offset:4 ; 4-byte Folded Spill
	s_branch .LBB110_4
.LBB110_3:                              ;   in Loop: Header=BB110_4 Depth=1
	s_or_b64 exec, exec, s[8:9]
	buffer_load_dword v6, off, s[64:67], 0 offset:60 ; 4-byte Folded Reload
	buffer_load_dword v7, off, s[64:67], 0 offset:64 ; 4-byte Folded Reload
	s_add_i32 s7, s47, s7
	s_cmp_le_i32 s7, s33
	s_waitcnt vmcnt(1)
	v_add_u32_e32 v6, s59, v6
	s_cbranch_scc0 .LBB110_64
.LBB110_4:                              ; =>This Loop Header: Depth=1
                                        ;     Child Loop BB110_7 Depth 2
	buffer_load_dword v0, off, s[64:67], 0 offset:72 ; 4-byte Folded Reload
	s_andn2_b64 vcc, exec, s[34:35]
	s_waitcnt vmcnt(0)
	v_lshl_add_u32 v9, s7, 5, v0
	v_ashrrev_i32_e32 v10, 31, v9
	buffer_store_dword v9, off, s[64:67], 0 offset:56 ; 4-byte Folded Spill
	buffer_store_dword v10, off, s[64:67], 0 offset:68 ; 4-byte Folded Spill
	s_cbranch_vccnz .LBB110_55
; %bb.5:                                ;   in Loop: Header=BB110_4 Depth=1
	v_mov_b32_e32 v0, s26
	v_mov_b32_e32 v1, s27
	v_mad_u64_u32 v[42:43], s[8:9], s38, v6, v[0:1]
	v_mov_b32_e32 v0, v6
	buffer_store_dword v0, off, s[64:67], 0 offset:60 ; 4-byte Folded Spill
	s_nop 0
	buffer_store_dword v1, off, s[64:67], 0 offset:64 ; 4-byte Folded Spill
	buffer_load_dword v46, off, s[64:67], 0 offset:92 ; 4-byte Folded Reload
	buffer_load_dword v47, off, s[64:67], 0 offset:96 ; 4-byte Folded Reload
	;; [unrolled: 1-line block ×4, first 2 shown]
	v_ashrrev_i32_e32 v7, 31, v6
	v_lshlrev_b64 v[0:1], 4, v[6:7]
	v_mul_lo_u32 v4, s39, v6
	v_add_co_u32_e32 v6, vcc, 0x100, v0
	v_addc_co_u32_e32 v0, vcc, 0, v1, vcc
	v_mul_lo_u32 v5, s38, v7
	v_mul_lo_u32 v7, s36, v0
	v_mov_b32_e32 v0, s24
	v_mov_b32_e32 v1, s25
	v_mul_lo_u32 v8, s37, v6
	v_mad_u64_u32 v[44:45], s[8:9], s36, v6, v[0:1]
	v_mov_b32_e32 v1, s58
	v_sub_co_u32_e32 v0, vcc, s46, v9
	v_subb_co_u32_e32 v1, vcc, v1, v10, vcc
	v_add3_u32 v45, v8, v45, v7
	v_cmp_lt_i64_e64 s[8:9], 0, v[0:1]
	v_cmp_lt_i64_e64 s[10:11], 16, v[0:1]
	v_mov_b32_e32 v50, 0
	v_mov_b32_e32 v16, 0
	;; [unrolled: 1-line block ×8, first 2 shown]
	v_add3_u32 v43, v4, v43, v5
	s_mov_b64 s[20:21], 0
	v_mov_b32_e32 v51, 0
	v_mov_b32_e32 v17, 0
	;; [unrolled: 1-line block ×8, first 2 shown]
	s_branch .LBB110_7
.LBB110_6:                              ;   in Loop: Header=BB110_7 Depth=2
	s_or_b64 exec, exec, s[12:13]
	s_waitcnt lgkmcnt(0)
	s_barrier
	ds_read_b128 v[8:11], v28
	ds_read_b128 v[12:15], v30
	ds_read_b128 v[24:27], v30 offset:256
	ds_read_b128 v[34:37], v28 offset:8192
	v_add_co_u32_e32 v42, vcc, s60, v42
	s_waitcnt lgkmcnt(2)
	v_mul_f64 v[0:1], v[10:11], v[14:15]
	v_mul_f64 v[4:5], v[8:9], v[14:15]
	s_waitcnt lgkmcnt(1)
	v_mul_f64 v[20:21], v[10:11], v[26:27]
	v_mul_f64 v[22:23], v[8:9], v[26:27]
	v_addc_co_u32_e32 v43, vcc, 0, v43, vcc
	v_add_co_u32_e32 v48, vcc, s50, v48
	v_fma_f64 v[0:1], v[8:9], v[12:13], -v[0:1]
	v_fma_f64 v[4:5], v[10:11], v[12:13], v[4:5]
	v_fma_f64 v[20:21], v[8:9], v[24:25], -v[20:21]
	v_fma_f64 v[22:23], v[10:11], v[24:25], v[22:23]
	s_waitcnt lgkmcnt(0)
	v_mul_f64 v[8:9], v[36:37], v[14:15]
	v_mul_f64 v[10:11], v[34:35], v[14:15]
	s_add_u32 s20, s20, 32
	s_addc_u32 s21, s21, 0
	v_add_f64 v[40:41], v[6:7], v[0:1]
	v_add_f64 v[60:61], v[4:5], v[58:59]
	;; [unrolled: 1-line block ×4, first 2 shown]
	v_fma_f64 v[32:33], v[34:35], v[12:13], -v[8:9]
	v_fma_f64 v[38:39], v[36:37], v[12:13], v[10:11]
	v_mul_f64 v[8:9], v[36:37], v[26:27]
	v_mul_f64 v[10:11], v[34:35], v[26:27]
	s_cmp_ge_i32 s20, s6
	v_add_f64 v[58:59], v[18:19], v[32:33]
	v_add_f64 v[52:53], v[38:39], v[52:53]
	v_fma_f64 v[26:27], v[34:35], v[24:25], -v[8:9]
	v_fma_f64 v[34:35], v[36:37], v[24:25], v[10:11]
	ds_read_b128 v[12:15], v28 offset:16
	ds_read_b128 v[8:11], v30 offset:512
	;; [unrolled: 1-line block ×3, first 2 shown]
	s_waitcnt lgkmcnt(1)
	v_mul_f64 v[24:25], v[14:15], v[10:11]
	v_mul_f64 v[20:21], v[12:13], v[10:11]
	v_add_f64 v[56:57], v[16:17], v[26:27]
	ds_read_b128 v[16:19], v28 offset:8208
	s_waitcnt lgkmcnt(1)
	v_mul_f64 v[26:27], v[12:13], v[6:7]
	v_mul_f64 v[0:1], v[14:15], v[6:7]
	v_fma_f64 v[24:25], v[12:13], v[8:9], -v[24:25]
	v_fma_f64 v[36:37], v[14:15], v[8:9], v[20:21]
	s_waitcnt lgkmcnt(0)
	v_mul_f64 v[32:33], v[16:17], v[10:11]
	v_add_f64 v[20:21], v[34:35], v[50:51]
	v_fma_f64 v[14:15], v[14:15], v[4:5], v[26:27]
	v_mul_f64 v[26:27], v[18:19], v[6:7]
	v_mul_f64 v[34:35], v[16:17], v[6:7]
	v_fma_f64 v[0:1], v[12:13], v[4:5], -v[0:1]
	v_add_f64 v[22:23], v[40:41], v[24:25]
	v_mul_f64 v[24:25], v[18:19], v[10:11]
	v_add_f64 v[38:39], v[36:37], v[60:61]
	ds_read_b128 v[10:13], v28 offset:32
	v_fma_f64 v[32:33], v[18:19], v[8:9], v[32:33]
	v_add_f64 v[40:41], v[14:15], v[54:55]
	v_add_f64 v[0:1], v[62:63], v[0:1]
	v_fma_f64 v[36:37], v[16:17], v[8:9], -v[24:25]
	ds_read_b128 v[6:9], v30 offset:1024
	v_fma_f64 v[16:17], v[16:17], v[4:5], -v[26:27]
	ds_read_b128 v[24:27], v30 offset:1280
	v_fma_f64 v[4:5], v[18:19], v[4:5], v[34:35]
	v_add_f64 v[32:33], v[32:33], v[52:53]
	v_add_f64 v[54:55], v[58:59], v[36:37]
	ds_read_b128 v[34:37], v28 offset:8224
	s_waitcnt lgkmcnt(2)
	v_mul_f64 v[18:19], v[12:13], v[8:9]
	s_waitcnt lgkmcnt(1)
	v_mul_f64 v[50:51], v[12:13], v[26:27]
	v_mul_f64 v[14:15], v[10:11], v[8:9]
	;; [unrolled: 1-line block ×3, first 2 shown]
	v_add_f64 v[56:57], v[56:57], v[16:17]
	v_add_f64 v[16:17], v[4:5], v[20:21]
	v_fma_f64 v[18:19], v[10:11], v[6:7], -v[18:19]
	v_fma_f64 v[10:11], v[10:11], v[24:25], -v[50:51]
	v_fma_f64 v[4:5], v[12:13], v[6:7], v[14:15]
	s_waitcnt lgkmcnt(0)
	v_mul_f64 v[14:15], v[36:37], v[8:9]
	v_fma_f64 v[20:21], v[12:13], v[24:25], v[52:53]
	v_mul_f64 v[8:9], v[34:35], v[8:9]
	v_add_f64 v[18:19], v[22:23], v[18:19]
	v_add_f64 v[52:53], v[0:1], v[10:11]
	v_mul_f64 v[0:1], v[36:37], v[26:27]
	v_mul_f64 v[22:23], v[34:35], v[26:27]
	v_add_f64 v[50:51], v[4:5], v[38:39]
	v_fma_f64 v[4:5], v[34:35], v[6:7], -v[14:15]
	v_add_f64 v[60:61], v[20:21], v[40:41]
	v_fma_f64 v[20:21], v[36:37], v[6:7], v[8:9]
	ds_read_b128 v[12:15], v28 offset:48
	ds_read_b128 v[8:11], v30 offset:1536
	v_fma_f64 v[0:1], v[34:35], v[24:25], -v[0:1]
	v_fma_f64 v[62:63], v[36:37], v[24:25], v[22:23]
	ds_read_b128 v[34:37], v28 offset:8240
	v_add_f64 v[54:55], v[54:55], v[4:5]
	ds_read_b128 v[4:7], v30 offset:1792
	s_waitcnt lgkmcnt(2)
	v_mul_f64 v[22:23], v[14:15], v[10:11]
	v_mul_f64 v[26:27], v[12:13], v[10:11]
	v_add_f64 v[58:59], v[20:21], v[32:33]
	s_waitcnt lgkmcnt(1)
	v_mul_f64 v[20:21], v[36:37], v[10:11]
	v_mul_f64 v[10:11], v[34:35], v[10:11]
	s_waitcnt lgkmcnt(0)
	v_mul_f64 v[38:39], v[14:15], v[6:7]
	v_mul_f64 v[40:41], v[12:13], v[6:7]
	v_add_f64 v[56:57], v[56:57], v[0:1]
	v_fma_f64 v[24:25], v[12:13], v[8:9], -v[22:23]
	v_fma_f64 v[0:1], v[14:15], v[8:9], v[26:27]
	v_fma_f64 v[20:21], v[34:35], v[8:9], -v[20:21]
	v_fma_f64 v[22:23], v[36:37], v[8:9], v[10:11]
	v_mul_f64 v[8:9], v[36:37], v[6:7]
	v_mul_f64 v[6:7], v[34:35], v[6:7]
	v_fma_f64 v[12:13], v[12:13], v[4:5], -v[38:39]
	v_fma_f64 v[14:15], v[14:15], v[4:5], v[40:41]
	v_add_f64 v[38:39], v[18:19], v[24:25]
	v_add_f64 v[40:41], v[0:1], v[50:51]
	v_add_f64 v[20:21], v[54:55], v[20:21]
	v_add_f64 v[22:23], v[22:23], v[58:59]
	v_fma_f64 v[32:33], v[34:35], v[4:5], -v[8:9]
	v_fma_f64 v[34:35], v[36:37], v[4:5], v[6:7]
	ds_read_b128 v[4:7], v28 offset:64
	ds_read_b128 v[8:11], v30 offset:2048
	v_add_f64 v[0:1], v[14:15], v[60:61]
	v_add_f64 v[36:37], v[62:63], v[16:17]
	ds_read_b128 v[16:19], v30 offset:2304
	v_add_f64 v[12:13], v[52:53], v[12:13]
	s_waitcnt lgkmcnt(1)
	v_mul_f64 v[26:27], v[6:7], v[10:11]
	v_mul_f64 v[24:25], v[4:5], v[10:11]
	v_add_f64 v[32:33], v[56:57], v[32:33]
	v_add_f64 v[56:57], v[34:35], v[36:37]
	v_fma_f64 v[14:15], v[4:5], v[8:9], -v[26:27]
	v_fma_f64 v[50:51], v[6:7], v[8:9], v[24:25]
	ds_read_b128 v[24:27], v28 offset:8256
	s_waitcnt lgkmcnt(1)
	v_mul_f64 v[58:59], v[6:7], v[18:19]
	s_waitcnt lgkmcnt(0)
	v_mul_f64 v[34:35], v[26:27], v[10:11]
	v_add_f64 v[52:53], v[38:39], v[14:15]
	v_mul_f64 v[14:15], v[4:5], v[18:19]
	v_mul_f64 v[10:11], v[24:25], v[10:11]
	;; [unrolled: 1-line block ×3, first 2 shown]
	v_fma_f64 v[4:5], v[4:5], v[16:17], -v[58:59]
	v_mul_f64 v[18:19], v[24:25], v[18:19]
	v_add_f64 v[54:55], v[50:51], v[40:41]
	v_fma_f64 v[38:39], v[24:25], v[8:9], -v[34:35]
	v_fma_f64 v[6:7], v[6:7], v[16:17], v[14:15]
	v_fma_f64 v[58:59], v[26:27], v[8:9], v[10:11]
	v_fma_f64 v[36:37], v[24:25], v[16:17], -v[36:37]
	v_add_f64 v[50:51], v[12:13], v[4:5]
	ds_read_b128 v[12:15], v28 offset:80
	ds_read_b128 v[8:11], v30 offset:2560
	v_fma_f64 v[40:41], v[26:27], v[16:17], v[18:19]
	ds_read_b128 v[16:19], v28 offset:8272
	v_add_f64 v[62:63], v[20:21], v[38:39]
	v_add_f64 v[34:35], v[6:7], v[0:1]
	ds_read_b128 v[4:7], v30 offset:2816
	s_waitcnt lgkmcnt(2)
	v_mul_f64 v[0:1], v[14:15], v[10:11]
	v_add_f64 v[60:61], v[58:59], v[22:23]
	v_add_f64 v[58:59], v[32:33], v[36:37]
	v_mul_f64 v[24:25], v[12:13], v[10:11]
	s_waitcnt lgkmcnt(0)
	v_mul_f64 v[36:37], v[14:15], v[6:7]
	v_mul_f64 v[26:27], v[12:13], v[6:7]
	v_add_f64 v[22:23], v[40:41], v[56:57]
	v_fma_f64 v[0:1], v[12:13], v[8:9], -v[0:1]
	v_fma_f64 v[20:21], v[14:15], v[8:9], v[24:25]
	v_fma_f64 v[12:13], v[12:13], v[4:5], -v[36:37]
	v_mul_f64 v[24:25], v[18:19], v[10:11]
	v_mul_f64 v[10:11], v[16:17], v[10:11]
	v_fma_f64 v[14:15], v[14:15], v[4:5], v[26:27]
	v_add_f64 v[32:33], v[52:53], v[0:1]
	v_mul_f64 v[0:1], v[18:19], v[6:7]
	v_add_f64 v[20:21], v[20:21], v[54:55]
	v_add_f64 v[38:39], v[50:51], v[12:13]
	v_mul_f64 v[12:13], v[16:17], v[6:7]
	v_fma_f64 v[36:37], v[16:17], v[8:9], -v[24:25]
	v_fma_f64 v[10:11], v[18:19], v[8:9], v[10:11]
	ds_read_b128 v[6:9], v28 offset:96
	ds_read_b128 v[24:27], v30 offset:3072
	v_add_f64 v[40:41], v[14:15], v[34:35]
	v_fma_f64 v[14:15], v[16:17], v[4:5], -v[0:1]
	ds_read_b128 v[54:57], v28 offset:8288
	v_fma_f64 v[4:5], v[18:19], v[4:5], v[12:13]
	s_waitcnt lgkmcnt(1)
	v_mul_f64 v[16:17], v[8:9], v[26:27]
	v_mul_f64 v[18:19], v[6:7], v[26:27]
	v_add_f64 v[0:1], v[62:63], v[36:37]
	ds_read_b128 v[34:37], v30 offset:3328
	v_add_f64 v[60:61], v[10:11], v[60:61]
	v_add_f64 v[62:63], v[58:59], v[14:15]
	;; [unrolled: 1-line block ×3, first 2 shown]
	s_waitcnt lgkmcnt(0)
	v_mul_f64 v[10:11], v[8:9], v[36:37]
	v_mul_f64 v[14:15], v[6:7], v[36:37]
	v_fma_f64 v[4:5], v[6:7], v[24:25], -v[16:17]
	v_fma_f64 v[18:19], v[8:9], v[24:25], v[18:19]
	v_mul_f64 v[22:23], v[56:57], v[26:27]
	v_fma_f64 v[6:7], v[6:7], v[34:35], -v[10:11]
	v_fma_f64 v[8:9], v[8:9], v[34:35], v[14:15]
	v_mul_f64 v[10:11], v[54:55], v[26:27]
	v_add_f64 v[16:17], v[32:33], v[4:5]
	v_add_f64 v[14:15], v[18:19], v[20:21]
	v_fma_f64 v[4:5], v[54:55], v[24:25], -v[22:23]
	v_mul_f64 v[20:21], v[56:57], v[36:37]
	v_mul_f64 v[22:23], v[54:55], v[36:37]
	v_add_f64 v[18:19], v[38:39], v[6:7]
	v_add_f64 v[50:51], v[8:9], v[40:41]
	v_fma_f64 v[32:33], v[56:57], v[24:25], v[10:11]
	ds_read_b128 v[24:27], v28 offset:112
	ds_read_b128 v[8:11], v30 offset:3584
	v_add_f64 v[52:53], v[0:1], v[4:5]
	v_fma_f64 v[0:1], v[54:55], v[34:35], -v[20:21]
	ds_read_b128 v[4:7], v30 offset:3840
	s_waitcnt lgkmcnt(1)
	v_mul_f64 v[20:21], v[26:27], v[10:11]
	v_fma_f64 v[58:59], v[56:57], v[34:35], v[22:23]
	v_add_f64 v[56:57], v[32:33], v[60:61]
	v_mul_f64 v[22:23], v[24:25], v[10:11]
	v_add_f64 v[54:55], v[62:63], v[0:1]
	ds_read_b128 v[60:63], v28 offset:8304
	v_fma_f64 v[34:35], v[24:25], v[8:9], -v[20:21]
	s_waitcnt lgkmcnt(1)
	v_mul_f64 v[36:37], v[26:27], v[6:7]
	v_mul_f64 v[38:39], v[24:25], v[6:7]
	v_fma_f64 v[0:1], v[26:27], v[8:9], v[22:23]
	s_waitcnt lgkmcnt(0)
	v_mul_f64 v[20:21], v[62:63], v[10:11]
	v_mul_f64 v[10:11], v[60:61], v[10:11]
	v_add_f64 v[12:13], v[58:59], v[12:13]
	v_add_f64 v[34:35], v[16:17], v[34:35]
	v_fma_f64 v[24:25], v[24:25], v[4:5], -v[36:37]
	v_fma_f64 v[26:27], v[26:27], v[4:5], v[38:39]
	v_add_f64 v[14:15], v[0:1], v[14:15]
	v_fma_f64 v[20:21], v[60:61], v[8:9], -v[20:21]
	v_fma_f64 v[22:23], v[62:63], v[8:9], v[10:11]
	v_mul_f64 v[8:9], v[62:63], v[6:7]
	v_mul_f64 v[6:7], v[60:61], v[6:7]
	v_add_f64 v[58:59], v[18:19], v[24:25]
	v_add_f64 v[0:1], v[26:27], v[50:51]
	;; [unrolled: 1-line block ×4, first 2 shown]
	v_fma_f64 v[32:33], v[60:61], v[4:5], -v[8:9]
	v_fma_f64 v[36:37], v[62:63], v[4:5], v[6:7]
	ds_read_b128 v[4:7], v28 offset:128
	ds_read_b128 v[8:11], v30 offset:4096
	;; [unrolled: 1-line block ×4, first 2 shown]
	s_waitcnt lgkmcnt(2)
	v_mul_f64 v[38:39], v[6:7], v[10:11]
	v_mul_f64 v[40:41], v[4:5], v[10:11]
	s_waitcnt lgkmcnt(1)
	v_mul_f64 v[50:51], v[6:7], v[18:19]
	v_add_f64 v[56:57], v[36:37], v[12:13]
	v_mul_f64 v[12:13], v[4:5], v[18:19]
	v_add_f64 v[32:33], v[54:55], v[32:33]
	v_fma_f64 v[38:39], v[4:5], v[8:9], -v[38:39]
	v_fma_f64 v[40:41], v[6:7], v[8:9], v[40:41]
	v_fma_f64 v[4:5], v[4:5], v[16:17], -v[50:51]
	v_fma_f64 v[6:7], v[6:7], v[16:17], v[12:13]
	v_add_f64 v[52:53], v[34:35], v[38:39]
	s_waitcnt lgkmcnt(0)
	v_mul_f64 v[34:35], v[26:27], v[10:11]
	v_add_f64 v[54:55], v[40:41], v[14:15]
	v_mul_f64 v[10:11], v[24:25], v[10:11]
	v_mul_f64 v[14:15], v[26:27], v[18:19]
	;; [unrolled: 1-line block ×3, first 2 shown]
	v_add_f64 v[50:51], v[58:59], v[4:5]
	v_fma_f64 v[36:37], v[24:25], v[8:9], -v[34:35]
	v_add_f64 v[34:35], v[6:7], v[0:1]
	v_fma_f64 v[38:39], v[26:27], v[8:9], v[10:11]
	v_fma_f64 v[58:59], v[24:25], v[16:17], -v[14:15]
	ds_read_b128 v[12:15], v28 offset:144
	ds_read_b128 v[8:11], v30 offset:4608
	;; [unrolled: 1-line block ×3, first 2 shown]
	v_fma_f64 v[40:41], v[26:27], v[16:17], v[18:19]
	ds_read_b128 v[16:19], v28 offset:8336
	v_add_f64 v[62:63], v[20:21], v[36:37]
	s_waitcnt lgkmcnt(2)
	v_mul_f64 v[0:1], v[14:15], v[10:11]
	s_waitcnt lgkmcnt(1)
	v_mul_f64 v[36:37], v[14:15], v[6:7]
	v_mul_f64 v[24:25], v[12:13], v[10:11]
	;; [unrolled: 1-line block ×3, first 2 shown]
	v_add_f64 v[60:61], v[38:39], v[22:23]
	v_add_f64 v[58:59], v[32:33], v[58:59]
	;; [unrolled: 1-line block ×3, first 2 shown]
	v_fma_f64 v[0:1], v[12:13], v[8:9], -v[0:1]
	v_fma_f64 v[12:13], v[12:13], v[4:5], -v[36:37]
	v_fma_f64 v[20:21], v[14:15], v[8:9], v[24:25]
	s_waitcnt lgkmcnt(0)
	v_mul_f64 v[24:25], v[18:19], v[10:11]
	v_mul_f64 v[10:11], v[16:17], v[10:11]
	v_fma_f64 v[14:15], v[14:15], v[4:5], v[26:27]
	v_add_f64 v[32:33], v[52:53], v[0:1]
	v_mul_f64 v[0:1], v[18:19], v[6:7]
	v_add_f64 v[38:39], v[50:51], v[12:13]
	v_mul_f64 v[12:13], v[16:17], v[6:7]
	v_fma_f64 v[36:37], v[16:17], v[8:9], -v[24:25]
	v_fma_f64 v[10:11], v[18:19], v[8:9], v[10:11]
	ds_read_b128 v[6:9], v28 offset:160
	ds_read_b128 v[24:27], v30 offset:5120
	v_add_f64 v[40:41], v[14:15], v[34:35]
	v_add_f64 v[20:21], v[20:21], v[54:55]
	v_fma_f64 v[14:15], v[16:17], v[4:5], -v[0:1]
	ds_read_b128 v[54:57], v28 offset:8352
	v_fma_f64 v[4:5], v[18:19], v[4:5], v[12:13]
	s_waitcnt lgkmcnt(1)
	v_mul_f64 v[16:17], v[8:9], v[26:27]
	v_mul_f64 v[18:19], v[6:7], v[26:27]
	v_add_f64 v[0:1], v[62:63], v[36:37]
	ds_read_b128 v[34:37], v30 offset:5376
	v_add_f64 v[60:61], v[10:11], v[60:61]
	v_add_f64 v[62:63], v[58:59], v[14:15]
	;; [unrolled: 1-line block ×3, first 2 shown]
	s_waitcnt lgkmcnt(0)
	v_mul_f64 v[10:11], v[8:9], v[36:37]
	v_mul_f64 v[14:15], v[6:7], v[36:37]
	v_fma_f64 v[4:5], v[6:7], v[24:25], -v[16:17]
	v_fma_f64 v[18:19], v[8:9], v[24:25], v[18:19]
	v_mul_f64 v[22:23], v[56:57], v[26:27]
	v_fma_f64 v[6:7], v[6:7], v[34:35], -v[10:11]
	v_fma_f64 v[8:9], v[8:9], v[34:35], v[14:15]
	v_mul_f64 v[10:11], v[54:55], v[26:27]
	v_add_f64 v[16:17], v[32:33], v[4:5]
	v_add_f64 v[14:15], v[18:19], v[20:21]
	v_fma_f64 v[4:5], v[54:55], v[24:25], -v[22:23]
	v_mul_f64 v[20:21], v[56:57], v[36:37]
	v_mul_f64 v[22:23], v[54:55], v[36:37]
	v_add_f64 v[18:19], v[38:39], v[6:7]
	v_add_f64 v[50:51], v[8:9], v[40:41]
	v_fma_f64 v[32:33], v[56:57], v[24:25], v[10:11]
	ds_read_b128 v[24:27], v28 offset:176
	ds_read_b128 v[8:11], v30 offset:5632
	v_add_f64 v[52:53], v[0:1], v[4:5]
	v_fma_f64 v[0:1], v[54:55], v[34:35], -v[20:21]
	ds_read_b128 v[4:7], v30 offset:5888
	s_waitcnt lgkmcnt(1)
	v_mul_f64 v[20:21], v[26:27], v[10:11]
	v_fma_f64 v[58:59], v[56:57], v[34:35], v[22:23]
	v_add_f64 v[56:57], v[32:33], v[60:61]
	v_mul_f64 v[22:23], v[24:25], v[10:11]
	v_add_f64 v[54:55], v[62:63], v[0:1]
	ds_read_b128 v[60:63], v28 offset:8368
	v_fma_f64 v[34:35], v[24:25], v[8:9], -v[20:21]
	s_waitcnt lgkmcnt(1)
	v_mul_f64 v[36:37], v[26:27], v[6:7]
	v_mul_f64 v[38:39], v[24:25], v[6:7]
	v_fma_f64 v[0:1], v[26:27], v[8:9], v[22:23]
	s_waitcnt lgkmcnt(0)
	v_mul_f64 v[20:21], v[62:63], v[10:11]
	v_mul_f64 v[10:11], v[60:61], v[10:11]
	v_add_f64 v[12:13], v[58:59], v[12:13]
	v_add_f64 v[34:35], v[16:17], v[34:35]
	v_fma_f64 v[24:25], v[24:25], v[4:5], -v[36:37]
	v_fma_f64 v[26:27], v[26:27], v[4:5], v[38:39]
	v_add_f64 v[14:15], v[0:1], v[14:15]
	v_fma_f64 v[20:21], v[60:61], v[8:9], -v[20:21]
	v_fma_f64 v[22:23], v[62:63], v[8:9], v[10:11]
	v_mul_f64 v[8:9], v[62:63], v[6:7]
	v_mul_f64 v[6:7], v[60:61], v[6:7]
	v_add_f64 v[58:59], v[18:19], v[24:25]
	v_add_f64 v[0:1], v[26:27], v[50:51]
	;; [unrolled: 1-line block ×4, first 2 shown]
	v_fma_f64 v[32:33], v[60:61], v[4:5], -v[8:9]
	v_fma_f64 v[36:37], v[62:63], v[4:5], v[6:7]
	ds_read_b128 v[4:7], v28 offset:192
	ds_read_b128 v[8:11], v30 offset:6144
	;; [unrolled: 1-line block ×4, first 2 shown]
	s_waitcnt lgkmcnt(2)
	v_mul_f64 v[38:39], v[6:7], v[10:11]
	v_mul_f64 v[40:41], v[4:5], v[10:11]
	s_waitcnt lgkmcnt(1)
	v_mul_f64 v[50:51], v[6:7], v[18:19]
	v_add_f64 v[56:57], v[36:37], v[12:13]
	v_mul_f64 v[12:13], v[4:5], v[18:19]
	v_add_f64 v[32:33], v[54:55], v[32:33]
	v_fma_f64 v[38:39], v[4:5], v[8:9], -v[38:39]
	v_fma_f64 v[40:41], v[6:7], v[8:9], v[40:41]
	v_fma_f64 v[4:5], v[4:5], v[16:17], -v[50:51]
	v_fma_f64 v[6:7], v[6:7], v[16:17], v[12:13]
	v_add_f64 v[52:53], v[34:35], v[38:39]
	s_waitcnt lgkmcnt(0)
	v_mul_f64 v[34:35], v[26:27], v[10:11]
	v_add_f64 v[54:55], v[40:41], v[14:15]
	v_mul_f64 v[10:11], v[24:25], v[10:11]
	v_mul_f64 v[14:15], v[26:27], v[18:19]
	;; [unrolled: 1-line block ×3, first 2 shown]
	v_add_f64 v[50:51], v[58:59], v[4:5]
	v_fma_f64 v[36:37], v[24:25], v[8:9], -v[34:35]
	v_add_f64 v[34:35], v[6:7], v[0:1]
	v_fma_f64 v[38:39], v[26:27], v[8:9], v[10:11]
	v_fma_f64 v[58:59], v[24:25], v[16:17], -v[14:15]
	ds_read_b128 v[12:15], v28 offset:208
	ds_read_b128 v[8:11], v30 offset:6656
	;; [unrolled: 1-line block ×3, first 2 shown]
	v_fma_f64 v[40:41], v[26:27], v[16:17], v[18:19]
	ds_read_b128 v[16:19], v28 offset:8400
	v_add_f64 v[62:63], v[20:21], v[36:37]
	s_waitcnt lgkmcnt(2)
	v_mul_f64 v[0:1], v[14:15], v[10:11]
	s_waitcnt lgkmcnt(1)
	v_mul_f64 v[36:37], v[14:15], v[6:7]
	v_mul_f64 v[24:25], v[12:13], v[10:11]
	;; [unrolled: 1-line block ×3, first 2 shown]
	v_add_f64 v[60:61], v[38:39], v[22:23]
	v_add_f64 v[58:59], v[32:33], v[58:59]
	;; [unrolled: 1-line block ×3, first 2 shown]
	v_fma_f64 v[0:1], v[12:13], v[8:9], -v[0:1]
	v_fma_f64 v[12:13], v[12:13], v[4:5], -v[36:37]
	v_fma_f64 v[20:21], v[14:15], v[8:9], v[24:25]
	s_waitcnt lgkmcnt(0)
	v_mul_f64 v[24:25], v[18:19], v[10:11]
	v_mul_f64 v[10:11], v[16:17], v[10:11]
	v_fma_f64 v[14:15], v[14:15], v[4:5], v[26:27]
	v_add_f64 v[32:33], v[52:53], v[0:1]
	v_mul_f64 v[0:1], v[18:19], v[6:7]
	v_add_f64 v[38:39], v[50:51], v[12:13]
	v_mul_f64 v[12:13], v[16:17], v[6:7]
	v_fma_f64 v[36:37], v[16:17], v[8:9], -v[24:25]
	v_fma_f64 v[10:11], v[18:19], v[8:9], v[10:11]
	ds_read_b128 v[6:9], v28 offset:224
	ds_read_b128 v[24:27], v30 offset:7168
	v_add_f64 v[40:41], v[14:15], v[34:35]
	v_add_f64 v[20:21], v[20:21], v[54:55]
	v_fma_f64 v[14:15], v[16:17], v[4:5], -v[0:1]
	ds_read_b128 v[54:57], v28 offset:8416
	v_fma_f64 v[4:5], v[18:19], v[4:5], v[12:13]
	s_waitcnt lgkmcnt(1)
	v_mul_f64 v[16:17], v[8:9], v[26:27]
	v_mul_f64 v[18:19], v[6:7], v[26:27]
	v_add_f64 v[0:1], v[62:63], v[36:37]
	ds_read_b128 v[34:37], v30 offset:7424
	v_add_f64 v[60:61], v[10:11], v[60:61]
	v_add_f64 v[62:63], v[58:59], v[14:15]
	;; [unrolled: 1-line block ×3, first 2 shown]
	s_waitcnt lgkmcnt(0)
	v_mul_f64 v[10:11], v[8:9], v[36:37]
	v_mul_f64 v[14:15], v[6:7], v[36:37]
	v_fma_f64 v[4:5], v[6:7], v[24:25], -v[16:17]
	v_fma_f64 v[18:19], v[8:9], v[24:25], v[18:19]
	v_mul_f64 v[22:23], v[56:57], v[26:27]
	v_fma_f64 v[6:7], v[6:7], v[34:35], -v[10:11]
	v_fma_f64 v[8:9], v[8:9], v[34:35], v[14:15]
	v_mul_f64 v[10:11], v[54:55], v[26:27]
	v_add_f64 v[16:17], v[32:33], v[4:5]
	v_add_f64 v[14:15], v[18:19], v[20:21]
	v_fma_f64 v[4:5], v[54:55], v[24:25], -v[22:23]
	v_mul_f64 v[20:21], v[56:57], v[36:37]
	v_mul_f64 v[22:23], v[54:55], v[36:37]
	v_add_f64 v[18:19], v[38:39], v[6:7]
	v_add_f64 v[50:51], v[8:9], v[40:41]
	v_fma_f64 v[32:33], v[56:57], v[24:25], v[10:11]
	ds_read_b128 v[24:27], v28 offset:240
	ds_read_b128 v[8:11], v30 offset:7680
	v_add_f64 v[52:53], v[0:1], v[4:5]
	v_fma_f64 v[0:1], v[54:55], v[34:35], -v[20:21]
	ds_read_b128 v[4:7], v30 offset:7936
	s_waitcnt lgkmcnt(1)
	v_mul_f64 v[20:21], v[26:27], v[10:11]
	v_fma_f64 v[58:59], v[56:57], v[34:35], v[22:23]
	v_add_f64 v[56:57], v[32:33], v[60:61]
	v_mul_f64 v[22:23], v[24:25], v[10:11]
	v_add_f64 v[54:55], v[62:63], v[0:1]
	ds_read_b128 v[60:63], v28 offset:8432
	v_fma_f64 v[34:35], v[24:25], v[8:9], -v[20:21]
	s_waitcnt lgkmcnt(1)
	v_mul_f64 v[36:37], v[26:27], v[6:7]
	v_mul_f64 v[38:39], v[24:25], v[6:7]
	v_fma_f64 v[0:1], v[26:27], v[8:9], v[22:23]
	s_waitcnt lgkmcnt(0)
	v_mul_f64 v[20:21], v[62:63], v[10:11]
	v_mul_f64 v[10:11], v[60:61], v[10:11]
	v_add_f64 v[12:13], v[58:59], v[12:13]
	v_add_f64 v[34:35], v[16:17], v[34:35]
	v_fma_f64 v[24:25], v[24:25], v[4:5], -v[36:37]
	v_fma_f64 v[26:27], v[26:27], v[4:5], v[38:39]
	v_add_f64 v[14:15], v[0:1], v[14:15]
	v_fma_f64 v[20:21], v[60:61], v[8:9], -v[20:21]
	v_fma_f64 v[22:23], v[62:63], v[8:9], v[10:11]
	v_mul_f64 v[8:9], v[62:63], v[6:7]
	v_mul_f64 v[6:7], v[60:61], v[6:7]
	v_add_f64 v[58:59], v[18:19], v[24:25]
	v_add_f64 v[0:1], v[26:27], v[50:51]
	;; [unrolled: 1-line block ×4, first 2 shown]
	v_fma_f64 v[32:33], v[60:61], v[4:5], -v[8:9]
	v_fma_f64 v[36:37], v[62:63], v[4:5], v[6:7]
	ds_read_b128 v[4:7], v28 offset:256
	ds_read_b128 v[8:11], v30 offset:8192
	;; [unrolled: 1-line block ×4, first 2 shown]
	s_waitcnt lgkmcnt(2)
	v_mul_f64 v[38:39], v[6:7], v[10:11]
	v_mul_f64 v[40:41], v[4:5], v[10:11]
	s_waitcnt lgkmcnt(1)
	v_mul_f64 v[50:51], v[6:7], v[18:19]
	v_add_f64 v[56:57], v[36:37], v[12:13]
	v_mul_f64 v[12:13], v[4:5], v[18:19]
	v_add_f64 v[32:33], v[54:55], v[32:33]
	v_fma_f64 v[38:39], v[4:5], v[8:9], -v[38:39]
	v_fma_f64 v[40:41], v[6:7], v[8:9], v[40:41]
	v_fma_f64 v[4:5], v[4:5], v[16:17], -v[50:51]
	v_fma_f64 v[6:7], v[6:7], v[16:17], v[12:13]
	v_add_f64 v[52:53], v[34:35], v[38:39]
	s_waitcnt lgkmcnt(0)
	v_mul_f64 v[34:35], v[26:27], v[10:11]
	v_add_f64 v[54:55], v[40:41], v[14:15]
	v_mul_f64 v[10:11], v[24:25], v[10:11]
	v_mul_f64 v[14:15], v[26:27], v[18:19]
	;; [unrolled: 1-line block ×3, first 2 shown]
	v_add_f64 v[50:51], v[58:59], v[4:5]
	v_fma_f64 v[36:37], v[24:25], v[8:9], -v[34:35]
	v_add_f64 v[34:35], v[6:7], v[0:1]
	v_fma_f64 v[38:39], v[26:27], v[8:9], v[10:11]
	v_fma_f64 v[58:59], v[24:25], v[16:17], -v[14:15]
	ds_read_b128 v[12:15], v28 offset:272
	ds_read_b128 v[8:11], v30 offset:8704
	;; [unrolled: 1-line block ×3, first 2 shown]
	v_fma_f64 v[40:41], v[26:27], v[16:17], v[18:19]
	ds_read_b128 v[16:19], v28 offset:8464
	v_add_f64 v[62:63], v[20:21], v[36:37]
	s_waitcnt lgkmcnt(2)
	v_mul_f64 v[0:1], v[14:15], v[10:11]
	s_waitcnt lgkmcnt(1)
	v_mul_f64 v[36:37], v[14:15], v[6:7]
	v_mul_f64 v[24:25], v[12:13], v[10:11]
	;; [unrolled: 1-line block ×3, first 2 shown]
	v_add_f64 v[60:61], v[38:39], v[22:23]
	v_add_f64 v[58:59], v[32:33], v[58:59]
	;; [unrolled: 1-line block ×3, first 2 shown]
	v_fma_f64 v[0:1], v[12:13], v[8:9], -v[0:1]
	v_fma_f64 v[12:13], v[12:13], v[4:5], -v[36:37]
	v_fma_f64 v[20:21], v[14:15], v[8:9], v[24:25]
	s_waitcnt lgkmcnt(0)
	v_mul_f64 v[24:25], v[18:19], v[10:11]
	v_mul_f64 v[10:11], v[16:17], v[10:11]
	v_fma_f64 v[14:15], v[14:15], v[4:5], v[26:27]
	v_add_f64 v[32:33], v[52:53], v[0:1]
	v_mul_f64 v[0:1], v[18:19], v[6:7]
	v_add_f64 v[38:39], v[50:51], v[12:13]
	v_mul_f64 v[12:13], v[16:17], v[6:7]
	v_fma_f64 v[36:37], v[16:17], v[8:9], -v[24:25]
	v_fma_f64 v[10:11], v[18:19], v[8:9], v[10:11]
	ds_read_b128 v[6:9], v28 offset:288
	ds_read_b128 v[24:27], v30 offset:9216
	v_add_f64 v[40:41], v[14:15], v[34:35]
	v_add_f64 v[20:21], v[20:21], v[54:55]
	v_fma_f64 v[14:15], v[16:17], v[4:5], -v[0:1]
	ds_read_b128 v[54:57], v28 offset:8480
	v_fma_f64 v[4:5], v[18:19], v[4:5], v[12:13]
	s_waitcnt lgkmcnt(1)
	v_mul_f64 v[16:17], v[8:9], v[26:27]
	v_mul_f64 v[18:19], v[6:7], v[26:27]
	v_add_f64 v[0:1], v[62:63], v[36:37]
	ds_read_b128 v[34:37], v30 offset:9472
	v_add_f64 v[60:61], v[10:11], v[60:61]
	v_add_f64 v[62:63], v[58:59], v[14:15]
	;; [unrolled: 1-line block ×3, first 2 shown]
	s_waitcnt lgkmcnt(0)
	v_mul_f64 v[10:11], v[8:9], v[36:37]
	v_mul_f64 v[14:15], v[6:7], v[36:37]
	v_fma_f64 v[4:5], v[6:7], v[24:25], -v[16:17]
	v_fma_f64 v[18:19], v[8:9], v[24:25], v[18:19]
	v_mul_f64 v[22:23], v[56:57], v[26:27]
	v_fma_f64 v[6:7], v[6:7], v[34:35], -v[10:11]
	v_fma_f64 v[8:9], v[8:9], v[34:35], v[14:15]
	v_mul_f64 v[10:11], v[54:55], v[26:27]
	v_add_f64 v[16:17], v[32:33], v[4:5]
	v_add_f64 v[14:15], v[18:19], v[20:21]
	v_fma_f64 v[4:5], v[54:55], v[24:25], -v[22:23]
	v_mul_f64 v[20:21], v[56:57], v[36:37]
	v_mul_f64 v[22:23], v[54:55], v[36:37]
	v_add_f64 v[18:19], v[38:39], v[6:7]
	v_add_f64 v[50:51], v[8:9], v[40:41]
	v_fma_f64 v[32:33], v[56:57], v[24:25], v[10:11]
	ds_read_b128 v[24:27], v28 offset:304
	ds_read_b128 v[8:11], v30 offset:9728
	v_add_f64 v[52:53], v[0:1], v[4:5]
	v_fma_f64 v[0:1], v[54:55], v[34:35], -v[20:21]
	ds_read_b128 v[4:7], v30 offset:9984
	s_waitcnt lgkmcnt(1)
	v_mul_f64 v[20:21], v[26:27], v[10:11]
	v_fma_f64 v[58:59], v[56:57], v[34:35], v[22:23]
	v_add_f64 v[56:57], v[32:33], v[60:61]
	v_mul_f64 v[22:23], v[24:25], v[10:11]
	v_add_f64 v[54:55], v[62:63], v[0:1]
	ds_read_b128 v[60:63], v28 offset:8496
	v_fma_f64 v[34:35], v[24:25], v[8:9], -v[20:21]
	s_waitcnt lgkmcnt(1)
	v_mul_f64 v[36:37], v[26:27], v[6:7]
	v_mul_f64 v[38:39], v[24:25], v[6:7]
	v_fma_f64 v[0:1], v[26:27], v[8:9], v[22:23]
	s_waitcnt lgkmcnt(0)
	v_mul_f64 v[20:21], v[62:63], v[10:11]
	v_mul_f64 v[10:11], v[60:61], v[10:11]
	v_add_f64 v[12:13], v[58:59], v[12:13]
	v_add_f64 v[34:35], v[16:17], v[34:35]
	v_fma_f64 v[24:25], v[24:25], v[4:5], -v[36:37]
	v_fma_f64 v[26:27], v[26:27], v[4:5], v[38:39]
	v_add_f64 v[14:15], v[0:1], v[14:15]
	v_fma_f64 v[20:21], v[60:61], v[8:9], -v[20:21]
	v_fma_f64 v[22:23], v[62:63], v[8:9], v[10:11]
	v_mul_f64 v[8:9], v[62:63], v[6:7]
	v_mul_f64 v[6:7], v[60:61], v[6:7]
	v_add_f64 v[58:59], v[18:19], v[24:25]
	v_add_f64 v[0:1], v[26:27], v[50:51]
	;; [unrolled: 1-line block ×4, first 2 shown]
	v_fma_f64 v[32:33], v[60:61], v[4:5], -v[8:9]
	v_fma_f64 v[36:37], v[62:63], v[4:5], v[6:7]
	ds_read_b128 v[4:7], v28 offset:320
	ds_read_b128 v[8:11], v30 offset:10240
	;; [unrolled: 1-line block ×4, first 2 shown]
	s_waitcnt lgkmcnt(2)
	v_mul_f64 v[38:39], v[6:7], v[10:11]
	v_mul_f64 v[40:41], v[4:5], v[10:11]
	s_waitcnt lgkmcnt(1)
	v_mul_f64 v[50:51], v[6:7], v[18:19]
	v_add_f64 v[56:57], v[36:37], v[12:13]
	v_mul_f64 v[12:13], v[4:5], v[18:19]
	v_add_f64 v[32:33], v[54:55], v[32:33]
	v_fma_f64 v[38:39], v[4:5], v[8:9], -v[38:39]
	v_fma_f64 v[40:41], v[6:7], v[8:9], v[40:41]
	v_fma_f64 v[4:5], v[4:5], v[16:17], -v[50:51]
	v_fma_f64 v[6:7], v[6:7], v[16:17], v[12:13]
	v_add_f64 v[52:53], v[34:35], v[38:39]
	s_waitcnt lgkmcnt(0)
	v_mul_f64 v[34:35], v[26:27], v[10:11]
	v_add_f64 v[54:55], v[40:41], v[14:15]
	v_mul_f64 v[10:11], v[24:25], v[10:11]
	v_mul_f64 v[14:15], v[26:27], v[18:19]
	;; [unrolled: 1-line block ×3, first 2 shown]
	v_add_f64 v[50:51], v[58:59], v[4:5]
	v_fma_f64 v[36:37], v[24:25], v[8:9], -v[34:35]
	v_add_f64 v[34:35], v[6:7], v[0:1]
	v_fma_f64 v[38:39], v[26:27], v[8:9], v[10:11]
	v_fma_f64 v[58:59], v[24:25], v[16:17], -v[14:15]
	ds_read_b128 v[12:15], v28 offset:336
	ds_read_b128 v[8:11], v30 offset:10752
	;; [unrolled: 1-line block ×3, first 2 shown]
	v_fma_f64 v[40:41], v[26:27], v[16:17], v[18:19]
	ds_read_b128 v[16:19], v28 offset:8528
	v_add_f64 v[62:63], v[20:21], v[36:37]
	s_waitcnt lgkmcnt(2)
	v_mul_f64 v[0:1], v[14:15], v[10:11]
	s_waitcnt lgkmcnt(1)
	v_mul_f64 v[36:37], v[14:15], v[6:7]
	v_mul_f64 v[24:25], v[12:13], v[10:11]
	;; [unrolled: 1-line block ×3, first 2 shown]
	v_add_f64 v[60:61], v[38:39], v[22:23]
	v_add_f64 v[58:59], v[32:33], v[58:59]
	v_add_f64 v[22:23], v[40:41], v[56:57]
	v_fma_f64 v[0:1], v[12:13], v[8:9], -v[0:1]
	v_fma_f64 v[12:13], v[12:13], v[4:5], -v[36:37]
	v_fma_f64 v[20:21], v[14:15], v[8:9], v[24:25]
	s_waitcnt lgkmcnt(0)
	v_mul_f64 v[24:25], v[18:19], v[10:11]
	v_mul_f64 v[10:11], v[16:17], v[10:11]
	v_fma_f64 v[14:15], v[14:15], v[4:5], v[26:27]
	v_add_f64 v[32:33], v[52:53], v[0:1]
	v_mul_f64 v[0:1], v[18:19], v[6:7]
	v_add_f64 v[38:39], v[50:51], v[12:13]
	v_mul_f64 v[12:13], v[16:17], v[6:7]
	v_fma_f64 v[36:37], v[16:17], v[8:9], -v[24:25]
	v_fma_f64 v[10:11], v[18:19], v[8:9], v[10:11]
	ds_read_b128 v[6:9], v28 offset:352
	ds_read_b128 v[24:27], v30 offset:11264
	v_add_f64 v[40:41], v[14:15], v[34:35]
	v_add_f64 v[20:21], v[20:21], v[54:55]
	v_fma_f64 v[14:15], v[16:17], v[4:5], -v[0:1]
	ds_read_b128 v[54:57], v28 offset:8544
	v_fma_f64 v[4:5], v[18:19], v[4:5], v[12:13]
	s_waitcnt lgkmcnt(1)
	v_mul_f64 v[16:17], v[8:9], v[26:27]
	v_mul_f64 v[18:19], v[6:7], v[26:27]
	v_add_f64 v[0:1], v[62:63], v[36:37]
	ds_read_b128 v[34:37], v30 offset:11520
	v_add_f64 v[60:61], v[10:11], v[60:61]
	v_add_f64 v[62:63], v[58:59], v[14:15]
	;; [unrolled: 1-line block ×3, first 2 shown]
	s_waitcnt lgkmcnt(0)
	v_mul_f64 v[10:11], v[8:9], v[36:37]
	v_mul_f64 v[14:15], v[6:7], v[36:37]
	v_fma_f64 v[4:5], v[6:7], v[24:25], -v[16:17]
	v_fma_f64 v[18:19], v[8:9], v[24:25], v[18:19]
	v_mul_f64 v[22:23], v[56:57], v[26:27]
	v_fma_f64 v[6:7], v[6:7], v[34:35], -v[10:11]
	v_fma_f64 v[8:9], v[8:9], v[34:35], v[14:15]
	v_mul_f64 v[10:11], v[54:55], v[26:27]
	v_add_f64 v[16:17], v[32:33], v[4:5]
	v_add_f64 v[14:15], v[18:19], v[20:21]
	v_fma_f64 v[4:5], v[54:55], v[24:25], -v[22:23]
	v_mul_f64 v[20:21], v[56:57], v[36:37]
	v_mul_f64 v[22:23], v[54:55], v[36:37]
	v_add_f64 v[18:19], v[38:39], v[6:7]
	v_add_f64 v[50:51], v[8:9], v[40:41]
	v_fma_f64 v[32:33], v[56:57], v[24:25], v[10:11]
	ds_read_b128 v[24:27], v28 offset:368
	ds_read_b128 v[8:11], v30 offset:11776
	v_add_f64 v[52:53], v[0:1], v[4:5]
	v_fma_f64 v[0:1], v[54:55], v[34:35], -v[20:21]
	ds_read_b128 v[4:7], v30 offset:12032
	s_waitcnt lgkmcnt(1)
	v_mul_f64 v[20:21], v[26:27], v[10:11]
	v_fma_f64 v[58:59], v[56:57], v[34:35], v[22:23]
	v_add_f64 v[56:57], v[32:33], v[60:61]
	v_mul_f64 v[22:23], v[24:25], v[10:11]
	v_add_f64 v[54:55], v[62:63], v[0:1]
	ds_read_b128 v[60:63], v28 offset:8560
	v_fma_f64 v[34:35], v[24:25], v[8:9], -v[20:21]
	s_waitcnt lgkmcnt(1)
	v_mul_f64 v[36:37], v[26:27], v[6:7]
	v_mul_f64 v[38:39], v[24:25], v[6:7]
	v_fma_f64 v[0:1], v[26:27], v[8:9], v[22:23]
	s_waitcnt lgkmcnt(0)
	v_mul_f64 v[20:21], v[62:63], v[10:11]
	v_mul_f64 v[10:11], v[60:61], v[10:11]
	v_add_f64 v[12:13], v[58:59], v[12:13]
	v_add_f64 v[34:35], v[16:17], v[34:35]
	v_fma_f64 v[24:25], v[24:25], v[4:5], -v[36:37]
	v_fma_f64 v[26:27], v[26:27], v[4:5], v[38:39]
	v_add_f64 v[14:15], v[0:1], v[14:15]
	v_fma_f64 v[20:21], v[60:61], v[8:9], -v[20:21]
	v_fma_f64 v[22:23], v[62:63], v[8:9], v[10:11]
	v_mul_f64 v[8:9], v[62:63], v[6:7]
	v_mul_f64 v[6:7], v[60:61], v[6:7]
	v_add_f64 v[58:59], v[18:19], v[24:25]
	v_add_f64 v[0:1], v[26:27], v[50:51]
	v_add_f64 v[20:21], v[52:53], v[20:21]
	v_add_f64 v[22:23], v[22:23], v[56:57]
	v_fma_f64 v[32:33], v[60:61], v[4:5], -v[8:9]
	v_fma_f64 v[36:37], v[62:63], v[4:5], v[6:7]
	ds_read_b128 v[4:7], v28 offset:384
	ds_read_b128 v[8:11], v30 offset:12288
	;; [unrolled: 1-line block ×4, first 2 shown]
	s_waitcnt lgkmcnt(2)
	v_mul_f64 v[38:39], v[6:7], v[10:11]
	v_mul_f64 v[40:41], v[4:5], v[10:11]
	s_waitcnt lgkmcnt(1)
	v_mul_f64 v[50:51], v[6:7], v[18:19]
	v_add_f64 v[56:57], v[36:37], v[12:13]
	v_mul_f64 v[12:13], v[4:5], v[18:19]
	v_add_f64 v[32:33], v[54:55], v[32:33]
	v_fma_f64 v[38:39], v[4:5], v[8:9], -v[38:39]
	v_fma_f64 v[40:41], v[6:7], v[8:9], v[40:41]
	v_fma_f64 v[4:5], v[4:5], v[16:17], -v[50:51]
	v_fma_f64 v[6:7], v[6:7], v[16:17], v[12:13]
	v_add_f64 v[52:53], v[34:35], v[38:39]
	s_waitcnt lgkmcnt(0)
	v_mul_f64 v[34:35], v[26:27], v[10:11]
	v_add_f64 v[54:55], v[40:41], v[14:15]
	v_mul_f64 v[10:11], v[24:25], v[10:11]
	v_mul_f64 v[14:15], v[26:27], v[18:19]
	;; [unrolled: 1-line block ×3, first 2 shown]
	v_add_f64 v[50:51], v[58:59], v[4:5]
	v_fma_f64 v[36:37], v[24:25], v[8:9], -v[34:35]
	v_add_f64 v[34:35], v[6:7], v[0:1]
	v_fma_f64 v[38:39], v[26:27], v[8:9], v[10:11]
	v_fma_f64 v[58:59], v[24:25], v[16:17], -v[14:15]
	ds_read_b128 v[12:15], v28 offset:400
	ds_read_b128 v[8:11], v30 offset:12800
	ds_read_b128 v[4:7], v30 offset:13056
	v_fma_f64 v[40:41], v[26:27], v[16:17], v[18:19]
	ds_read_b128 v[16:19], v28 offset:8592
	v_add_f64 v[62:63], v[20:21], v[36:37]
	s_waitcnt lgkmcnt(2)
	v_mul_f64 v[0:1], v[14:15], v[10:11]
	s_waitcnt lgkmcnt(1)
	v_mul_f64 v[36:37], v[14:15], v[6:7]
	v_mul_f64 v[24:25], v[12:13], v[10:11]
	;; [unrolled: 1-line block ×3, first 2 shown]
	v_add_f64 v[60:61], v[38:39], v[22:23]
	v_add_f64 v[58:59], v[32:33], v[58:59]
	;; [unrolled: 1-line block ×3, first 2 shown]
	v_fma_f64 v[0:1], v[12:13], v[8:9], -v[0:1]
	v_fma_f64 v[12:13], v[12:13], v[4:5], -v[36:37]
	v_fma_f64 v[20:21], v[14:15], v[8:9], v[24:25]
	s_waitcnt lgkmcnt(0)
	v_mul_f64 v[24:25], v[18:19], v[10:11]
	v_mul_f64 v[10:11], v[16:17], v[10:11]
	v_fma_f64 v[14:15], v[14:15], v[4:5], v[26:27]
	v_add_f64 v[32:33], v[52:53], v[0:1]
	v_mul_f64 v[0:1], v[18:19], v[6:7]
	v_add_f64 v[38:39], v[50:51], v[12:13]
	v_mul_f64 v[12:13], v[16:17], v[6:7]
	v_fma_f64 v[36:37], v[16:17], v[8:9], -v[24:25]
	v_fma_f64 v[10:11], v[18:19], v[8:9], v[10:11]
	ds_read_b128 v[6:9], v28 offset:416
	ds_read_b128 v[24:27], v30 offset:13312
	v_add_f64 v[40:41], v[14:15], v[34:35]
	v_add_f64 v[20:21], v[20:21], v[54:55]
	v_fma_f64 v[14:15], v[16:17], v[4:5], -v[0:1]
	ds_read_b128 v[54:57], v28 offset:8608
	v_fma_f64 v[4:5], v[18:19], v[4:5], v[12:13]
	s_waitcnt lgkmcnt(1)
	v_mul_f64 v[16:17], v[8:9], v[26:27]
	v_mul_f64 v[18:19], v[6:7], v[26:27]
	v_add_f64 v[0:1], v[62:63], v[36:37]
	ds_read_b128 v[34:37], v30 offset:13568
	v_add_f64 v[60:61], v[10:11], v[60:61]
	v_add_f64 v[62:63], v[58:59], v[14:15]
	;; [unrolled: 1-line block ×3, first 2 shown]
	s_waitcnt lgkmcnt(0)
	v_mul_f64 v[10:11], v[8:9], v[36:37]
	v_mul_f64 v[14:15], v[6:7], v[36:37]
	v_fma_f64 v[4:5], v[6:7], v[24:25], -v[16:17]
	v_fma_f64 v[18:19], v[8:9], v[24:25], v[18:19]
	v_mul_f64 v[22:23], v[56:57], v[26:27]
	v_fma_f64 v[6:7], v[6:7], v[34:35], -v[10:11]
	v_fma_f64 v[8:9], v[8:9], v[34:35], v[14:15]
	v_mul_f64 v[10:11], v[54:55], v[26:27]
	v_add_f64 v[16:17], v[32:33], v[4:5]
	v_add_f64 v[14:15], v[18:19], v[20:21]
	v_fma_f64 v[4:5], v[54:55], v[24:25], -v[22:23]
	v_mul_f64 v[20:21], v[56:57], v[36:37]
	v_mul_f64 v[22:23], v[54:55], v[36:37]
	v_add_f64 v[18:19], v[38:39], v[6:7]
	v_add_f64 v[50:51], v[8:9], v[40:41]
	v_fma_f64 v[32:33], v[56:57], v[24:25], v[10:11]
	ds_read_b128 v[24:27], v28 offset:432
	ds_read_b128 v[8:11], v30 offset:13824
	v_add_f64 v[52:53], v[0:1], v[4:5]
	v_fma_f64 v[0:1], v[54:55], v[34:35], -v[20:21]
	ds_read_b128 v[4:7], v30 offset:14080
	s_waitcnt lgkmcnt(1)
	v_mul_f64 v[20:21], v[26:27], v[10:11]
	v_fma_f64 v[58:59], v[56:57], v[34:35], v[22:23]
	v_add_f64 v[56:57], v[32:33], v[60:61]
	v_mul_f64 v[22:23], v[24:25], v[10:11]
	v_add_f64 v[54:55], v[62:63], v[0:1]
	ds_read_b128 v[60:63], v28 offset:8624
	v_fma_f64 v[34:35], v[24:25], v[8:9], -v[20:21]
	s_waitcnt lgkmcnt(1)
	v_mul_f64 v[36:37], v[26:27], v[6:7]
	v_mul_f64 v[38:39], v[24:25], v[6:7]
	v_fma_f64 v[0:1], v[26:27], v[8:9], v[22:23]
	s_waitcnt lgkmcnt(0)
	v_mul_f64 v[20:21], v[62:63], v[10:11]
	v_mul_f64 v[10:11], v[60:61], v[10:11]
	v_add_f64 v[12:13], v[58:59], v[12:13]
	v_add_f64 v[34:35], v[16:17], v[34:35]
	v_fma_f64 v[24:25], v[24:25], v[4:5], -v[36:37]
	v_fma_f64 v[26:27], v[26:27], v[4:5], v[38:39]
	v_add_f64 v[14:15], v[0:1], v[14:15]
	v_fma_f64 v[20:21], v[60:61], v[8:9], -v[20:21]
	v_fma_f64 v[22:23], v[62:63], v[8:9], v[10:11]
	v_mul_f64 v[8:9], v[62:63], v[6:7]
	v_mul_f64 v[6:7], v[60:61], v[6:7]
	v_add_f64 v[58:59], v[18:19], v[24:25]
	v_add_f64 v[0:1], v[26:27], v[50:51]
	v_add_f64 v[20:21], v[52:53], v[20:21]
	v_add_f64 v[22:23], v[22:23], v[56:57]
	v_fma_f64 v[32:33], v[60:61], v[4:5], -v[8:9]
	v_fma_f64 v[36:37], v[62:63], v[4:5], v[6:7]
	ds_read_b128 v[4:7], v28 offset:448
	ds_read_b128 v[8:11], v30 offset:14336
	ds_read_b128 v[16:19], v30 offset:14592
	ds_read_b128 v[24:27], v28 offset:8640
	s_waitcnt lgkmcnt(2)
	v_mul_f64 v[38:39], v[6:7], v[10:11]
	v_mul_f64 v[40:41], v[4:5], v[10:11]
	s_waitcnt lgkmcnt(1)
	v_mul_f64 v[50:51], v[6:7], v[18:19]
	v_add_f64 v[56:57], v[36:37], v[12:13]
	v_mul_f64 v[12:13], v[4:5], v[18:19]
	v_add_f64 v[32:33], v[54:55], v[32:33]
	v_fma_f64 v[38:39], v[4:5], v[8:9], -v[38:39]
	v_fma_f64 v[40:41], v[6:7], v[8:9], v[40:41]
	v_fma_f64 v[4:5], v[4:5], v[16:17], -v[50:51]
	v_fma_f64 v[6:7], v[6:7], v[16:17], v[12:13]
	v_add_f64 v[52:53], v[34:35], v[38:39]
	s_waitcnt lgkmcnt(0)
	v_mul_f64 v[34:35], v[26:27], v[10:11]
	v_add_f64 v[54:55], v[40:41], v[14:15]
	v_mul_f64 v[10:11], v[24:25], v[10:11]
	v_mul_f64 v[14:15], v[26:27], v[18:19]
	v_add_f64 v[50:51], v[58:59], v[4:5]
	v_mul_f64 v[18:19], v[24:25], v[18:19]
	v_fma_f64 v[36:37], v[24:25], v[8:9], -v[34:35]
	v_add_f64 v[34:35], v[6:7], v[0:1]
	v_fma_f64 v[38:39], v[26:27], v[8:9], v[10:11]
	v_fma_f64 v[58:59], v[24:25], v[16:17], -v[14:15]
	ds_read_b128 v[12:15], v28 offset:464
	ds_read_b128 v[8:11], v30 offset:14848
	;; [unrolled: 1-line block ×3, first 2 shown]
	v_fma_f64 v[40:41], v[26:27], v[16:17], v[18:19]
	ds_read_b128 v[16:19], v28 offset:8656
	v_add_f64 v[62:63], v[20:21], v[36:37]
	s_waitcnt lgkmcnt(2)
	v_mul_f64 v[0:1], v[14:15], v[10:11]
	v_mul_f64 v[24:25], v[12:13], v[10:11]
	s_waitcnt lgkmcnt(1)
	v_mul_f64 v[36:37], v[14:15], v[6:7]
	v_mul_f64 v[26:27], v[12:13], v[6:7]
	v_add_f64 v[58:59], v[32:33], v[58:59]
	v_add_f64 v[60:61], v[38:39], v[22:23]
	;; [unrolled: 1-line block ×3, first 2 shown]
	v_fma_f64 v[0:1], v[12:13], v[8:9], -v[0:1]
	v_fma_f64 v[20:21], v[14:15], v[8:9], v[24:25]
	s_waitcnt lgkmcnt(0)
	v_mul_f64 v[24:25], v[18:19], v[10:11]
	v_fma_f64 v[12:13], v[12:13], v[4:5], -v[36:37]
	v_fma_f64 v[14:15], v[14:15], v[4:5], v[26:27]
	v_mul_f64 v[10:11], v[16:17], v[10:11]
	v_mul_f64 v[36:37], v[16:17], v[6:7]
	v_add_f64 v[32:33], v[52:53], v[0:1]
	v_mul_f64 v[0:1], v[18:19], v[6:7]
	v_fma_f64 v[24:25], v[16:17], v[8:9], -v[24:25]
	v_add_f64 v[38:39], v[50:51], v[12:13]
	v_add_f64 v[14:15], v[14:15], v[34:35]
	v_fma_f64 v[34:35], v[18:19], v[8:9], v[10:11]
	ds_read_b128 v[6:9], v28 offset:480
	ds_read_b128 v[10:13], v30 offset:15360
	v_add_f64 v[20:21], v[20:21], v[54:55]
	v_fma_f64 v[16:17], v[16:17], v[4:5], -v[0:1]
	v_add_f64 v[0:1], v[62:63], v[24:25]
	ds_read_b128 v[24:27], v30 offset:15616
	v_fma_f64 v[4:5], v[18:19], v[4:5], v[36:37]
	s_waitcnt lgkmcnt(1)
	v_mul_f64 v[18:19], v[8:9], v[12:13]
	v_mul_f64 v[40:41], v[6:7], v[12:13]
	v_add_f64 v[62:63], v[34:35], v[60:61]
	ds_read_b128 v[34:37], v28 offset:8672
	v_add_f64 v[58:59], v[58:59], v[16:17]
	s_waitcnt lgkmcnt(1)
	v_mul_f64 v[16:17], v[6:7], v[26:27]
	v_mul_f64 v[50:51], v[8:9], v[26:27]
	v_add_f64 v[52:53], v[4:5], v[22:23]
	v_fma_f64 v[4:5], v[6:7], v[10:11], -v[18:19]
	s_waitcnt lgkmcnt(0)
	v_mul_f64 v[22:23], v[36:37], v[12:13]
	v_fma_f64 v[18:19], v[8:9], v[10:11], v[40:41]
	v_mul_f64 v[12:13], v[34:35], v[12:13]
	v_fma_f64 v[8:9], v[8:9], v[24:25], v[16:17]
	v_fma_f64 v[6:7], v[6:7], v[24:25], -v[50:51]
	v_add_f64 v[16:17], v[32:33], v[4:5]
	v_fma_f64 v[4:5], v[34:35], v[10:11], -v[22:23]
	v_mul_f64 v[32:33], v[36:37], v[26:27]
	v_mul_f64 v[26:27], v[34:35], v[26:27]
	v_add_f64 v[18:19], v[18:19], v[20:21]
	v_add_f64 v[56:57], v[8:9], v[14:15]
	v_fma_f64 v[12:13], v[36:37], v[10:11], v[12:13]
	ds_read_b128 v[20:23], v28 offset:496
	ds_read_b128 v[8:11], v30 offset:15872
	v_add_f64 v[50:51], v[38:39], v[6:7]
	v_add_f64 v[60:61], v[0:1], v[4:5]
	v_fma_f64 v[0:1], v[34:35], v[24:25], -v[32:33]
	v_fma_f64 v[54:55], v[36:37], v[24:25], v[26:27]
	s_waitcnt lgkmcnt(0)
	v_mul_f64 v[24:25], v[22:23], v[10:11]
	v_mul_f64 v[26:27], v[20:21], v[10:11]
	ds_read_b128 v[4:7], v30 offset:16128
	v_add_f64 v[34:35], v[12:13], v[62:63]
	ds_read_b128 v[12:15], v28 offset:8688
	s_waitcnt lgkmcnt(0)
	v_add_f64 v[62:63], v[58:59], v[0:1]
	v_mul_f64 v[32:33], v[22:23], v[6:7]
	v_fma_f64 v[0:1], v[20:21], v[8:9], -v[24:25]
	v_fma_f64 v[24:25], v[22:23], v[8:9], v[26:27]
	v_mul_f64 v[26:27], v[14:15], v[10:11]
	v_mul_f64 v[10:11], v[12:13], v[10:11]
	;; [unrolled: 1-line block ×3, first 2 shown]
	s_barrier
	v_fma_f64 v[20:21], v[20:21], v[4:5], -v[32:33]
	v_add_f64 v[32:33], v[54:55], v[52:53]
	v_add_f64 v[58:59], v[24:25], v[18:19]
	v_fma_f64 v[26:27], v[12:13], v[8:9], -v[26:27]
	v_fma_f64 v[8:9], v[14:15], v[8:9], v[10:11]
	v_mul_f64 v[10:11], v[14:15], v[6:7]
	v_mul_f64 v[6:7], v[12:13], v[6:7]
	v_fma_f64 v[22:23], v[22:23], v[4:5], v[36:37]
	v_add_f64 v[54:55], v[50:51], v[20:21]
	v_add_f64 v[18:19], v[60:61], v[26:27]
	;; [unrolled: 1-line block ×3, first 2 shown]
	v_fma_f64 v[10:11], v[12:13], v[4:5], -v[10:11]
	v_fma_f64 v[4:5], v[14:15], v[4:5], v[6:7]
	v_add_f64 v[6:7], v[16:17], v[0:1]
	v_add_f64 v[56:57], v[22:23], v[56:57]
	v_mov_b32_e32 v0, s51
	v_addc_co_u32_e32 v49, vcc, v49, v0, vcc
	v_add_co_u32_e32 v46, vcc, s50, v46
	v_add_f64 v[16:17], v[62:63], v[10:11]
	v_add_f64 v[50:51], v[4:5], v[32:33]
	v_addc_co_u32_e32 v47, vcc, v47, v0, vcc
	v_add_co_u32_e32 v44, vcc, 0x200, v44
	v_addc_co_u32_e32 v45, vcc, 0, v45, vcc
	s_cbranch_scc1 .LBB110_56
.LBB110_7:                              ;   Parent Loop BB110_4 Depth=1
                                        ; =>  This Inner Loop Header: Depth=2
	buffer_load_dword v4, off, s[64:67], 0 offset:16 ; 4-byte Folded Reload
	buffer_load_dword v5, off, s[64:67], 0 offset:20 ; 4-byte Folded Reload
	v_mov_b32_e32 v1, s21
	s_waitcnt vmcnt(1)
	v_add_co_u32_e32 v0, vcc, s20, v4
	s_waitcnt vmcnt(0)
	v_addc_co_u32_e32 v1, vcc, v5, v1, vcc
	buffer_load_dword v4, off, s[64:67], 0  ; 4-byte Folded Reload
	buffer_load_dword v5, off, s[64:67], 0 offset:4 ; 4-byte Folded Reload
	v_cmp_le_i64_e64 s[12:13], s[42:43], v[0:1]
	s_waitcnt vmcnt(1)
	v_add_co_u32_e32 v8, vcc, v46, v4
	s_waitcnt vmcnt(0)
	v_addc_co_u32_e32 v9, vcc, v47, v5, vcc
	buffer_load_dword v4, off, s[64:67], 0 offset:32 ; 4-byte Folded Reload
	buffer_load_dword v5, off, s[64:67], 0 offset:36 ; 4-byte Folded Reload
	s_waitcnt vmcnt(0)
	v_cmp_eq_u64_e64 s[16:17], s[20:21], v[4:5]
	buffer_load_dword v4, off, s[64:67], 0 offset:8 ; 4-byte Folded Reload
	buffer_load_dword v5, off, s[64:67], 0 offset:12 ; 4-byte Folded Reload
	s_and_b64 s[44:45], s[40:41], s[16:17]
	s_waitcnt vmcnt(0)
	v_cmp_lt_i64_e32 vcc, v[0:1], v[4:5]
	s_or_b64 s[16:17], s[12:13], vcc
	s_or_b64 s[16:17], s[16:17], s[44:45]
	s_nor_b64 s[16:17], s[0:1], s[16:17]
	s_and_saveexec_b64 s[18:19], s[16:17]
	s_xor_b64 s[16:17], exec, s[18:19]
	s_cbranch_execz .LBB110_9
; %bb.8:                                ;   in Loop: Header=BB110_7 Depth=2
	global_load_dwordx4 v[10:13], v[8:9], off offset:-256
	s_waitcnt vmcnt(0)
	ds_write2_b64 v31, v[10:11], v[12:13] offset1:1
.LBB110_9:                              ;   in Loop: Header=BB110_7 Depth=2
	s_or_saveexec_b64 s[16:17], s[16:17]
	s_xor_b64 s[22:23], s[44:45], -1
	s_xor_b64 exec, exec, s[16:17]
	s_cbranch_execz .LBB110_15
; %bb.10:                               ;   in Loop: Header=BB110_7 Depth=2
	s_and_saveexec_b64 s[18:19], s[22:23]
	s_xor_b64 s[18:19], exec, s[18:19]
; %bb.11:                               ;   in Loop: Header=BB110_7 Depth=2
	v_mov_b32_e32 v10, v2
	v_mov_b32_e32 v11, v2
	;; [unrolled: 1-line block ×4, first 2 shown]
	ds_write_b128 v31, v[10:13]
; %bb.12:                               ;   in Loop: Header=BB110_7 Depth=2
	s_andn2_saveexec_b64 s[18:19], s[18:19]
; %bb.13:                               ;   in Loop: Header=BB110_7 Depth=2
	v_mov_b32_e32 v4, v2
	v_mov_b32_e32 v5, v2
	ds_write_b128 v31, v[2:5]
; %bb.14:                               ;   in Loop: Header=BB110_7 Depth=2
	s_or_b64 exec, exec, s[18:19]
.LBB110_15:                             ;   in Loop: Header=BB110_7 Depth=2
	s_or_b64 exec, exec, s[16:17]
	buffer_load_dword v4, off, s[64:67], 0 offset:40 ; 4-byte Folded Reload
	buffer_load_dword v5, off, s[64:67], 0 offset:44 ; 4-byte Folded Reload
	s_waitcnt vmcnt(0)
	v_cmp_eq_u64_e64 s[16:17], s[20:21], v[4:5]
	buffer_load_dword v4, off, s[64:67], 0 offset:24 ; 4-byte Folded Reload
	buffer_load_dword v5, off, s[64:67], 0 offset:28 ; 4-byte Folded Reload
	s_and_b64 s[16:17], s[40:41], s[16:17]
	s_waitcnt vmcnt(0)
	v_cmp_gt_i64_e64 s[18:19], v[4:5], v[0:1]
	s_or_b64 s[12:13], s[12:13], s[18:19]
	s_or_b64 s[12:13], s[12:13], s[16:17]
	s_nor_b64 s[12:13], s[2:3], s[12:13]
	s_and_saveexec_b64 s[18:19], s[12:13]
	s_xor_b64 s[12:13], exec, s[18:19]
	s_cbranch_execz .LBB110_17
; %bb.16:                               ;   in Loop: Header=BB110_7 Depth=2
	global_load_dwordx4 v[8:11], v[8:9], off
	v_add_u32_e32 v4, 0x100, v31
	s_waitcnt vmcnt(0)
	ds_write2_b64 v4, v[8:9], v[10:11] offset1:1
.LBB110_17:                             ;   in Loop: Header=BB110_7 Depth=2
	s_andn2_saveexec_b64 s[12:13], s[12:13]
	s_cbranch_execz .LBB110_23
; %bb.18:                               ;   in Loop: Header=BB110_7 Depth=2
	s_xor_b64 s[16:17], s[16:17], -1
	s_and_saveexec_b64 s[18:19], s[16:17]
	s_xor_b64 s[16:17], exec, s[18:19]
; %bb.19:                               ;   in Loop: Header=BB110_7 Depth=2
	v_mov_b32_e32 v8, v2
	v_mov_b32_e32 v9, v2
	;; [unrolled: 1-line block ×4, first 2 shown]
	ds_write_b128 v31, v[8:11] offset:256
; %bb.20:                               ;   in Loop: Header=BB110_7 Depth=2
	s_andn2_saveexec_b64 s[16:17], s[16:17]
; %bb.21:                               ;   in Loop: Header=BB110_7 Depth=2
	v_mov_b32_e32 v4, v2
	v_mov_b32_e32 v5, v2
	ds_write_b128 v31, v[2:5] offset:256
; %bb.22:                               ;   in Loop: Header=BB110_7 Depth=2
	s_or_b64 exec, exec, s[16:17]
.LBB110_23:                             ;   in Loop: Header=BB110_7 Depth=2
	s_or_b64 exec, exec, s[12:13]
	v_add_co_u32_e64 v4, s[12:13], 16, v0
	v_addc_co_u32_e64 v5, s[12:13], 0, v1, s[12:13]
	buffer_load_dword v0, off, s[64:67], 0  ; 4-byte Folded Reload
	buffer_load_dword v1, off, s[64:67], 0 offset:4 ; 4-byte Folded Reload
	buffer_load_dword v8, off, s[64:67], 0 offset:48 ; 4-byte Folded Reload
	;; [unrolled: 1-line block ×3, first 2 shown]
	v_cmp_le_i64_e64 s[12:13], s[42:43], v[4:5]
	s_waitcnt vmcnt(3)
	v_add_co_u32_e64 v0, s[16:17], v48, v0
	s_waitcnt vmcnt(2)
	v_addc_co_u32_e64 v1, s[16:17], v49, v1, s[16:17]
	s_waitcnt vmcnt(0)
	v_cmp_eq_u64_e64 s[16:17], s[20:21], v[8:9]
	buffer_load_dword v8, off, s[64:67], 0 offset:8 ; 4-byte Folded Reload
	buffer_load_dword v9, off, s[64:67], 0 offset:12 ; 4-byte Folded Reload
	s_and_b64 s[54:55], s[40:41], s[16:17]
	s_waitcnt vmcnt(0)
	v_cmp_lt_i64_e64 s[18:19], v[4:5], v[8:9]
	s_or_b64 s[16:17], s[12:13], s[18:19]
	s_or_b64 s[16:17], s[16:17], s[54:55]
	s_nor_b64 s[16:17], s[0:1], s[16:17]
	s_and_saveexec_b64 s[18:19], s[16:17]
	s_xor_b64 s[16:17], exec, s[18:19]
	s_cbranch_execz .LBB110_25
; %bb.24:                               ;   in Loop: Header=BB110_7 Depth=2
	global_load_dwordx4 v[8:11], v[0:1], off offset:-256
	v_add_u32_e32 v4, 0x2000, v31
	s_waitcnt vmcnt(0)
	ds_write2_b64 v4, v[8:9], v[10:11] offset1:1
.LBB110_25:                             ;   in Loop: Header=BB110_7 Depth=2
	s_andn2_saveexec_b64 s[16:17], s[16:17]
	s_cbranch_execz .LBB110_31
; %bb.26:                               ;   in Loop: Header=BB110_7 Depth=2
	s_xor_b64 s[18:19], s[54:55], -1
	s_and_saveexec_b64 s[54:55], s[18:19]
	s_xor_b64 s[18:19], exec, s[54:55]
; %bb.27:                               ;   in Loop: Header=BB110_7 Depth=2
	v_mov_b32_e32 v8, v2
	v_mov_b32_e32 v9, v2
	;; [unrolled: 1-line block ×4, first 2 shown]
	ds_write_b128 v31, v[8:11] offset:8192
; %bb.28:                               ;   in Loop: Header=BB110_7 Depth=2
	s_andn2_saveexec_b64 s[18:19], s[18:19]
; %bb.29:                               ;   in Loop: Header=BB110_7 Depth=2
	v_mov_b32_e32 v4, v2
	v_mov_b32_e32 v5, v2
	ds_write_b128 v31, v[2:5] offset:8192
; %bb.30:                               ;   in Loop: Header=BB110_7 Depth=2
	s_or_b64 exec, exec, s[18:19]
.LBB110_31:                             ;   in Loop: Header=BB110_7 Depth=2
	s_or_b64 exec, exec, s[16:17]
	s_or_b64 s[12:13], s[12:13], vcc
	s_or_b64 s[12:13], s[12:13], s[44:45]
	s_nor_b64 s[12:13], s[2:3], s[12:13]
	s_and_saveexec_b64 s[16:17], s[12:13]
	s_xor_b64 s[12:13], exec, s[16:17]
	s_cbranch_execz .LBB110_33
; %bb.32:                               ;   in Loop: Header=BB110_7 Depth=2
	global_load_dwordx4 v[8:11], v[0:1], off
	v_add_u32_e32 v0, 0x2100, v31
	s_waitcnt vmcnt(0)
	ds_write2_b64 v0, v[8:9], v[10:11] offset1:1
.LBB110_33:                             ;   in Loop: Header=BB110_7 Depth=2
	s_andn2_saveexec_b64 s[12:13], s[12:13]
	s_cbranch_execz .LBB110_39
; %bb.34:                               ;   in Loop: Header=BB110_7 Depth=2
	s_and_saveexec_b64 s[16:17], s[22:23]
	s_xor_b64 s[16:17], exec, s[16:17]
; %bb.35:                               ;   in Loop: Header=BB110_7 Depth=2
	v_mov_b32_e32 v8, v2
	v_mov_b32_e32 v9, v2
	;; [unrolled: 1-line block ×4, first 2 shown]
	ds_write_b128 v31, v[8:11] offset:8448
; %bb.36:                               ;   in Loop: Header=BB110_7 Depth=2
	s_andn2_saveexec_b64 s[16:17], s[16:17]
; %bb.37:                               ;   in Loop: Header=BB110_7 Depth=2
	v_mov_b32_e32 v4, v2
	v_mov_b32_e32 v5, v2
	ds_write_b128 v31, v[2:5] offset:8448
; %bb.38:                               ;   in Loop: Header=BB110_7 Depth=2
	s_or_b64 exec, exec, s[16:17]
.LBB110_39:                             ;   in Loop: Header=BB110_7 Depth=2
	s_or_b64 exec, exec, s[12:13]
	buffer_load_dword v4, off, s[64:67], 0 offset:8 ; 4-byte Folded Reload
	buffer_load_dword v5, off, s[64:67], 0 offset:12 ; 4-byte Folded Reload
	v_mov_b32_e32 v1, s21
	s_waitcnt vmcnt(1)
	v_add_co_u32_e32 v0, vcc, s20, v4
	s_waitcnt vmcnt(0)
	v_addc_co_u32_e32 v1, vcc, v5, v1, vcc
	v_cmp_gt_i64_e32 vcc, s[42:43], v[0:1]
	s_and_b64 s[12:13], s[8:9], vcc
	s_xor_b64 s[12:13], s[12:13], -1
	s_and_saveexec_b64 s[16:17], s[12:13]
	s_xor_b64 s[12:13], exec, s[16:17]
; %bb.40:                               ;   in Loop: Header=BB110_7 Depth=2
	v_mov_b32_e32 v8, v2
	v_mov_b32_e32 v9, v2
	;; [unrolled: 1-line block ×4, first 2 shown]
	ds_write_b128 v29, v[8:11]
; %bb.41:                               ;   in Loop: Header=BB110_7 Depth=2
	s_or_saveexec_b64 s[16:17], s[12:13]
	buffer_load_dword v4, off, s[64:67], 0  ; 4-byte Folded Reload
	buffer_load_dword v5, off, s[64:67], 0 offset:4 ; 4-byte Folded Reload
	s_waitcnt vmcnt(1)
	v_add_co_u32_e64 v4, s[12:13], v42, v4
	s_waitcnt vmcnt(0)
	v_addc_co_u32_e64 v5, s[12:13], v43, v5, s[12:13]
	s_xor_b64 exec, exec, s[16:17]
	s_cbranch_execz .LBB110_43
; %bb.42:                               ;   in Loop: Header=BB110_7 Depth=2
	global_load_dwordx4 v[8:11], v[4:5], off offset:-256
	s_waitcnt vmcnt(0)
	ds_write2_b64 v29, v[8:9], v[10:11] offset1:1
.LBB110_43:                             ;   in Loop: Header=BB110_7 Depth=2
	s_or_b64 exec, exec, s[16:17]
	v_cmp_gt_i64_e64 s[12:13], s[52:53], v[0:1]
	s_and_b64 s[16:17], s[8:9], s[12:13]
	s_xor_b64 s[16:17], s[16:17], -1
	s_and_saveexec_b64 s[18:19], s[16:17]
	s_xor_b64 s[16:17], exec, s[18:19]
; %bb.44:                               ;   in Loop: Header=BB110_7 Depth=2
	v_mov_b32_e32 v8, v2
	v_mov_b32_e32 v9, v2
	;; [unrolled: 1-line block ×4, first 2 shown]
	ds_write_b128 v29, v[8:11] offset:256
                                        ; implicit-def: $vgpr4_vgpr5
; %bb.45:                               ;   in Loop: Header=BB110_7 Depth=2
	s_andn2_saveexec_b64 s[16:17], s[16:17]
	s_cbranch_execz .LBB110_47
; %bb.46:                               ;   in Loop: Header=BB110_7 Depth=2
	global_load_dwordx4 v[8:11], v[4:5], off
	v_add_u32_e32 v0, 0x100, v29
	s_waitcnt vmcnt(0)
	ds_write2_b64 v0, v[8:9], v[10:11] offset1:1
.LBB110_47:                             ;   in Loop: Header=BB110_7 Depth=2
	s_or_b64 exec, exec, s[16:17]
	s_and_b64 s[16:17], s[10:11], vcc
	s_xor_b64 s[16:17], s[16:17], -1
	s_and_saveexec_b64 s[18:19], s[16:17]
	s_xor_b64 s[16:17], exec, s[18:19]
; %bb.48:                               ;   in Loop: Header=BB110_7 Depth=2
	v_mov_b32_e32 v8, v2
	v_mov_b32_e32 v9, v2
	v_mov_b32_e32 v10, v2
	v_mov_b32_e32 v11, v2
	ds_write_b128 v29, v[8:11] offset:8192
; %bb.49:                               ;   in Loop: Header=BB110_7 Depth=2
	s_or_saveexec_b64 s[16:17], s[16:17]
	buffer_load_dword v0, off, s[64:67], 0  ; 4-byte Folded Reload
	buffer_load_dword v1, off, s[64:67], 0 offset:4 ; 4-byte Folded Reload
	s_waitcnt vmcnt(1)
	v_add_co_u32_e32 v0, vcc, v44, v0
	s_waitcnt vmcnt(0)
	v_addc_co_u32_e32 v1, vcc, v45, v1, vcc
	s_xor_b64 exec, exec, s[16:17]
	s_cbranch_execz .LBB110_51
; %bb.50:                               ;   in Loop: Header=BB110_7 Depth=2
	global_load_dwordx4 v[8:11], v[0:1], off
	v_add_u32_e32 v4, 0x2000, v29
	s_waitcnt vmcnt(0)
	ds_write2_b64 v4, v[8:9], v[10:11] offset1:1
.LBB110_51:                             ;   in Loop: Header=BB110_7 Depth=2
	s_or_b64 exec, exec, s[16:17]
	s_and_b64 s[12:13], s[10:11], s[12:13]
	s_xor_b64 s[12:13], s[12:13], -1
	s_and_saveexec_b64 s[16:17], s[12:13]
	s_xor_b64 s[12:13], exec, s[16:17]
; %bb.52:                               ;   in Loop: Header=BB110_7 Depth=2
	v_mov_b32_e32 v8, v2
	v_mov_b32_e32 v9, v2
	;; [unrolled: 1-line block ×4, first 2 shown]
	ds_write_b128 v29, v[8:11] offset:8448
                                        ; implicit-def: $vgpr0_vgpr1
; %bb.53:                               ;   in Loop: Header=BB110_7 Depth=2
	s_andn2_saveexec_b64 s[12:13], s[12:13]
	s_cbranch_execz .LBB110_6
; %bb.54:                               ;   in Loop: Header=BB110_7 Depth=2
	global_load_dwordx4 v[8:11], v[0:1], off offset:256
	v_add_u32_e32 v0, 0x2100, v29
	s_waitcnt vmcnt(0)
	ds_write2_b64 v0, v[8:9], v[10:11] offset1:1
	s_branch .LBB110_6
.LBB110_55:                             ;   in Loop: Header=BB110_4 Depth=1
	buffer_store_dword v6, off, s[64:67], 0 offset:60 ; 4-byte Folded Spill
	s_nop 0
	buffer_store_dword v7, off, s[64:67], 0 offset:64 ; 4-byte Folded Spill
	v_mov_b32_e32 v6, 0
	v_mov_b32_e32 v58, 0
	;; [unrolled: 1-line block ×16, first 2 shown]
.LBB110_56:                             ;   in Loop: Header=BB110_4 Depth=1
	buffer_load_dword v8, off, s[64:67], 0 offset:56 ; 4-byte Folded Reload
	buffer_load_dword v0, off, s[64:67], 0 offset:68 ; 4-byte Folded Reload
	s_waitcnt vmcnt(1)
	v_mul_lo_u32 v4, s49, v8
	s_waitcnt vmcnt(0)
	v_mul_lo_u32 v5, s48, v0
	v_mad_u64_u32 v[0:1], s[8:9], s48, v8, 0
	v_cmp_gt_i32_e32 vcc, s46, v8
	v_add3_u32 v1, v1, v5, v4
	v_lshlrev_b64 v[0:1], 4, v[0:1]
	v_mov_b32_e32 v4, s57
	v_add_co_u32_e64 v0, s[8:9], s56, v0
	v_addc_co_u32_e64 v1, s[8:9], v4, v1, s[8:9]
	s_and_b64 s[8:9], s[4:5], vcc
	s_and_saveexec_b64 s[10:11], s[8:9]
	s_cbranch_execz .LBB110_58
; %bb.57:                               ;   in Loop: Header=BB110_4 Depth=1
	buffer_load_dword v4, off, s[64:67], 0  ; 4-byte Folded Reload
	buffer_load_dword v5, off, s[64:67], 0 offset:4 ; 4-byte Folded Reload
	v_mul_f64 v[14:15], s[28:29], v[58:59]
	s_waitcnt vmcnt(1)
	v_add_co_u32_e64 v12, s[8:9], v0, v4
	s_waitcnt vmcnt(0)
	v_addc_co_u32_e64 v13, s[8:9], v1, v5, s[8:9]
	global_load_dwordx4 v[8:11], v[12:13], off
	v_mul_f64 v[4:5], s[30:31], v[58:59]
	v_fma_f64 v[4:5], s[28:29], v[6:7], -v[4:5]
	v_fma_f64 v[6:7], s[30:31], v[6:7], v[14:15]
	s_waitcnt vmcnt(0)
	v_add_f64 v[4:5], v[8:9], v[4:5]
	v_add_f64 v[6:7], v[6:7], v[10:11]
	global_store_dwordx4 v[12:13], v[4:7], off
.LBB110_58:                             ;   in Loop: Header=BB110_4 Depth=1
	s_or_b64 exec, exec, s[10:11]
	s_and_b64 s[10:11], s[14:15], vcc
	s_and_saveexec_b64 s[8:9], s[10:11]
	s_cbranch_execz .LBB110_60
; %bb.59:                               ;   in Loop: Header=BB110_4 Depth=1
	buffer_load_dword v4, off, s[64:67], 0 offset:76 ; 4-byte Folded Reload
	buffer_load_dword v5, off, s[64:67], 0 offset:80 ; 4-byte Folded Reload
	v_mul_f64 v[8:9], s[30:31], v[56:57]
	v_mul_f64 v[10:11], s[28:29], v[56:57]
	v_fma_f64 v[8:9], s[28:29], v[54:55], -v[8:9]
	v_fma_f64 v[10:11], s[30:31], v[54:55], v[10:11]
	s_waitcnt vmcnt(0)
	v_lshlrev_b64 v[4:5], 4, v[4:5]
	v_add_co_u32_e32 v0, vcc, v0, v4
	v_addc_co_u32_e32 v1, vcc, v1, v5, vcc
	global_load_dwordx4 v[4:7], v[0:1], off
	s_waitcnt vmcnt(0)
	v_add_f64 v[4:5], v[4:5], v[8:9]
	v_add_f64 v[6:7], v[10:11], v[6:7]
	global_store_dwordx4 v[0:1], v[4:7], off
.LBB110_60:                             ;   in Loop: Header=BB110_4 Depth=1
	s_or_b64 exec, exec, s[8:9]
	buffer_load_dword v0, off, s[64:67], 0 offset:56 ; 4-byte Folded Reload
	s_waitcnt vmcnt(0)
	v_add_u32_e32 v4, 16, v0
	v_ashrrev_i32_e32 v0, 31, v4
	v_mul_lo_u32 v5, s48, v0
	v_mul_lo_u32 v6, s49, v4
	v_mad_u64_u32 v[0:1], s[8:9], s48, v4, 0
	v_cmp_gt_i32_e32 vcc, s46, v4
	v_mov_b32_e32 v4, s57
	v_add3_u32 v1, v1, v5, v6
	v_lshlrev_b64 v[0:1], 4, v[0:1]
	v_add_co_u32_e64 v0, s[8:9], s56, v0
	v_addc_co_u32_e64 v1, s[8:9], v4, v1, s[8:9]
	s_and_b64 s[8:9], s[4:5], vcc
	s_and_saveexec_b64 s[10:11], s[8:9]
	s_cbranch_execz .LBB110_62
; %bb.61:                               ;   in Loop: Header=BB110_4 Depth=1
	buffer_load_dword v4, off, s[64:67], 0  ; 4-byte Folded Reload
	buffer_load_dword v5, off, s[64:67], 0 offset:4 ; 4-byte Folded Reload
	v_mul_f64 v[10:11], s[30:31], v[52:53]
	v_mul_f64 v[12:13], s[28:29], v[52:53]
	v_fma_f64 v[10:11], s[28:29], v[18:19], -v[10:11]
	v_fma_f64 v[12:13], s[30:31], v[18:19], v[12:13]
	s_waitcnt vmcnt(1)
	v_add_co_u32_e64 v8, s[8:9], v0, v4
	s_waitcnt vmcnt(0)
	v_addc_co_u32_e64 v9, s[8:9], v1, v5, s[8:9]
	global_load_dwordx4 v[4:7], v[8:9], off
	s_waitcnt vmcnt(0)
	v_add_f64 v[4:5], v[4:5], v[10:11]
	v_add_f64 v[6:7], v[12:13], v[6:7]
	global_store_dwordx4 v[8:9], v[4:7], off
.LBB110_62:                             ;   in Loop: Header=BB110_4 Depth=1
	s_or_b64 exec, exec, s[10:11]
	s_and_b64 s[10:11], s[14:15], vcc
	s_and_saveexec_b64 s[8:9], s[10:11]
	s_cbranch_execz .LBB110_3
; %bb.63:                               ;   in Loop: Header=BB110_4 Depth=1
	buffer_load_dword v4, off, s[64:67], 0 offset:76 ; 4-byte Folded Reload
	buffer_load_dword v5, off, s[64:67], 0 offset:80 ; 4-byte Folded Reload
	v_mul_f64 v[8:9], s[30:31], v[50:51]
	v_mul_f64 v[10:11], s[28:29], v[50:51]
	v_fma_f64 v[8:9], s[28:29], v[16:17], -v[8:9]
	v_fma_f64 v[10:11], s[30:31], v[16:17], v[10:11]
	s_waitcnt vmcnt(0)
	v_lshlrev_b64 v[4:5], 4, v[4:5]
	v_add_co_u32_e32 v0, vcc, v0, v4
	v_addc_co_u32_e32 v1, vcc, v1, v5, vcc
	global_load_dwordx4 v[4:7], v[0:1], off
	s_waitcnt vmcnt(0)
	v_add_f64 v[4:5], v[4:5], v[8:9]
	v_add_f64 v[6:7], v[10:11], v[6:7]
	global_store_dwordx4 v[0:1], v[4:7], off
	s_branch .LBB110_3
.LBB110_64:
	s_endpgm
	.section	.rodata,"a",@progbits
	.p2align	6, 0x0
	.amdhsa_kernel _ZL30rocblas_trmm_outofplace_kernelI19rocblas_complex_numIdELi32ELi2ELb1ELb1ELb0ELb0EPKS1_S2_S1_Ev17rocblas_diagonal_iiT6_lPT7_lllS7_lllPT8_llli
		.amdhsa_group_segment_fixed_size 32768
		.amdhsa_private_segment_fixed_size 104
		.amdhsa_kernarg_size 392
		.amdhsa_user_sgpr_count 6
		.amdhsa_user_sgpr_private_segment_buffer 1
		.amdhsa_user_sgpr_dispatch_ptr 0
		.amdhsa_user_sgpr_queue_ptr 0
		.amdhsa_user_sgpr_kernarg_segment_ptr 1
		.amdhsa_user_sgpr_dispatch_id 0
		.amdhsa_user_sgpr_flat_scratch_init 0
		.amdhsa_user_sgpr_private_segment_size 0
		.amdhsa_uses_dynamic_stack 0
		.amdhsa_system_sgpr_private_segment_wavefront_offset 1
		.amdhsa_system_sgpr_workgroup_id_x 1
		.amdhsa_system_sgpr_workgroup_id_y 1
		.amdhsa_system_sgpr_workgroup_id_z 1
		.amdhsa_system_sgpr_workgroup_info 0
		.amdhsa_system_vgpr_workitem_id 1
		.amdhsa_next_free_vgpr 64
		.amdhsa_next_free_sgpr 68
		.amdhsa_reserve_vcc 1
		.amdhsa_reserve_flat_scratch 0
		.amdhsa_float_round_mode_32 0
		.amdhsa_float_round_mode_16_64 0
		.amdhsa_float_denorm_mode_32 3
		.amdhsa_float_denorm_mode_16_64 3
		.amdhsa_dx10_clamp 1
		.amdhsa_ieee_mode 1
		.amdhsa_fp16_overflow 0
		.amdhsa_exception_fp_ieee_invalid_op 0
		.amdhsa_exception_fp_denorm_src 0
		.amdhsa_exception_fp_ieee_div_zero 0
		.amdhsa_exception_fp_ieee_overflow 0
		.amdhsa_exception_fp_ieee_underflow 0
		.amdhsa_exception_fp_ieee_inexact 0
		.amdhsa_exception_int_div_zero 0
	.end_amdhsa_kernel
	.section	.text._ZL30rocblas_trmm_outofplace_kernelI19rocblas_complex_numIdELi32ELi2ELb1ELb1ELb0ELb0EPKS1_S2_S1_Ev17rocblas_diagonal_iiT6_lPT7_lllS7_lllPT8_llli,"axG",@progbits,_ZL30rocblas_trmm_outofplace_kernelI19rocblas_complex_numIdELi32ELi2ELb1ELb1ELb0ELb0EPKS1_S2_S1_Ev17rocblas_diagonal_iiT6_lPT7_lllS7_lllPT8_llli,comdat
.Lfunc_end110:
	.size	_ZL30rocblas_trmm_outofplace_kernelI19rocblas_complex_numIdELi32ELi2ELb1ELb1ELb0ELb0EPKS1_S2_S1_Ev17rocblas_diagonal_iiT6_lPT7_lllS7_lllPT8_llli, .Lfunc_end110-_ZL30rocblas_trmm_outofplace_kernelI19rocblas_complex_numIdELi32ELi2ELb1ELb1ELb0ELb0EPKS1_S2_S1_Ev17rocblas_diagonal_iiT6_lPT7_lllS7_lllPT8_llli
                                        ; -- End function
	.set _ZL30rocblas_trmm_outofplace_kernelI19rocblas_complex_numIdELi32ELi2ELb1ELb1ELb0ELb0EPKS1_S2_S1_Ev17rocblas_diagonal_iiT6_lPT7_lllS7_lllPT8_llli.num_vgpr, 64
	.set _ZL30rocblas_trmm_outofplace_kernelI19rocblas_complex_numIdELi32ELi2ELb1ELb1ELb0ELb0EPKS1_S2_S1_Ev17rocblas_diagonal_iiT6_lPT7_lllS7_lllPT8_llli.num_agpr, 0
	.set _ZL30rocblas_trmm_outofplace_kernelI19rocblas_complex_numIdELi32ELi2ELb1ELb1ELb0ELb0EPKS1_S2_S1_Ev17rocblas_diagonal_iiT6_lPT7_lllS7_lllPT8_llli.numbered_sgpr, 68
	.set _ZL30rocblas_trmm_outofplace_kernelI19rocblas_complex_numIdELi32ELi2ELb1ELb1ELb0ELb0EPKS1_S2_S1_Ev17rocblas_diagonal_iiT6_lPT7_lllS7_lllPT8_llli.num_named_barrier, 0
	.set _ZL30rocblas_trmm_outofplace_kernelI19rocblas_complex_numIdELi32ELi2ELb1ELb1ELb0ELb0EPKS1_S2_S1_Ev17rocblas_diagonal_iiT6_lPT7_lllS7_lllPT8_llli.private_seg_size, 104
	.set _ZL30rocblas_trmm_outofplace_kernelI19rocblas_complex_numIdELi32ELi2ELb1ELb1ELb0ELb0EPKS1_S2_S1_Ev17rocblas_diagonal_iiT6_lPT7_lllS7_lllPT8_llli.uses_vcc, 1
	.set _ZL30rocblas_trmm_outofplace_kernelI19rocblas_complex_numIdELi32ELi2ELb1ELb1ELb0ELb0EPKS1_S2_S1_Ev17rocblas_diagonal_iiT6_lPT7_lllS7_lllPT8_llli.uses_flat_scratch, 0
	.set _ZL30rocblas_trmm_outofplace_kernelI19rocblas_complex_numIdELi32ELi2ELb1ELb1ELb0ELb0EPKS1_S2_S1_Ev17rocblas_diagonal_iiT6_lPT7_lllS7_lllPT8_llli.has_dyn_sized_stack, 0
	.set _ZL30rocblas_trmm_outofplace_kernelI19rocblas_complex_numIdELi32ELi2ELb1ELb1ELb0ELb0EPKS1_S2_S1_Ev17rocblas_diagonal_iiT6_lPT7_lllS7_lllPT8_llli.has_recursion, 0
	.set _ZL30rocblas_trmm_outofplace_kernelI19rocblas_complex_numIdELi32ELi2ELb1ELb1ELb0ELb0EPKS1_S2_S1_Ev17rocblas_diagonal_iiT6_lPT7_lllS7_lllPT8_llli.has_indirect_call, 0
	.section	.AMDGPU.csdata,"",@progbits
; Kernel info:
; codeLenInByte = 10784
; TotalNumSgprs: 72
; NumVgprs: 64
; ScratchSize: 104
; MemoryBound: 0
; FloatMode: 240
; IeeeMode: 1
; LDSByteSize: 32768 bytes/workgroup (compile time only)
; SGPRBlocks: 8
; VGPRBlocks: 15
; NumSGPRsForWavesPerEU: 72
; NumVGPRsForWavesPerEU: 64
; Occupancy: 4
; WaveLimiterHint : 0
; COMPUTE_PGM_RSRC2:SCRATCH_EN: 1
; COMPUTE_PGM_RSRC2:USER_SGPR: 6
; COMPUTE_PGM_RSRC2:TRAP_HANDLER: 0
; COMPUTE_PGM_RSRC2:TGID_X_EN: 1
; COMPUTE_PGM_RSRC2:TGID_Y_EN: 1
; COMPUTE_PGM_RSRC2:TGID_Z_EN: 1
; COMPUTE_PGM_RSRC2:TIDIG_COMP_CNT: 1
	.section	.text._ZL30rocblas_trmm_outofplace_kernelI19rocblas_complex_numIdELi32ELi2ELb1ELb1ELb0ELb0ES1_KS1_S1_Ev17rocblas_diagonal_iiT6_lPT7_lllS6_lllPT8_llli,"axG",@progbits,_ZL30rocblas_trmm_outofplace_kernelI19rocblas_complex_numIdELi32ELi2ELb1ELb1ELb0ELb0ES1_KS1_S1_Ev17rocblas_diagonal_iiT6_lPT7_lllS6_lllPT8_llli,comdat
	.globl	_ZL30rocblas_trmm_outofplace_kernelI19rocblas_complex_numIdELi32ELi2ELb1ELb1ELb0ELb0ES1_KS1_S1_Ev17rocblas_diagonal_iiT6_lPT7_lllS6_lllPT8_llli ; -- Begin function _ZL30rocblas_trmm_outofplace_kernelI19rocblas_complex_numIdELi32ELi2ELb1ELb1ELb0ELb0ES1_KS1_S1_Ev17rocblas_diagonal_iiT6_lPT7_lllS6_lllPT8_llli
	.p2align	8
	.type	_ZL30rocblas_trmm_outofplace_kernelI19rocblas_complex_numIdELi32ELi2ELb1ELb1ELb0ELb0ES1_KS1_S1_Ev17rocblas_diagonal_iiT6_lPT7_lllS6_lllPT8_llli,@function
_ZL30rocblas_trmm_outofplace_kernelI19rocblas_complex_numIdELi32ELi2ELb1ELb1ELb0ELb0ES1_KS1_S1_Ev17rocblas_diagonal_iiT6_lPT7_lllS6_lllPT8_llli: ; @_ZL30rocblas_trmm_outofplace_kernelI19rocblas_complex_numIdELi32ELi2ELb1ELb1ELb0ELb0ES1_KS1_S1_Ev17rocblas_diagonal_iiT6_lPT7_lllS6_lllPT8_llli
; %bb.0:
	s_load_dwordx4 s[44:47], s[4:5], 0x10
	s_mov_b64 s[66:67], s[2:3]
	s_mov_b64 s[64:65], s[0:1]
	s_add_u32 s64, s64, s9
	s_addc_u32 s65, s65, 0
	s_waitcnt lgkmcnt(0)
	v_cmp_eq_f64_e64 s[0:1], s[44:45], 0
	v_cmp_eq_f64_e64 s[2:3], s[46:47], 0
	buffer_store_dword v1, off, s[64:67], 0 offset:72 ; 4-byte Folded Spill
	s_and_b64 s[0:1], s[0:1], s[2:3]
	s_and_b64 vcc, exec, s[0:1]
	s_cbranch_vccnz .LBB111_64
; %bb.1:
	s_load_dwordx4 s[48:51], s[4:5], 0x0
	s_waitcnt lgkmcnt(0)
	s_add_i32 s0, s50, -1
	s_ashr_i32 s1, s0, 31
	s_lshr_b32 s1, s1, 27
	s_add_i32 s0, s0, s1
	s_ashr_i32 s33, s0, 5
	s_cmp_gt_i32 s7, s33
	s_cbranch_scc1 .LBB111_64
; %bb.2:
	s_load_dwordx8 s[36:43], s[4:5], 0x68
	s_load_dwordx16 s[16:31], s[4:5], 0x28
	buffer_load_dword v5, off, s[64:67], 0 offset:72 ; 4-byte Folded Reload
	v_lshlrev_b32_e32 v30, 4, v0
	s_load_dword s58, s[4:5], 0x94
	s_waitcnt lgkmcnt(0)
	s_mul_i32 s1, s43, s8
	s_mul_hi_u32 s2, s42, s8
	s_mul_i32 s0, s42, s8
	s_add_i32 s1, s2, s1
	s_lshl_b64 s[0:1], s[0:1], 4
	s_add_u32 s2, s36, s0
	s_addc_u32 s3, s37, s1
	s_lshl_b64 s[0:1], s[38:39], 4
	s_add_u32 s51, s2, s0
	s_addc_u32 s56, s3, s1
	s_lshl_b32 s0, s6, 5
	v_add_u32_e32 v8, s0, v0
	v_ashrrev_i32_e32 v9, 31, v8
	v_add_co_u32_e32 v0, vcc, 16, v8
	s_sub_i32 s6, s49, s0
	s_cmp_gt_i32 s6, 0
	s_cselect_b64 s[34:35], -1, 0
	s_cmpk_eq_i32 s48, 0x84
	s_cselect_b64 s[36:37], -1, 0
	s_ashr_i32 s39, s49, 31
	s_mov_b32 s38, s49
	s_movk_i32 s48, 0x100
	s_ashr_i32 s57, s50, 31
	s_lshl_b64 s[42:43], s[20:21], 9
	s_add_u32 s52, s49, -16
	s_mul_i32 s9, s31, s8
	s_mul_hi_u32 s10, s30, s8
	s_addc_u32 s53, s39, -1
	s_add_i32 s11, s10, s9
	s_mul_i32 s10, s30, s8
	s_lshl_b64 s[10:11], s[10:11], 4
	s_lshl_b64 s[12:13], s[26:27], 4
	s_add_u32 s9, s10, s12
	s_addc_u32 s10, s11, s13
	s_add_u32 s24, s24, s9
	s_addc_u32 s25, s25, s10
	s_add_u32 s26, s24, 0x100
	s_mul_i32 s9, s23, s8
	s_mul_hi_u32 s10, s22, s8
	s_addc_u32 s27, s25, 0
	s_add_i32 s9, s10, s9
	s_mul_i32 s8, s22, s8
	s_lshl_b64 s[30:31], s[28:29], 4
	s_lshl_b32 s59, s58, 5
	s_lshl_b64 s[8:9], s[8:9], 4
	s_lshl_b64 s[10:11], s[18:19], 4
	s_add_u32 s10, s16, s10
	s_addc_u32 s11, s17, s11
	s_add_u32 s8, s10, s8
	s_addc_u32 s9, s11, s9
	v_cmp_gt_i32_e64 s[4:5], s49, v8
	s_movk_i32 s60, 0x200
	s_waitcnt vmcnt(0)
	v_lshlrev_b32_e32 v1, 9, v5
	v_add_u32_e32 v31, v30, v1
	v_add_u32_e32 v28, 0x4000, v1
	v_addc_co_u32_e32 v1, vcc, 0, v9, vcc
	buffer_store_dword v0, off, s[64:67], 0 offset:24 ; 4-byte Folded Spill
	s_nop 0
	buffer_store_dword v1, off, s[64:67], 0 offset:28 ; 4-byte Folded Spill
	v_add_u32_e32 v6, s0, v5
	v_ashrrev_i32_e32 v7, 31, v6
	v_sub_co_u32_e32 v10, vcc, v8, v6
	v_subb_co_u32_e32 v11, vcc, v9, v7, vcc
	v_mul_lo_u32 v4, s21, v6
	v_cmp_le_i32_e64 s[0:1], s49, v8
	v_add_u32_e32 v29, v28, v30
	v_cmp_le_i64_e64 s[2:3], s[38:39], v[0:1]
	v_add_u32_e32 v0, 16, v8
	v_ashrrev_i32_e32 v1, 31, v0
	v_cmp_gt_i32_e64 s[14:15], s49, v0
	buffer_store_dword v0, off, s[64:67], 0 offset:76 ; 4-byte Folded Spill
	s_nop 0
	buffer_store_dword v1, off, s[64:67], 0 offset:80 ; 4-byte Folded Spill
	v_add_co_u32_e32 v0, vcc, 16, v10
	v_addc_co_u32_e32 v1, vcc, 0, v11, vcc
	buffer_store_dword v0, off, s[64:67], 0 offset:40 ; 4-byte Folded Spill
	s_nop 0
	buffer_store_dword v1, off, s[64:67], 0 offset:44 ; 4-byte Folded Spill
	v_lshlrev_b64 v[0:1], 4, v[6:7]
	v_add_co_u32_e32 v2, vcc, s48, v0
	v_addc_co_u32_e32 v3, vcc, 0, v1, vcc
	v_add_co_u32_e32 v12, vcc, -16, v10
	buffer_store_dword v10, off, s[64:67], 0 offset:32 ; 4-byte Folded Spill
	s_nop 0
	buffer_store_dword v11, off, s[64:67], 0 offset:36 ; 4-byte Folded Spill
	v_mov_b32_e32 v0, s8
	v_mov_b32_e32 v1, s9
	v_mad_u64_u32 v[0:1], s[10:11], s20, v2, v[0:1]
	v_mul_lo_u32 v3, s20, v3
	v_mul_lo_u32 v2, s21, v2
	v_add3_u32 v2, v2, v1, v3
	v_mul_lo_u32 v3, s20, v7
	v_addc_co_u32_e32 v13, vcc, -1, v11, vcc
	buffer_store_dword v12, off, s[64:67], 0 offset:48 ; 4-byte Folded Spill
	s_nop 0
	buffer_store_dword v13, off, s[64:67], 0 offset:52 ; 4-byte Folded Spill
	buffer_store_dword v6, off, s[64:67], 0 offset:16 ; 4-byte Folded Spill
	s_nop 0
	buffer_store_dword v7, off, s[64:67], 0 offset:20 ; 4-byte Folded Spill
	v_add_co_u32_e32 v10, vcc, s48, v0
	v_addc_co_u32_e32 v11, vcc, 0, v2, vcc
	v_mov_b32_e32 v2, s9
	buffer_store_dword v10, off, s[64:67], 0 offset:84 ; 4-byte Folded Spill
	s_nop 0
	buffer_store_dword v11, off, s[64:67], 0 offset:88 ; 4-byte Folded Spill
	v_mad_u64_u32 v[0:1], s[10:11], s20, v6, 0
	v_lshl_add_u32 v6, s7, 5, v5
	v_add3_u32 v1, v1, v3, v4
	v_lshlrev_b64 v[0:1], 4, v[0:1]
	v_mov_b32_e32 v3, 0x3ff00000
	v_add_co_u32_e32 v0, vcc, s8, v0
	v_addc_co_u32_e32 v1, vcc, v2, v1, vcc
	v_add_co_u32_e32 v0, vcc, 0x100, v0
	v_addc_co_u32_e32 v1, vcc, 0, v1, vcc
	buffer_store_dword v0, off, s[64:67], 0 offset:92 ; 4-byte Folded Spill
	s_nop 0
	buffer_store_dword v1, off, s[64:67], 0 offset:96 ; 4-byte Folded Spill
	buffer_store_dword v8, off, s[64:67], 0 offset:8 ; 4-byte Folded Spill
	s_nop 0
	buffer_store_dword v9, off, s[64:67], 0 offset:12 ; 4-byte Folded Spill
	v_mov_b32_e32 v2, 0
	v_lshlrev_b64 v[0:1], 4, v[8:9]
	buffer_store_dword v0, off, s[64:67], 0 ; 4-byte Folded Spill
	s_nop 0
	buffer_store_dword v1, off, s[64:67], 0 offset:4 ; 4-byte Folded Spill
	s_branch .LBB111_4
.LBB111_3:                              ;   in Loop: Header=BB111_4 Depth=1
	s_or_b64 exec, exec, s[8:9]
	buffer_load_dword v6, off, s[64:67], 0 offset:60 ; 4-byte Folded Reload
	buffer_load_dword v7, off, s[64:67], 0 offset:64 ; 4-byte Folded Reload
	s_add_i32 s7, s58, s7
	s_cmp_le_i32 s7, s33
	s_waitcnt vmcnt(1)
	v_add_u32_e32 v6, s59, v6
	s_cbranch_scc0 .LBB111_64
.LBB111_4:                              ; =>This Loop Header: Depth=1
                                        ;     Child Loop BB111_7 Depth 2
	buffer_load_dword v0, off, s[64:67], 0 offset:72 ; 4-byte Folded Reload
	s_andn2_b64 vcc, exec, s[34:35]
	s_waitcnt vmcnt(0)
	v_lshl_add_u32 v9, s7, 5, v0
	v_ashrrev_i32_e32 v10, 31, v9
	buffer_store_dword v9, off, s[64:67], 0 offset:56 ; 4-byte Folded Spill
	buffer_store_dword v10, off, s[64:67], 0 offset:68 ; 4-byte Folded Spill
	s_cbranch_vccnz .LBB111_55
; %bb.5:                                ;   in Loop: Header=BB111_4 Depth=1
	v_mov_b32_e32 v0, s26
	v_mov_b32_e32 v1, s27
	v_mad_u64_u32 v[42:43], s[8:9], s30, v6, v[0:1]
	v_mov_b32_e32 v0, v6
	buffer_store_dword v0, off, s[64:67], 0 offset:60 ; 4-byte Folded Spill
	s_nop 0
	buffer_store_dword v1, off, s[64:67], 0 offset:64 ; 4-byte Folded Spill
	buffer_load_dword v46, off, s[64:67], 0 offset:92 ; 4-byte Folded Reload
	buffer_load_dword v47, off, s[64:67], 0 offset:96 ; 4-byte Folded Reload
	;; [unrolled: 1-line block ×4, first 2 shown]
	v_ashrrev_i32_e32 v7, 31, v6
	v_lshlrev_b64 v[0:1], 4, v[6:7]
	v_mul_lo_u32 v4, s31, v6
	v_add_co_u32_e32 v6, vcc, 0x100, v0
	v_addc_co_u32_e32 v0, vcc, 0, v1, vcc
	v_mul_lo_u32 v5, s30, v7
	v_mul_lo_u32 v7, s28, v0
	v_mov_b32_e32 v0, s24
	v_mov_b32_e32 v1, s25
	v_mul_lo_u32 v8, s29, v6
	v_mad_u64_u32 v[44:45], s[8:9], s28, v6, v[0:1]
	v_mov_b32_e32 v1, s57
	v_sub_co_u32_e32 v0, vcc, s50, v9
	v_subb_co_u32_e32 v1, vcc, v1, v10, vcc
	v_add3_u32 v45, v8, v45, v7
	v_cmp_lt_i64_e64 s[8:9], 0, v[0:1]
	v_cmp_lt_i64_e64 s[10:11], 16, v[0:1]
	v_mov_b32_e32 v50, 0
	v_mov_b32_e32 v16, 0
	;; [unrolled: 1-line block ×8, first 2 shown]
	v_add3_u32 v43, v4, v43, v5
	s_mov_b64 s[20:21], 0
	v_mov_b32_e32 v51, 0
	v_mov_b32_e32 v17, 0
	;; [unrolled: 1-line block ×8, first 2 shown]
	s_branch .LBB111_7
.LBB111_6:                              ;   in Loop: Header=BB111_7 Depth=2
	s_or_b64 exec, exec, s[12:13]
	s_waitcnt lgkmcnt(0)
	s_barrier
	ds_read_b128 v[8:11], v28
	ds_read_b128 v[12:15], v30
	ds_read_b128 v[24:27], v30 offset:256
	ds_read_b128 v[34:37], v28 offset:8192
	v_add_co_u32_e32 v42, vcc, s60, v42
	s_waitcnt lgkmcnt(2)
	v_mul_f64 v[0:1], v[10:11], v[14:15]
	v_mul_f64 v[4:5], v[8:9], v[14:15]
	s_waitcnt lgkmcnt(1)
	v_mul_f64 v[20:21], v[10:11], v[26:27]
	v_mul_f64 v[22:23], v[8:9], v[26:27]
	v_addc_co_u32_e32 v43, vcc, 0, v43, vcc
	v_add_co_u32_e32 v48, vcc, s42, v48
	v_fma_f64 v[0:1], v[8:9], v[12:13], -v[0:1]
	v_fma_f64 v[4:5], v[10:11], v[12:13], v[4:5]
	v_fma_f64 v[20:21], v[8:9], v[24:25], -v[20:21]
	v_fma_f64 v[22:23], v[10:11], v[24:25], v[22:23]
	s_waitcnt lgkmcnt(0)
	v_mul_f64 v[8:9], v[36:37], v[14:15]
	v_mul_f64 v[10:11], v[34:35], v[14:15]
	s_add_u32 s20, s20, 32
	s_addc_u32 s21, s21, 0
	v_add_f64 v[40:41], v[6:7], v[0:1]
	v_add_f64 v[60:61], v[4:5], v[58:59]
	;; [unrolled: 1-line block ×4, first 2 shown]
	v_fma_f64 v[32:33], v[34:35], v[12:13], -v[8:9]
	v_fma_f64 v[38:39], v[36:37], v[12:13], v[10:11]
	v_mul_f64 v[8:9], v[36:37], v[26:27]
	v_mul_f64 v[10:11], v[34:35], v[26:27]
	s_cmp_ge_i32 s20, s6
	v_add_f64 v[58:59], v[18:19], v[32:33]
	v_add_f64 v[52:53], v[38:39], v[52:53]
	v_fma_f64 v[26:27], v[34:35], v[24:25], -v[8:9]
	v_fma_f64 v[34:35], v[36:37], v[24:25], v[10:11]
	ds_read_b128 v[12:15], v28 offset:16
	ds_read_b128 v[8:11], v30 offset:512
	;; [unrolled: 1-line block ×3, first 2 shown]
	s_waitcnt lgkmcnt(1)
	v_mul_f64 v[24:25], v[14:15], v[10:11]
	v_mul_f64 v[20:21], v[12:13], v[10:11]
	v_add_f64 v[56:57], v[16:17], v[26:27]
	ds_read_b128 v[16:19], v28 offset:8208
	s_waitcnt lgkmcnt(1)
	v_mul_f64 v[26:27], v[12:13], v[6:7]
	v_mul_f64 v[0:1], v[14:15], v[6:7]
	v_fma_f64 v[24:25], v[12:13], v[8:9], -v[24:25]
	v_fma_f64 v[36:37], v[14:15], v[8:9], v[20:21]
	s_waitcnt lgkmcnt(0)
	v_mul_f64 v[32:33], v[16:17], v[10:11]
	v_add_f64 v[20:21], v[34:35], v[50:51]
	v_fma_f64 v[14:15], v[14:15], v[4:5], v[26:27]
	v_mul_f64 v[26:27], v[18:19], v[6:7]
	v_mul_f64 v[34:35], v[16:17], v[6:7]
	v_fma_f64 v[0:1], v[12:13], v[4:5], -v[0:1]
	v_add_f64 v[22:23], v[40:41], v[24:25]
	v_mul_f64 v[24:25], v[18:19], v[10:11]
	v_add_f64 v[38:39], v[36:37], v[60:61]
	ds_read_b128 v[10:13], v28 offset:32
	v_fma_f64 v[32:33], v[18:19], v[8:9], v[32:33]
	v_add_f64 v[40:41], v[14:15], v[54:55]
	v_add_f64 v[0:1], v[62:63], v[0:1]
	v_fma_f64 v[36:37], v[16:17], v[8:9], -v[24:25]
	ds_read_b128 v[6:9], v30 offset:1024
	v_fma_f64 v[16:17], v[16:17], v[4:5], -v[26:27]
	ds_read_b128 v[24:27], v30 offset:1280
	v_fma_f64 v[4:5], v[18:19], v[4:5], v[34:35]
	v_add_f64 v[32:33], v[32:33], v[52:53]
	v_add_f64 v[54:55], v[58:59], v[36:37]
	ds_read_b128 v[34:37], v28 offset:8224
	s_waitcnt lgkmcnt(2)
	v_mul_f64 v[18:19], v[12:13], v[8:9]
	s_waitcnt lgkmcnt(1)
	v_mul_f64 v[50:51], v[12:13], v[26:27]
	v_mul_f64 v[14:15], v[10:11], v[8:9]
	;; [unrolled: 1-line block ×3, first 2 shown]
	v_add_f64 v[56:57], v[56:57], v[16:17]
	v_add_f64 v[16:17], v[4:5], v[20:21]
	v_fma_f64 v[18:19], v[10:11], v[6:7], -v[18:19]
	v_fma_f64 v[10:11], v[10:11], v[24:25], -v[50:51]
	v_fma_f64 v[4:5], v[12:13], v[6:7], v[14:15]
	s_waitcnt lgkmcnt(0)
	v_mul_f64 v[14:15], v[36:37], v[8:9]
	v_fma_f64 v[20:21], v[12:13], v[24:25], v[52:53]
	v_mul_f64 v[8:9], v[34:35], v[8:9]
	v_add_f64 v[18:19], v[22:23], v[18:19]
	v_add_f64 v[52:53], v[0:1], v[10:11]
	v_mul_f64 v[0:1], v[36:37], v[26:27]
	v_mul_f64 v[22:23], v[34:35], v[26:27]
	v_add_f64 v[50:51], v[4:5], v[38:39]
	v_fma_f64 v[4:5], v[34:35], v[6:7], -v[14:15]
	v_add_f64 v[60:61], v[20:21], v[40:41]
	v_fma_f64 v[20:21], v[36:37], v[6:7], v[8:9]
	ds_read_b128 v[12:15], v28 offset:48
	ds_read_b128 v[8:11], v30 offset:1536
	v_fma_f64 v[0:1], v[34:35], v[24:25], -v[0:1]
	v_fma_f64 v[62:63], v[36:37], v[24:25], v[22:23]
	ds_read_b128 v[34:37], v28 offset:8240
	v_add_f64 v[54:55], v[54:55], v[4:5]
	ds_read_b128 v[4:7], v30 offset:1792
	s_waitcnt lgkmcnt(2)
	v_mul_f64 v[22:23], v[14:15], v[10:11]
	v_mul_f64 v[26:27], v[12:13], v[10:11]
	v_add_f64 v[58:59], v[20:21], v[32:33]
	s_waitcnt lgkmcnt(1)
	v_mul_f64 v[20:21], v[36:37], v[10:11]
	v_mul_f64 v[10:11], v[34:35], v[10:11]
	s_waitcnt lgkmcnt(0)
	v_mul_f64 v[38:39], v[14:15], v[6:7]
	v_mul_f64 v[40:41], v[12:13], v[6:7]
	v_add_f64 v[56:57], v[56:57], v[0:1]
	v_fma_f64 v[24:25], v[12:13], v[8:9], -v[22:23]
	v_fma_f64 v[0:1], v[14:15], v[8:9], v[26:27]
	v_fma_f64 v[20:21], v[34:35], v[8:9], -v[20:21]
	v_fma_f64 v[22:23], v[36:37], v[8:9], v[10:11]
	v_mul_f64 v[8:9], v[36:37], v[6:7]
	v_mul_f64 v[6:7], v[34:35], v[6:7]
	v_fma_f64 v[12:13], v[12:13], v[4:5], -v[38:39]
	v_fma_f64 v[14:15], v[14:15], v[4:5], v[40:41]
	v_add_f64 v[38:39], v[18:19], v[24:25]
	v_add_f64 v[40:41], v[0:1], v[50:51]
	;; [unrolled: 1-line block ×4, first 2 shown]
	v_fma_f64 v[32:33], v[34:35], v[4:5], -v[8:9]
	v_fma_f64 v[34:35], v[36:37], v[4:5], v[6:7]
	ds_read_b128 v[4:7], v28 offset:64
	ds_read_b128 v[8:11], v30 offset:2048
	v_add_f64 v[0:1], v[14:15], v[60:61]
	v_add_f64 v[36:37], v[62:63], v[16:17]
	ds_read_b128 v[16:19], v30 offset:2304
	v_add_f64 v[12:13], v[52:53], v[12:13]
	s_waitcnt lgkmcnt(1)
	v_mul_f64 v[26:27], v[6:7], v[10:11]
	v_mul_f64 v[24:25], v[4:5], v[10:11]
	v_add_f64 v[32:33], v[56:57], v[32:33]
	v_add_f64 v[56:57], v[34:35], v[36:37]
	v_fma_f64 v[14:15], v[4:5], v[8:9], -v[26:27]
	v_fma_f64 v[50:51], v[6:7], v[8:9], v[24:25]
	ds_read_b128 v[24:27], v28 offset:8256
	s_waitcnt lgkmcnt(1)
	v_mul_f64 v[58:59], v[6:7], v[18:19]
	s_waitcnt lgkmcnt(0)
	v_mul_f64 v[34:35], v[26:27], v[10:11]
	v_add_f64 v[52:53], v[38:39], v[14:15]
	v_mul_f64 v[14:15], v[4:5], v[18:19]
	v_mul_f64 v[10:11], v[24:25], v[10:11]
	v_mul_f64 v[36:37], v[26:27], v[18:19]
	v_fma_f64 v[4:5], v[4:5], v[16:17], -v[58:59]
	v_mul_f64 v[18:19], v[24:25], v[18:19]
	v_add_f64 v[54:55], v[50:51], v[40:41]
	v_fma_f64 v[38:39], v[24:25], v[8:9], -v[34:35]
	v_fma_f64 v[6:7], v[6:7], v[16:17], v[14:15]
	v_fma_f64 v[58:59], v[26:27], v[8:9], v[10:11]
	v_fma_f64 v[36:37], v[24:25], v[16:17], -v[36:37]
	v_add_f64 v[50:51], v[12:13], v[4:5]
	ds_read_b128 v[12:15], v28 offset:80
	ds_read_b128 v[8:11], v30 offset:2560
	v_fma_f64 v[40:41], v[26:27], v[16:17], v[18:19]
	ds_read_b128 v[16:19], v28 offset:8272
	v_add_f64 v[62:63], v[20:21], v[38:39]
	v_add_f64 v[34:35], v[6:7], v[0:1]
	ds_read_b128 v[4:7], v30 offset:2816
	s_waitcnt lgkmcnt(2)
	v_mul_f64 v[0:1], v[14:15], v[10:11]
	v_add_f64 v[60:61], v[58:59], v[22:23]
	v_add_f64 v[58:59], v[32:33], v[36:37]
	v_mul_f64 v[24:25], v[12:13], v[10:11]
	s_waitcnt lgkmcnt(0)
	v_mul_f64 v[36:37], v[14:15], v[6:7]
	v_mul_f64 v[26:27], v[12:13], v[6:7]
	v_add_f64 v[22:23], v[40:41], v[56:57]
	v_fma_f64 v[0:1], v[12:13], v[8:9], -v[0:1]
	v_fma_f64 v[20:21], v[14:15], v[8:9], v[24:25]
	v_fma_f64 v[12:13], v[12:13], v[4:5], -v[36:37]
	v_mul_f64 v[24:25], v[18:19], v[10:11]
	v_mul_f64 v[10:11], v[16:17], v[10:11]
	v_fma_f64 v[14:15], v[14:15], v[4:5], v[26:27]
	v_add_f64 v[32:33], v[52:53], v[0:1]
	v_mul_f64 v[0:1], v[18:19], v[6:7]
	v_add_f64 v[20:21], v[20:21], v[54:55]
	v_add_f64 v[38:39], v[50:51], v[12:13]
	v_mul_f64 v[12:13], v[16:17], v[6:7]
	v_fma_f64 v[36:37], v[16:17], v[8:9], -v[24:25]
	v_fma_f64 v[10:11], v[18:19], v[8:9], v[10:11]
	ds_read_b128 v[6:9], v28 offset:96
	ds_read_b128 v[24:27], v30 offset:3072
	v_add_f64 v[40:41], v[14:15], v[34:35]
	v_fma_f64 v[14:15], v[16:17], v[4:5], -v[0:1]
	ds_read_b128 v[54:57], v28 offset:8288
	v_fma_f64 v[4:5], v[18:19], v[4:5], v[12:13]
	s_waitcnt lgkmcnt(1)
	v_mul_f64 v[16:17], v[8:9], v[26:27]
	v_mul_f64 v[18:19], v[6:7], v[26:27]
	v_add_f64 v[0:1], v[62:63], v[36:37]
	ds_read_b128 v[34:37], v30 offset:3328
	v_add_f64 v[60:61], v[10:11], v[60:61]
	v_add_f64 v[62:63], v[58:59], v[14:15]
	;; [unrolled: 1-line block ×3, first 2 shown]
	s_waitcnt lgkmcnt(0)
	v_mul_f64 v[10:11], v[8:9], v[36:37]
	v_mul_f64 v[14:15], v[6:7], v[36:37]
	v_fma_f64 v[4:5], v[6:7], v[24:25], -v[16:17]
	v_fma_f64 v[18:19], v[8:9], v[24:25], v[18:19]
	v_mul_f64 v[22:23], v[56:57], v[26:27]
	v_fma_f64 v[6:7], v[6:7], v[34:35], -v[10:11]
	v_fma_f64 v[8:9], v[8:9], v[34:35], v[14:15]
	v_mul_f64 v[10:11], v[54:55], v[26:27]
	v_add_f64 v[16:17], v[32:33], v[4:5]
	v_add_f64 v[14:15], v[18:19], v[20:21]
	v_fma_f64 v[4:5], v[54:55], v[24:25], -v[22:23]
	v_mul_f64 v[20:21], v[56:57], v[36:37]
	v_mul_f64 v[22:23], v[54:55], v[36:37]
	v_add_f64 v[18:19], v[38:39], v[6:7]
	v_add_f64 v[50:51], v[8:9], v[40:41]
	v_fma_f64 v[32:33], v[56:57], v[24:25], v[10:11]
	ds_read_b128 v[24:27], v28 offset:112
	ds_read_b128 v[8:11], v30 offset:3584
	v_add_f64 v[52:53], v[0:1], v[4:5]
	v_fma_f64 v[0:1], v[54:55], v[34:35], -v[20:21]
	ds_read_b128 v[4:7], v30 offset:3840
	s_waitcnt lgkmcnt(1)
	v_mul_f64 v[20:21], v[26:27], v[10:11]
	v_fma_f64 v[58:59], v[56:57], v[34:35], v[22:23]
	v_add_f64 v[56:57], v[32:33], v[60:61]
	v_mul_f64 v[22:23], v[24:25], v[10:11]
	v_add_f64 v[54:55], v[62:63], v[0:1]
	ds_read_b128 v[60:63], v28 offset:8304
	v_fma_f64 v[34:35], v[24:25], v[8:9], -v[20:21]
	s_waitcnt lgkmcnt(1)
	v_mul_f64 v[36:37], v[26:27], v[6:7]
	v_mul_f64 v[38:39], v[24:25], v[6:7]
	v_fma_f64 v[0:1], v[26:27], v[8:9], v[22:23]
	s_waitcnt lgkmcnt(0)
	v_mul_f64 v[20:21], v[62:63], v[10:11]
	v_mul_f64 v[10:11], v[60:61], v[10:11]
	v_add_f64 v[12:13], v[58:59], v[12:13]
	v_add_f64 v[34:35], v[16:17], v[34:35]
	v_fma_f64 v[24:25], v[24:25], v[4:5], -v[36:37]
	v_fma_f64 v[26:27], v[26:27], v[4:5], v[38:39]
	v_add_f64 v[14:15], v[0:1], v[14:15]
	v_fma_f64 v[20:21], v[60:61], v[8:9], -v[20:21]
	v_fma_f64 v[22:23], v[62:63], v[8:9], v[10:11]
	v_mul_f64 v[8:9], v[62:63], v[6:7]
	v_mul_f64 v[6:7], v[60:61], v[6:7]
	v_add_f64 v[58:59], v[18:19], v[24:25]
	v_add_f64 v[0:1], v[26:27], v[50:51]
	;; [unrolled: 1-line block ×4, first 2 shown]
	v_fma_f64 v[32:33], v[60:61], v[4:5], -v[8:9]
	v_fma_f64 v[36:37], v[62:63], v[4:5], v[6:7]
	ds_read_b128 v[4:7], v28 offset:128
	ds_read_b128 v[8:11], v30 offset:4096
	ds_read_b128 v[16:19], v30 offset:4352
	ds_read_b128 v[24:27], v28 offset:8320
	s_waitcnt lgkmcnt(2)
	v_mul_f64 v[38:39], v[6:7], v[10:11]
	v_mul_f64 v[40:41], v[4:5], v[10:11]
	s_waitcnt lgkmcnt(1)
	v_mul_f64 v[50:51], v[6:7], v[18:19]
	v_add_f64 v[56:57], v[36:37], v[12:13]
	v_mul_f64 v[12:13], v[4:5], v[18:19]
	v_add_f64 v[32:33], v[54:55], v[32:33]
	v_fma_f64 v[38:39], v[4:5], v[8:9], -v[38:39]
	v_fma_f64 v[40:41], v[6:7], v[8:9], v[40:41]
	v_fma_f64 v[4:5], v[4:5], v[16:17], -v[50:51]
	v_fma_f64 v[6:7], v[6:7], v[16:17], v[12:13]
	v_add_f64 v[52:53], v[34:35], v[38:39]
	s_waitcnt lgkmcnt(0)
	v_mul_f64 v[34:35], v[26:27], v[10:11]
	v_add_f64 v[54:55], v[40:41], v[14:15]
	v_mul_f64 v[10:11], v[24:25], v[10:11]
	v_mul_f64 v[14:15], v[26:27], v[18:19]
	;; [unrolled: 1-line block ×3, first 2 shown]
	v_add_f64 v[50:51], v[58:59], v[4:5]
	v_fma_f64 v[36:37], v[24:25], v[8:9], -v[34:35]
	v_add_f64 v[34:35], v[6:7], v[0:1]
	v_fma_f64 v[38:39], v[26:27], v[8:9], v[10:11]
	v_fma_f64 v[58:59], v[24:25], v[16:17], -v[14:15]
	ds_read_b128 v[12:15], v28 offset:144
	ds_read_b128 v[8:11], v30 offset:4608
	;; [unrolled: 1-line block ×3, first 2 shown]
	v_fma_f64 v[40:41], v[26:27], v[16:17], v[18:19]
	ds_read_b128 v[16:19], v28 offset:8336
	v_add_f64 v[62:63], v[20:21], v[36:37]
	s_waitcnt lgkmcnt(2)
	v_mul_f64 v[0:1], v[14:15], v[10:11]
	s_waitcnt lgkmcnt(1)
	v_mul_f64 v[36:37], v[14:15], v[6:7]
	v_mul_f64 v[24:25], v[12:13], v[10:11]
	;; [unrolled: 1-line block ×3, first 2 shown]
	v_add_f64 v[60:61], v[38:39], v[22:23]
	v_add_f64 v[58:59], v[32:33], v[58:59]
	;; [unrolled: 1-line block ×3, first 2 shown]
	v_fma_f64 v[0:1], v[12:13], v[8:9], -v[0:1]
	v_fma_f64 v[12:13], v[12:13], v[4:5], -v[36:37]
	v_fma_f64 v[20:21], v[14:15], v[8:9], v[24:25]
	s_waitcnt lgkmcnt(0)
	v_mul_f64 v[24:25], v[18:19], v[10:11]
	v_mul_f64 v[10:11], v[16:17], v[10:11]
	v_fma_f64 v[14:15], v[14:15], v[4:5], v[26:27]
	v_add_f64 v[32:33], v[52:53], v[0:1]
	v_mul_f64 v[0:1], v[18:19], v[6:7]
	v_add_f64 v[38:39], v[50:51], v[12:13]
	v_mul_f64 v[12:13], v[16:17], v[6:7]
	v_fma_f64 v[36:37], v[16:17], v[8:9], -v[24:25]
	v_fma_f64 v[10:11], v[18:19], v[8:9], v[10:11]
	ds_read_b128 v[6:9], v28 offset:160
	ds_read_b128 v[24:27], v30 offset:5120
	v_add_f64 v[40:41], v[14:15], v[34:35]
	v_add_f64 v[20:21], v[20:21], v[54:55]
	v_fma_f64 v[14:15], v[16:17], v[4:5], -v[0:1]
	ds_read_b128 v[54:57], v28 offset:8352
	v_fma_f64 v[4:5], v[18:19], v[4:5], v[12:13]
	s_waitcnt lgkmcnt(1)
	v_mul_f64 v[16:17], v[8:9], v[26:27]
	v_mul_f64 v[18:19], v[6:7], v[26:27]
	v_add_f64 v[0:1], v[62:63], v[36:37]
	ds_read_b128 v[34:37], v30 offset:5376
	v_add_f64 v[60:61], v[10:11], v[60:61]
	v_add_f64 v[62:63], v[58:59], v[14:15]
	;; [unrolled: 1-line block ×3, first 2 shown]
	s_waitcnt lgkmcnt(0)
	v_mul_f64 v[10:11], v[8:9], v[36:37]
	v_mul_f64 v[14:15], v[6:7], v[36:37]
	v_fma_f64 v[4:5], v[6:7], v[24:25], -v[16:17]
	v_fma_f64 v[18:19], v[8:9], v[24:25], v[18:19]
	v_mul_f64 v[22:23], v[56:57], v[26:27]
	v_fma_f64 v[6:7], v[6:7], v[34:35], -v[10:11]
	v_fma_f64 v[8:9], v[8:9], v[34:35], v[14:15]
	v_mul_f64 v[10:11], v[54:55], v[26:27]
	v_add_f64 v[16:17], v[32:33], v[4:5]
	v_add_f64 v[14:15], v[18:19], v[20:21]
	v_fma_f64 v[4:5], v[54:55], v[24:25], -v[22:23]
	v_mul_f64 v[20:21], v[56:57], v[36:37]
	v_mul_f64 v[22:23], v[54:55], v[36:37]
	v_add_f64 v[18:19], v[38:39], v[6:7]
	v_add_f64 v[50:51], v[8:9], v[40:41]
	v_fma_f64 v[32:33], v[56:57], v[24:25], v[10:11]
	ds_read_b128 v[24:27], v28 offset:176
	ds_read_b128 v[8:11], v30 offset:5632
	v_add_f64 v[52:53], v[0:1], v[4:5]
	v_fma_f64 v[0:1], v[54:55], v[34:35], -v[20:21]
	ds_read_b128 v[4:7], v30 offset:5888
	s_waitcnt lgkmcnt(1)
	v_mul_f64 v[20:21], v[26:27], v[10:11]
	v_fma_f64 v[58:59], v[56:57], v[34:35], v[22:23]
	v_add_f64 v[56:57], v[32:33], v[60:61]
	v_mul_f64 v[22:23], v[24:25], v[10:11]
	v_add_f64 v[54:55], v[62:63], v[0:1]
	ds_read_b128 v[60:63], v28 offset:8368
	v_fma_f64 v[34:35], v[24:25], v[8:9], -v[20:21]
	s_waitcnt lgkmcnt(1)
	v_mul_f64 v[36:37], v[26:27], v[6:7]
	v_mul_f64 v[38:39], v[24:25], v[6:7]
	v_fma_f64 v[0:1], v[26:27], v[8:9], v[22:23]
	s_waitcnt lgkmcnt(0)
	v_mul_f64 v[20:21], v[62:63], v[10:11]
	v_mul_f64 v[10:11], v[60:61], v[10:11]
	v_add_f64 v[12:13], v[58:59], v[12:13]
	v_add_f64 v[34:35], v[16:17], v[34:35]
	v_fma_f64 v[24:25], v[24:25], v[4:5], -v[36:37]
	v_fma_f64 v[26:27], v[26:27], v[4:5], v[38:39]
	v_add_f64 v[14:15], v[0:1], v[14:15]
	v_fma_f64 v[20:21], v[60:61], v[8:9], -v[20:21]
	v_fma_f64 v[22:23], v[62:63], v[8:9], v[10:11]
	v_mul_f64 v[8:9], v[62:63], v[6:7]
	v_mul_f64 v[6:7], v[60:61], v[6:7]
	v_add_f64 v[58:59], v[18:19], v[24:25]
	v_add_f64 v[0:1], v[26:27], v[50:51]
	;; [unrolled: 1-line block ×4, first 2 shown]
	v_fma_f64 v[32:33], v[60:61], v[4:5], -v[8:9]
	v_fma_f64 v[36:37], v[62:63], v[4:5], v[6:7]
	ds_read_b128 v[4:7], v28 offset:192
	ds_read_b128 v[8:11], v30 offset:6144
	;; [unrolled: 1-line block ×4, first 2 shown]
	s_waitcnt lgkmcnt(2)
	v_mul_f64 v[38:39], v[6:7], v[10:11]
	v_mul_f64 v[40:41], v[4:5], v[10:11]
	s_waitcnt lgkmcnt(1)
	v_mul_f64 v[50:51], v[6:7], v[18:19]
	v_add_f64 v[56:57], v[36:37], v[12:13]
	v_mul_f64 v[12:13], v[4:5], v[18:19]
	v_add_f64 v[32:33], v[54:55], v[32:33]
	v_fma_f64 v[38:39], v[4:5], v[8:9], -v[38:39]
	v_fma_f64 v[40:41], v[6:7], v[8:9], v[40:41]
	v_fma_f64 v[4:5], v[4:5], v[16:17], -v[50:51]
	v_fma_f64 v[6:7], v[6:7], v[16:17], v[12:13]
	v_add_f64 v[52:53], v[34:35], v[38:39]
	s_waitcnt lgkmcnt(0)
	v_mul_f64 v[34:35], v[26:27], v[10:11]
	v_add_f64 v[54:55], v[40:41], v[14:15]
	v_mul_f64 v[10:11], v[24:25], v[10:11]
	v_mul_f64 v[14:15], v[26:27], v[18:19]
	;; [unrolled: 1-line block ×3, first 2 shown]
	v_add_f64 v[50:51], v[58:59], v[4:5]
	v_fma_f64 v[36:37], v[24:25], v[8:9], -v[34:35]
	v_add_f64 v[34:35], v[6:7], v[0:1]
	v_fma_f64 v[38:39], v[26:27], v[8:9], v[10:11]
	v_fma_f64 v[58:59], v[24:25], v[16:17], -v[14:15]
	ds_read_b128 v[12:15], v28 offset:208
	ds_read_b128 v[8:11], v30 offset:6656
	;; [unrolled: 1-line block ×3, first 2 shown]
	v_fma_f64 v[40:41], v[26:27], v[16:17], v[18:19]
	ds_read_b128 v[16:19], v28 offset:8400
	v_add_f64 v[62:63], v[20:21], v[36:37]
	s_waitcnt lgkmcnt(2)
	v_mul_f64 v[0:1], v[14:15], v[10:11]
	s_waitcnt lgkmcnt(1)
	v_mul_f64 v[36:37], v[14:15], v[6:7]
	v_mul_f64 v[24:25], v[12:13], v[10:11]
	v_mul_f64 v[26:27], v[12:13], v[6:7]
	v_add_f64 v[60:61], v[38:39], v[22:23]
	v_add_f64 v[58:59], v[32:33], v[58:59]
	;; [unrolled: 1-line block ×3, first 2 shown]
	v_fma_f64 v[0:1], v[12:13], v[8:9], -v[0:1]
	v_fma_f64 v[12:13], v[12:13], v[4:5], -v[36:37]
	v_fma_f64 v[20:21], v[14:15], v[8:9], v[24:25]
	s_waitcnt lgkmcnt(0)
	v_mul_f64 v[24:25], v[18:19], v[10:11]
	v_mul_f64 v[10:11], v[16:17], v[10:11]
	v_fma_f64 v[14:15], v[14:15], v[4:5], v[26:27]
	v_add_f64 v[32:33], v[52:53], v[0:1]
	v_mul_f64 v[0:1], v[18:19], v[6:7]
	v_add_f64 v[38:39], v[50:51], v[12:13]
	v_mul_f64 v[12:13], v[16:17], v[6:7]
	v_fma_f64 v[36:37], v[16:17], v[8:9], -v[24:25]
	v_fma_f64 v[10:11], v[18:19], v[8:9], v[10:11]
	ds_read_b128 v[6:9], v28 offset:224
	ds_read_b128 v[24:27], v30 offset:7168
	v_add_f64 v[40:41], v[14:15], v[34:35]
	v_add_f64 v[20:21], v[20:21], v[54:55]
	v_fma_f64 v[14:15], v[16:17], v[4:5], -v[0:1]
	ds_read_b128 v[54:57], v28 offset:8416
	v_fma_f64 v[4:5], v[18:19], v[4:5], v[12:13]
	s_waitcnt lgkmcnt(1)
	v_mul_f64 v[16:17], v[8:9], v[26:27]
	v_mul_f64 v[18:19], v[6:7], v[26:27]
	v_add_f64 v[0:1], v[62:63], v[36:37]
	ds_read_b128 v[34:37], v30 offset:7424
	v_add_f64 v[60:61], v[10:11], v[60:61]
	v_add_f64 v[62:63], v[58:59], v[14:15]
	;; [unrolled: 1-line block ×3, first 2 shown]
	s_waitcnt lgkmcnt(0)
	v_mul_f64 v[10:11], v[8:9], v[36:37]
	v_mul_f64 v[14:15], v[6:7], v[36:37]
	v_fma_f64 v[4:5], v[6:7], v[24:25], -v[16:17]
	v_fma_f64 v[18:19], v[8:9], v[24:25], v[18:19]
	v_mul_f64 v[22:23], v[56:57], v[26:27]
	v_fma_f64 v[6:7], v[6:7], v[34:35], -v[10:11]
	v_fma_f64 v[8:9], v[8:9], v[34:35], v[14:15]
	v_mul_f64 v[10:11], v[54:55], v[26:27]
	v_add_f64 v[16:17], v[32:33], v[4:5]
	v_add_f64 v[14:15], v[18:19], v[20:21]
	v_fma_f64 v[4:5], v[54:55], v[24:25], -v[22:23]
	v_mul_f64 v[20:21], v[56:57], v[36:37]
	v_mul_f64 v[22:23], v[54:55], v[36:37]
	v_add_f64 v[18:19], v[38:39], v[6:7]
	v_add_f64 v[50:51], v[8:9], v[40:41]
	v_fma_f64 v[32:33], v[56:57], v[24:25], v[10:11]
	ds_read_b128 v[24:27], v28 offset:240
	ds_read_b128 v[8:11], v30 offset:7680
	v_add_f64 v[52:53], v[0:1], v[4:5]
	v_fma_f64 v[0:1], v[54:55], v[34:35], -v[20:21]
	ds_read_b128 v[4:7], v30 offset:7936
	s_waitcnt lgkmcnt(1)
	v_mul_f64 v[20:21], v[26:27], v[10:11]
	v_fma_f64 v[58:59], v[56:57], v[34:35], v[22:23]
	v_add_f64 v[56:57], v[32:33], v[60:61]
	v_mul_f64 v[22:23], v[24:25], v[10:11]
	v_add_f64 v[54:55], v[62:63], v[0:1]
	ds_read_b128 v[60:63], v28 offset:8432
	v_fma_f64 v[34:35], v[24:25], v[8:9], -v[20:21]
	s_waitcnt lgkmcnt(1)
	v_mul_f64 v[36:37], v[26:27], v[6:7]
	v_mul_f64 v[38:39], v[24:25], v[6:7]
	v_fma_f64 v[0:1], v[26:27], v[8:9], v[22:23]
	s_waitcnt lgkmcnt(0)
	v_mul_f64 v[20:21], v[62:63], v[10:11]
	v_mul_f64 v[10:11], v[60:61], v[10:11]
	v_add_f64 v[12:13], v[58:59], v[12:13]
	v_add_f64 v[34:35], v[16:17], v[34:35]
	v_fma_f64 v[24:25], v[24:25], v[4:5], -v[36:37]
	v_fma_f64 v[26:27], v[26:27], v[4:5], v[38:39]
	v_add_f64 v[14:15], v[0:1], v[14:15]
	v_fma_f64 v[20:21], v[60:61], v[8:9], -v[20:21]
	v_fma_f64 v[22:23], v[62:63], v[8:9], v[10:11]
	v_mul_f64 v[8:9], v[62:63], v[6:7]
	v_mul_f64 v[6:7], v[60:61], v[6:7]
	v_add_f64 v[58:59], v[18:19], v[24:25]
	v_add_f64 v[0:1], v[26:27], v[50:51]
	;; [unrolled: 1-line block ×4, first 2 shown]
	v_fma_f64 v[32:33], v[60:61], v[4:5], -v[8:9]
	v_fma_f64 v[36:37], v[62:63], v[4:5], v[6:7]
	ds_read_b128 v[4:7], v28 offset:256
	ds_read_b128 v[8:11], v30 offset:8192
	;; [unrolled: 1-line block ×4, first 2 shown]
	s_waitcnt lgkmcnt(2)
	v_mul_f64 v[38:39], v[6:7], v[10:11]
	v_mul_f64 v[40:41], v[4:5], v[10:11]
	s_waitcnt lgkmcnt(1)
	v_mul_f64 v[50:51], v[6:7], v[18:19]
	v_add_f64 v[56:57], v[36:37], v[12:13]
	v_mul_f64 v[12:13], v[4:5], v[18:19]
	v_add_f64 v[32:33], v[54:55], v[32:33]
	v_fma_f64 v[38:39], v[4:5], v[8:9], -v[38:39]
	v_fma_f64 v[40:41], v[6:7], v[8:9], v[40:41]
	v_fma_f64 v[4:5], v[4:5], v[16:17], -v[50:51]
	v_fma_f64 v[6:7], v[6:7], v[16:17], v[12:13]
	v_add_f64 v[52:53], v[34:35], v[38:39]
	s_waitcnt lgkmcnt(0)
	v_mul_f64 v[34:35], v[26:27], v[10:11]
	v_add_f64 v[54:55], v[40:41], v[14:15]
	v_mul_f64 v[10:11], v[24:25], v[10:11]
	v_mul_f64 v[14:15], v[26:27], v[18:19]
	;; [unrolled: 1-line block ×3, first 2 shown]
	v_add_f64 v[50:51], v[58:59], v[4:5]
	v_fma_f64 v[36:37], v[24:25], v[8:9], -v[34:35]
	v_add_f64 v[34:35], v[6:7], v[0:1]
	v_fma_f64 v[38:39], v[26:27], v[8:9], v[10:11]
	v_fma_f64 v[58:59], v[24:25], v[16:17], -v[14:15]
	ds_read_b128 v[12:15], v28 offset:272
	ds_read_b128 v[8:11], v30 offset:8704
	;; [unrolled: 1-line block ×3, first 2 shown]
	v_fma_f64 v[40:41], v[26:27], v[16:17], v[18:19]
	ds_read_b128 v[16:19], v28 offset:8464
	v_add_f64 v[62:63], v[20:21], v[36:37]
	s_waitcnt lgkmcnt(2)
	v_mul_f64 v[0:1], v[14:15], v[10:11]
	s_waitcnt lgkmcnt(1)
	v_mul_f64 v[36:37], v[14:15], v[6:7]
	v_mul_f64 v[24:25], v[12:13], v[10:11]
	;; [unrolled: 1-line block ×3, first 2 shown]
	v_add_f64 v[60:61], v[38:39], v[22:23]
	v_add_f64 v[58:59], v[32:33], v[58:59]
	;; [unrolled: 1-line block ×3, first 2 shown]
	v_fma_f64 v[0:1], v[12:13], v[8:9], -v[0:1]
	v_fma_f64 v[12:13], v[12:13], v[4:5], -v[36:37]
	v_fma_f64 v[20:21], v[14:15], v[8:9], v[24:25]
	s_waitcnt lgkmcnt(0)
	v_mul_f64 v[24:25], v[18:19], v[10:11]
	v_mul_f64 v[10:11], v[16:17], v[10:11]
	v_fma_f64 v[14:15], v[14:15], v[4:5], v[26:27]
	v_add_f64 v[32:33], v[52:53], v[0:1]
	v_mul_f64 v[0:1], v[18:19], v[6:7]
	v_add_f64 v[38:39], v[50:51], v[12:13]
	v_mul_f64 v[12:13], v[16:17], v[6:7]
	v_fma_f64 v[36:37], v[16:17], v[8:9], -v[24:25]
	v_fma_f64 v[10:11], v[18:19], v[8:9], v[10:11]
	ds_read_b128 v[6:9], v28 offset:288
	ds_read_b128 v[24:27], v30 offset:9216
	v_add_f64 v[40:41], v[14:15], v[34:35]
	v_add_f64 v[20:21], v[20:21], v[54:55]
	v_fma_f64 v[14:15], v[16:17], v[4:5], -v[0:1]
	ds_read_b128 v[54:57], v28 offset:8480
	v_fma_f64 v[4:5], v[18:19], v[4:5], v[12:13]
	s_waitcnt lgkmcnt(1)
	v_mul_f64 v[16:17], v[8:9], v[26:27]
	v_mul_f64 v[18:19], v[6:7], v[26:27]
	v_add_f64 v[0:1], v[62:63], v[36:37]
	ds_read_b128 v[34:37], v30 offset:9472
	v_add_f64 v[60:61], v[10:11], v[60:61]
	v_add_f64 v[62:63], v[58:59], v[14:15]
	;; [unrolled: 1-line block ×3, first 2 shown]
	s_waitcnt lgkmcnt(0)
	v_mul_f64 v[10:11], v[8:9], v[36:37]
	v_mul_f64 v[14:15], v[6:7], v[36:37]
	v_fma_f64 v[4:5], v[6:7], v[24:25], -v[16:17]
	v_fma_f64 v[18:19], v[8:9], v[24:25], v[18:19]
	v_mul_f64 v[22:23], v[56:57], v[26:27]
	v_fma_f64 v[6:7], v[6:7], v[34:35], -v[10:11]
	v_fma_f64 v[8:9], v[8:9], v[34:35], v[14:15]
	v_mul_f64 v[10:11], v[54:55], v[26:27]
	v_add_f64 v[16:17], v[32:33], v[4:5]
	v_add_f64 v[14:15], v[18:19], v[20:21]
	v_fma_f64 v[4:5], v[54:55], v[24:25], -v[22:23]
	v_mul_f64 v[20:21], v[56:57], v[36:37]
	v_mul_f64 v[22:23], v[54:55], v[36:37]
	v_add_f64 v[18:19], v[38:39], v[6:7]
	v_add_f64 v[50:51], v[8:9], v[40:41]
	v_fma_f64 v[32:33], v[56:57], v[24:25], v[10:11]
	ds_read_b128 v[24:27], v28 offset:304
	ds_read_b128 v[8:11], v30 offset:9728
	v_add_f64 v[52:53], v[0:1], v[4:5]
	v_fma_f64 v[0:1], v[54:55], v[34:35], -v[20:21]
	ds_read_b128 v[4:7], v30 offset:9984
	s_waitcnt lgkmcnt(1)
	v_mul_f64 v[20:21], v[26:27], v[10:11]
	v_fma_f64 v[58:59], v[56:57], v[34:35], v[22:23]
	v_add_f64 v[56:57], v[32:33], v[60:61]
	v_mul_f64 v[22:23], v[24:25], v[10:11]
	v_add_f64 v[54:55], v[62:63], v[0:1]
	ds_read_b128 v[60:63], v28 offset:8496
	v_fma_f64 v[34:35], v[24:25], v[8:9], -v[20:21]
	s_waitcnt lgkmcnt(1)
	v_mul_f64 v[36:37], v[26:27], v[6:7]
	v_mul_f64 v[38:39], v[24:25], v[6:7]
	v_fma_f64 v[0:1], v[26:27], v[8:9], v[22:23]
	s_waitcnt lgkmcnt(0)
	v_mul_f64 v[20:21], v[62:63], v[10:11]
	v_mul_f64 v[10:11], v[60:61], v[10:11]
	v_add_f64 v[12:13], v[58:59], v[12:13]
	v_add_f64 v[34:35], v[16:17], v[34:35]
	v_fma_f64 v[24:25], v[24:25], v[4:5], -v[36:37]
	v_fma_f64 v[26:27], v[26:27], v[4:5], v[38:39]
	v_add_f64 v[14:15], v[0:1], v[14:15]
	v_fma_f64 v[20:21], v[60:61], v[8:9], -v[20:21]
	v_fma_f64 v[22:23], v[62:63], v[8:9], v[10:11]
	v_mul_f64 v[8:9], v[62:63], v[6:7]
	v_mul_f64 v[6:7], v[60:61], v[6:7]
	v_add_f64 v[58:59], v[18:19], v[24:25]
	v_add_f64 v[0:1], v[26:27], v[50:51]
	;; [unrolled: 1-line block ×4, first 2 shown]
	v_fma_f64 v[32:33], v[60:61], v[4:5], -v[8:9]
	v_fma_f64 v[36:37], v[62:63], v[4:5], v[6:7]
	ds_read_b128 v[4:7], v28 offset:320
	ds_read_b128 v[8:11], v30 offset:10240
	;; [unrolled: 1-line block ×4, first 2 shown]
	s_waitcnt lgkmcnt(2)
	v_mul_f64 v[38:39], v[6:7], v[10:11]
	v_mul_f64 v[40:41], v[4:5], v[10:11]
	s_waitcnt lgkmcnt(1)
	v_mul_f64 v[50:51], v[6:7], v[18:19]
	v_add_f64 v[56:57], v[36:37], v[12:13]
	v_mul_f64 v[12:13], v[4:5], v[18:19]
	v_add_f64 v[32:33], v[54:55], v[32:33]
	v_fma_f64 v[38:39], v[4:5], v[8:9], -v[38:39]
	v_fma_f64 v[40:41], v[6:7], v[8:9], v[40:41]
	v_fma_f64 v[4:5], v[4:5], v[16:17], -v[50:51]
	v_fma_f64 v[6:7], v[6:7], v[16:17], v[12:13]
	v_add_f64 v[52:53], v[34:35], v[38:39]
	s_waitcnt lgkmcnt(0)
	v_mul_f64 v[34:35], v[26:27], v[10:11]
	v_add_f64 v[54:55], v[40:41], v[14:15]
	v_mul_f64 v[10:11], v[24:25], v[10:11]
	v_mul_f64 v[14:15], v[26:27], v[18:19]
	;; [unrolled: 1-line block ×3, first 2 shown]
	v_add_f64 v[50:51], v[58:59], v[4:5]
	v_fma_f64 v[36:37], v[24:25], v[8:9], -v[34:35]
	v_add_f64 v[34:35], v[6:7], v[0:1]
	v_fma_f64 v[38:39], v[26:27], v[8:9], v[10:11]
	v_fma_f64 v[58:59], v[24:25], v[16:17], -v[14:15]
	ds_read_b128 v[12:15], v28 offset:336
	ds_read_b128 v[8:11], v30 offset:10752
	;; [unrolled: 1-line block ×3, first 2 shown]
	v_fma_f64 v[40:41], v[26:27], v[16:17], v[18:19]
	ds_read_b128 v[16:19], v28 offset:8528
	v_add_f64 v[62:63], v[20:21], v[36:37]
	s_waitcnt lgkmcnt(2)
	v_mul_f64 v[0:1], v[14:15], v[10:11]
	s_waitcnt lgkmcnt(1)
	v_mul_f64 v[36:37], v[14:15], v[6:7]
	v_mul_f64 v[24:25], v[12:13], v[10:11]
	;; [unrolled: 1-line block ×3, first 2 shown]
	v_add_f64 v[60:61], v[38:39], v[22:23]
	v_add_f64 v[58:59], v[32:33], v[58:59]
	;; [unrolled: 1-line block ×3, first 2 shown]
	v_fma_f64 v[0:1], v[12:13], v[8:9], -v[0:1]
	v_fma_f64 v[12:13], v[12:13], v[4:5], -v[36:37]
	v_fma_f64 v[20:21], v[14:15], v[8:9], v[24:25]
	s_waitcnt lgkmcnt(0)
	v_mul_f64 v[24:25], v[18:19], v[10:11]
	v_mul_f64 v[10:11], v[16:17], v[10:11]
	v_fma_f64 v[14:15], v[14:15], v[4:5], v[26:27]
	v_add_f64 v[32:33], v[52:53], v[0:1]
	v_mul_f64 v[0:1], v[18:19], v[6:7]
	v_add_f64 v[38:39], v[50:51], v[12:13]
	v_mul_f64 v[12:13], v[16:17], v[6:7]
	v_fma_f64 v[36:37], v[16:17], v[8:9], -v[24:25]
	v_fma_f64 v[10:11], v[18:19], v[8:9], v[10:11]
	ds_read_b128 v[6:9], v28 offset:352
	ds_read_b128 v[24:27], v30 offset:11264
	v_add_f64 v[40:41], v[14:15], v[34:35]
	v_add_f64 v[20:21], v[20:21], v[54:55]
	v_fma_f64 v[14:15], v[16:17], v[4:5], -v[0:1]
	ds_read_b128 v[54:57], v28 offset:8544
	v_fma_f64 v[4:5], v[18:19], v[4:5], v[12:13]
	s_waitcnt lgkmcnt(1)
	v_mul_f64 v[16:17], v[8:9], v[26:27]
	v_mul_f64 v[18:19], v[6:7], v[26:27]
	v_add_f64 v[0:1], v[62:63], v[36:37]
	ds_read_b128 v[34:37], v30 offset:11520
	v_add_f64 v[60:61], v[10:11], v[60:61]
	v_add_f64 v[62:63], v[58:59], v[14:15]
	;; [unrolled: 1-line block ×3, first 2 shown]
	s_waitcnt lgkmcnt(0)
	v_mul_f64 v[10:11], v[8:9], v[36:37]
	v_mul_f64 v[14:15], v[6:7], v[36:37]
	v_fma_f64 v[4:5], v[6:7], v[24:25], -v[16:17]
	v_fma_f64 v[18:19], v[8:9], v[24:25], v[18:19]
	v_mul_f64 v[22:23], v[56:57], v[26:27]
	v_fma_f64 v[6:7], v[6:7], v[34:35], -v[10:11]
	v_fma_f64 v[8:9], v[8:9], v[34:35], v[14:15]
	v_mul_f64 v[10:11], v[54:55], v[26:27]
	v_add_f64 v[16:17], v[32:33], v[4:5]
	v_add_f64 v[14:15], v[18:19], v[20:21]
	v_fma_f64 v[4:5], v[54:55], v[24:25], -v[22:23]
	v_mul_f64 v[20:21], v[56:57], v[36:37]
	v_mul_f64 v[22:23], v[54:55], v[36:37]
	v_add_f64 v[18:19], v[38:39], v[6:7]
	v_add_f64 v[50:51], v[8:9], v[40:41]
	v_fma_f64 v[32:33], v[56:57], v[24:25], v[10:11]
	ds_read_b128 v[24:27], v28 offset:368
	ds_read_b128 v[8:11], v30 offset:11776
	v_add_f64 v[52:53], v[0:1], v[4:5]
	v_fma_f64 v[0:1], v[54:55], v[34:35], -v[20:21]
	ds_read_b128 v[4:7], v30 offset:12032
	s_waitcnt lgkmcnt(1)
	v_mul_f64 v[20:21], v[26:27], v[10:11]
	v_fma_f64 v[58:59], v[56:57], v[34:35], v[22:23]
	v_add_f64 v[56:57], v[32:33], v[60:61]
	v_mul_f64 v[22:23], v[24:25], v[10:11]
	v_add_f64 v[54:55], v[62:63], v[0:1]
	ds_read_b128 v[60:63], v28 offset:8560
	v_fma_f64 v[34:35], v[24:25], v[8:9], -v[20:21]
	s_waitcnt lgkmcnt(1)
	v_mul_f64 v[36:37], v[26:27], v[6:7]
	v_mul_f64 v[38:39], v[24:25], v[6:7]
	v_fma_f64 v[0:1], v[26:27], v[8:9], v[22:23]
	s_waitcnt lgkmcnt(0)
	v_mul_f64 v[20:21], v[62:63], v[10:11]
	v_mul_f64 v[10:11], v[60:61], v[10:11]
	v_add_f64 v[12:13], v[58:59], v[12:13]
	v_add_f64 v[34:35], v[16:17], v[34:35]
	v_fma_f64 v[24:25], v[24:25], v[4:5], -v[36:37]
	v_fma_f64 v[26:27], v[26:27], v[4:5], v[38:39]
	v_add_f64 v[14:15], v[0:1], v[14:15]
	v_fma_f64 v[20:21], v[60:61], v[8:9], -v[20:21]
	v_fma_f64 v[22:23], v[62:63], v[8:9], v[10:11]
	v_mul_f64 v[8:9], v[62:63], v[6:7]
	v_mul_f64 v[6:7], v[60:61], v[6:7]
	v_add_f64 v[58:59], v[18:19], v[24:25]
	v_add_f64 v[0:1], v[26:27], v[50:51]
	;; [unrolled: 1-line block ×4, first 2 shown]
	v_fma_f64 v[32:33], v[60:61], v[4:5], -v[8:9]
	v_fma_f64 v[36:37], v[62:63], v[4:5], v[6:7]
	ds_read_b128 v[4:7], v28 offset:384
	ds_read_b128 v[8:11], v30 offset:12288
	;; [unrolled: 1-line block ×4, first 2 shown]
	s_waitcnt lgkmcnt(2)
	v_mul_f64 v[38:39], v[6:7], v[10:11]
	v_mul_f64 v[40:41], v[4:5], v[10:11]
	s_waitcnt lgkmcnt(1)
	v_mul_f64 v[50:51], v[6:7], v[18:19]
	v_add_f64 v[56:57], v[36:37], v[12:13]
	v_mul_f64 v[12:13], v[4:5], v[18:19]
	v_add_f64 v[32:33], v[54:55], v[32:33]
	v_fma_f64 v[38:39], v[4:5], v[8:9], -v[38:39]
	v_fma_f64 v[40:41], v[6:7], v[8:9], v[40:41]
	v_fma_f64 v[4:5], v[4:5], v[16:17], -v[50:51]
	v_fma_f64 v[6:7], v[6:7], v[16:17], v[12:13]
	v_add_f64 v[52:53], v[34:35], v[38:39]
	s_waitcnt lgkmcnt(0)
	v_mul_f64 v[34:35], v[26:27], v[10:11]
	v_add_f64 v[54:55], v[40:41], v[14:15]
	v_mul_f64 v[10:11], v[24:25], v[10:11]
	v_mul_f64 v[14:15], v[26:27], v[18:19]
	;; [unrolled: 1-line block ×3, first 2 shown]
	v_add_f64 v[50:51], v[58:59], v[4:5]
	v_fma_f64 v[36:37], v[24:25], v[8:9], -v[34:35]
	v_add_f64 v[34:35], v[6:7], v[0:1]
	v_fma_f64 v[38:39], v[26:27], v[8:9], v[10:11]
	v_fma_f64 v[58:59], v[24:25], v[16:17], -v[14:15]
	ds_read_b128 v[12:15], v28 offset:400
	ds_read_b128 v[8:11], v30 offset:12800
	;; [unrolled: 1-line block ×3, first 2 shown]
	v_fma_f64 v[40:41], v[26:27], v[16:17], v[18:19]
	ds_read_b128 v[16:19], v28 offset:8592
	v_add_f64 v[62:63], v[20:21], v[36:37]
	s_waitcnt lgkmcnt(2)
	v_mul_f64 v[0:1], v[14:15], v[10:11]
	s_waitcnt lgkmcnt(1)
	v_mul_f64 v[36:37], v[14:15], v[6:7]
	v_mul_f64 v[24:25], v[12:13], v[10:11]
	;; [unrolled: 1-line block ×3, first 2 shown]
	v_add_f64 v[60:61], v[38:39], v[22:23]
	v_add_f64 v[58:59], v[32:33], v[58:59]
	;; [unrolled: 1-line block ×3, first 2 shown]
	v_fma_f64 v[0:1], v[12:13], v[8:9], -v[0:1]
	v_fma_f64 v[12:13], v[12:13], v[4:5], -v[36:37]
	v_fma_f64 v[20:21], v[14:15], v[8:9], v[24:25]
	s_waitcnt lgkmcnt(0)
	v_mul_f64 v[24:25], v[18:19], v[10:11]
	v_mul_f64 v[10:11], v[16:17], v[10:11]
	v_fma_f64 v[14:15], v[14:15], v[4:5], v[26:27]
	v_add_f64 v[32:33], v[52:53], v[0:1]
	v_mul_f64 v[0:1], v[18:19], v[6:7]
	v_add_f64 v[38:39], v[50:51], v[12:13]
	v_mul_f64 v[12:13], v[16:17], v[6:7]
	v_fma_f64 v[36:37], v[16:17], v[8:9], -v[24:25]
	v_fma_f64 v[10:11], v[18:19], v[8:9], v[10:11]
	ds_read_b128 v[6:9], v28 offset:416
	ds_read_b128 v[24:27], v30 offset:13312
	v_add_f64 v[40:41], v[14:15], v[34:35]
	v_add_f64 v[20:21], v[20:21], v[54:55]
	v_fma_f64 v[14:15], v[16:17], v[4:5], -v[0:1]
	ds_read_b128 v[54:57], v28 offset:8608
	v_fma_f64 v[4:5], v[18:19], v[4:5], v[12:13]
	s_waitcnt lgkmcnt(1)
	v_mul_f64 v[16:17], v[8:9], v[26:27]
	v_mul_f64 v[18:19], v[6:7], v[26:27]
	v_add_f64 v[0:1], v[62:63], v[36:37]
	ds_read_b128 v[34:37], v30 offset:13568
	v_add_f64 v[60:61], v[10:11], v[60:61]
	v_add_f64 v[62:63], v[58:59], v[14:15]
	;; [unrolled: 1-line block ×3, first 2 shown]
	s_waitcnt lgkmcnt(0)
	v_mul_f64 v[10:11], v[8:9], v[36:37]
	v_mul_f64 v[14:15], v[6:7], v[36:37]
	v_fma_f64 v[4:5], v[6:7], v[24:25], -v[16:17]
	v_fma_f64 v[18:19], v[8:9], v[24:25], v[18:19]
	v_mul_f64 v[22:23], v[56:57], v[26:27]
	v_fma_f64 v[6:7], v[6:7], v[34:35], -v[10:11]
	v_fma_f64 v[8:9], v[8:9], v[34:35], v[14:15]
	v_mul_f64 v[10:11], v[54:55], v[26:27]
	v_add_f64 v[16:17], v[32:33], v[4:5]
	v_add_f64 v[14:15], v[18:19], v[20:21]
	v_fma_f64 v[4:5], v[54:55], v[24:25], -v[22:23]
	v_mul_f64 v[20:21], v[56:57], v[36:37]
	v_mul_f64 v[22:23], v[54:55], v[36:37]
	v_add_f64 v[18:19], v[38:39], v[6:7]
	v_add_f64 v[50:51], v[8:9], v[40:41]
	v_fma_f64 v[32:33], v[56:57], v[24:25], v[10:11]
	ds_read_b128 v[24:27], v28 offset:432
	ds_read_b128 v[8:11], v30 offset:13824
	v_add_f64 v[52:53], v[0:1], v[4:5]
	v_fma_f64 v[0:1], v[54:55], v[34:35], -v[20:21]
	ds_read_b128 v[4:7], v30 offset:14080
	s_waitcnt lgkmcnt(1)
	v_mul_f64 v[20:21], v[26:27], v[10:11]
	v_fma_f64 v[58:59], v[56:57], v[34:35], v[22:23]
	v_add_f64 v[56:57], v[32:33], v[60:61]
	v_mul_f64 v[22:23], v[24:25], v[10:11]
	v_add_f64 v[54:55], v[62:63], v[0:1]
	ds_read_b128 v[60:63], v28 offset:8624
	v_fma_f64 v[34:35], v[24:25], v[8:9], -v[20:21]
	s_waitcnt lgkmcnt(1)
	v_mul_f64 v[36:37], v[26:27], v[6:7]
	v_mul_f64 v[38:39], v[24:25], v[6:7]
	v_fma_f64 v[0:1], v[26:27], v[8:9], v[22:23]
	s_waitcnt lgkmcnt(0)
	v_mul_f64 v[20:21], v[62:63], v[10:11]
	v_mul_f64 v[10:11], v[60:61], v[10:11]
	v_add_f64 v[12:13], v[58:59], v[12:13]
	v_add_f64 v[34:35], v[16:17], v[34:35]
	v_fma_f64 v[24:25], v[24:25], v[4:5], -v[36:37]
	v_fma_f64 v[26:27], v[26:27], v[4:5], v[38:39]
	v_add_f64 v[14:15], v[0:1], v[14:15]
	v_fma_f64 v[20:21], v[60:61], v[8:9], -v[20:21]
	v_fma_f64 v[22:23], v[62:63], v[8:9], v[10:11]
	v_mul_f64 v[8:9], v[62:63], v[6:7]
	v_mul_f64 v[6:7], v[60:61], v[6:7]
	v_add_f64 v[58:59], v[18:19], v[24:25]
	v_add_f64 v[0:1], v[26:27], v[50:51]
	;; [unrolled: 1-line block ×4, first 2 shown]
	v_fma_f64 v[32:33], v[60:61], v[4:5], -v[8:9]
	v_fma_f64 v[36:37], v[62:63], v[4:5], v[6:7]
	ds_read_b128 v[4:7], v28 offset:448
	ds_read_b128 v[8:11], v30 offset:14336
	;; [unrolled: 1-line block ×4, first 2 shown]
	s_waitcnt lgkmcnt(2)
	v_mul_f64 v[38:39], v[6:7], v[10:11]
	v_mul_f64 v[40:41], v[4:5], v[10:11]
	s_waitcnt lgkmcnt(1)
	v_mul_f64 v[50:51], v[6:7], v[18:19]
	v_add_f64 v[56:57], v[36:37], v[12:13]
	v_mul_f64 v[12:13], v[4:5], v[18:19]
	v_add_f64 v[32:33], v[54:55], v[32:33]
	v_fma_f64 v[38:39], v[4:5], v[8:9], -v[38:39]
	v_fma_f64 v[40:41], v[6:7], v[8:9], v[40:41]
	v_fma_f64 v[4:5], v[4:5], v[16:17], -v[50:51]
	v_fma_f64 v[6:7], v[6:7], v[16:17], v[12:13]
	v_add_f64 v[52:53], v[34:35], v[38:39]
	s_waitcnt lgkmcnt(0)
	v_mul_f64 v[34:35], v[26:27], v[10:11]
	v_add_f64 v[54:55], v[40:41], v[14:15]
	v_mul_f64 v[10:11], v[24:25], v[10:11]
	v_mul_f64 v[14:15], v[26:27], v[18:19]
	v_add_f64 v[50:51], v[58:59], v[4:5]
	v_mul_f64 v[18:19], v[24:25], v[18:19]
	v_fma_f64 v[36:37], v[24:25], v[8:9], -v[34:35]
	v_add_f64 v[34:35], v[6:7], v[0:1]
	v_fma_f64 v[38:39], v[26:27], v[8:9], v[10:11]
	v_fma_f64 v[58:59], v[24:25], v[16:17], -v[14:15]
	ds_read_b128 v[12:15], v28 offset:464
	ds_read_b128 v[8:11], v30 offset:14848
	;; [unrolled: 1-line block ×3, first 2 shown]
	v_fma_f64 v[40:41], v[26:27], v[16:17], v[18:19]
	ds_read_b128 v[16:19], v28 offset:8656
	v_add_f64 v[62:63], v[20:21], v[36:37]
	s_waitcnt lgkmcnt(2)
	v_mul_f64 v[0:1], v[14:15], v[10:11]
	v_mul_f64 v[24:25], v[12:13], v[10:11]
	s_waitcnt lgkmcnt(1)
	v_mul_f64 v[36:37], v[14:15], v[6:7]
	v_mul_f64 v[26:27], v[12:13], v[6:7]
	v_add_f64 v[58:59], v[32:33], v[58:59]
	v_add_f64 v[60:61], v[38:39], v[22:23]
	v_add_f64 v[22:23], v[40:41], v[56:57]
	v_fma_f64 v[0:1], v[12:13], v[8:9], -v[0:1]
	v_fma_f64 v[20:21], v[14:15], v[8:9], v[24:25]
	s_waitcnt lgkmcnt(0)
	v_mul_f64 v[24:25], v[18:19], v[10:11]
	v_fma_f64 v[12:13], v[12:13], v[4:5], -v[36:37]
	v_fma_f64 v[14:15], v[14:15], v[4:5], v[26:27]
	v_mul_f64 v[10:11], v[16:17], v[10:11]
	v_mul_f64 v[36:37], v[16:17], v[6:7]
	v_add_f64 v[32:33], v[52:53], v[0:1]
	v_mul_f64 v[0:1], v[18:19], v[6:7]
	v_fma_f64 v[24:25], v[16:17], v[8:9], -v[24:25]
	v_add_f64 v[38:39], v[50:51], v[12:13]
	v_add_f64 v[14:15], v[14:15], v[34:35]
	v_fma_f64 v[34:35], v[18:19], v[8:9], v[10:11]
	ds_read_b128 v[6:9], v28 offset:480
	ds_read_b128 v[10:13], v30 offset:15360
	v_add_f64 v[20:21], v[20:21], v[54:55]
	v_fma_f64 v[16:17], v[16:17], v[4:5], -v[0:1]
	v_add_f64 v[0:1], v[62:63], v[24:25]
	ds_read_b128 v[24:27], v30 offset:15616
	v_fma_f64 v[4:5], v[18:19], v[4:5], v[36:37]
	s_waitcnt lgkmcnt(1)
	v_mul_f64 v[18:19], v[8:9], v[12:13]
	v_mul_f64 v[40:41], v[6:7], v[12:13]
	v_add_f64 v[62:63], v[34:35], v[60:61]
	ds_read_b128 v[34:37], v28 offset:8672
	v_add_f64 v[58:59], v[58:59], v[16:17]
	s_waitcnt lgkmcnt(1)
	v_mul_f64 v[16:17], v[6:7], v[26:27]
	v_mul_f64 v[50:51], v[8:9], v[26:27]
	v_add_f64 v[52:53], v[4:5], v[22:23]
	v_fma_f64 v[4:5], v[6:7], v[10:11], -v[18:19]
	s_waitcnt lgkmcnt(0)
	v_mul_f64 v[22:23], v[36:37], v[12:13]
	v_fma_f64 v[18:19], v[8:9], v[10:11], v[40:41]
	v_mul_f64 v[12:13], v[34:35], v[12:13]
	v_fma_f64 v[8:9], v[8:9], v[24:25], v[16:17]
	v_fma_f64 v[6:7], v[6:7], v[24:25], -v[50:51]
	v_add_f64 v[16:17], v[32:33], v[4:5]
	v_fma_f64 v[4:5], v[34:35], v[10:11], -v[22:23]
	v_mul_f64 v[32:33], v[36:37], v[26:27]
	v_mul_f64 v[26:27], v[34:35], v[26:27]
	v_add_f64 v[18:19], v[18:19], v[20:21]
	v_add_f64 v[56:57], v[8:9], v[14:15]
	v_fma_f64 v[12:13], v[36:37], v[10:11], v[12:13]
	ds_read_b128 v[20:23], v28 offset:496
	ds_read_b128 v[8:11], v30 offset:15872
	v_add_f64 v[50:51], v[38:39], v[6:7]
	v_add_f64 v[60:61], v[0:1], v[4:5]
	v_fma_f64 v[0:1], v[34:35], v[24:25], -v[32:33]
	v_fma_f64 v[54:55], v[36:37], v[24:25], v[26:27]
	s_waitcnt lgkmcnt(0)
	v_mul_f64 v[24:25], v[22:23], v[10:11]
	v_mul_f64 v[26:27], v[20:21], v[10:11]
	ds_read_b128 v[4:7], v30 offset:16128
	v_add_f64 v[34:35], v[12:13], v[62:63]
	ds_read_b128 v[12:15], v28 offset:8688
	s_waitcnt lgkmcnt(0)
	v_add_f64 v[62:63], v[58:59], v[0:1]
	v_mul_f64 v[32:33], v[22:23], v[6:7]
	v_fma_f64 v[0:1], v[20:21], v[8:9], -v[24:25]
	v_fma_f64 v[24:25], v[22:23], v[8:9], v[26:27]
	v_mul_f64 v[26:27], v[14:15], v[10:11]
	v_mul_f64 v[10:11], v[12:13], v[10:11]
	;; [unrolled: 1-line block ×3, first 2 shown]
	s_barrier
	v_fma_f64 v[20:21], v[20:21], v[4:5], -v[32:33]
	v_add_f64 v[32:33], v[54:55], v[52:53]
	v_add_f64 v[58:59], v[24:25], v[18:19]
	v_fma_f64 v[26:27], v[12:13], v[8:9], -v[26:27]
	v_fma_f64 v[8:9], v[14:15], v[8:9], v[10:11]
	v_mul_f64 v[10:11], v[14:15], v[6:7]
	v_mul_f64 v[6:7], v[12:13], v[6:7]
	v_fma_f64 v[22:23], v[22:23], v[4:5], v[36:37]
	v_add_f64 v[54:55], v[50:51], v[20:21]
	v_add_f64 v[18:19], v[60:61], v[26:27]
	;; [unrolled: 1-line block ×3, first 2 shown]
	v_fma_f64 v[10:11], v[12:13], v[4:5], -v[10:11]
	v_fma_f64 v[4:5], v[14:15], v[4:5], v[6:7]
	v_add_f64 v[6:7], v[16:17], v[0:1]
	v_add_f64 v[56:57], v[22:23], v[56:57]
	v_mov_b32_e32 v0, s43
	v_addc_co_u32_e32 v49, vcc, v49, v0, vcc
	v_add_co_u32_e32 v46, vcc, s42, v46
	v_add_f64 v[16:17], v[62:63], v[10:11]
	v_add_f64 v[50:51], v[4:5], v[32:33]
	v_addc_co_u32_e32 v47, vcc, v47, v0, vcc
	v_add_co_u32_e32 v44, vcc, 0x200, v44
	v_addc_co_u32_e32 v45, vcc, 0, v45, vcc
	s_cbranch_scc1 .LBB111_56
.LBB111_7:                              ;   Parent Loop BB111_4 Depth=1
                                        ; =>  This Inner Loop Header: Depth=2
	buffer_load_dword v4, off, s[64:67], 0 offset:16 ; 4-byte Folded Reload
	buffer_load_dword v5, off, s[64:67], 0 offset:20 ; 4-byte Folded Reload
	v_mov_b32_e32 v1, s21
	s_waitcnt vmcnt(1)
	v_add_co_u32_e32 v0, vcc, s20, v4
	s_waitcnt vmcnt(0)
	v_addc_co_u32_e32 v1, vcc, v5, v1, vcc
	buffer_load_dword v4, off, s[64:67], 0  ; 4-byte Folded Reload
	buffer_load_dword v5, off, s[64:67], 0 offset:4 ; 4-byte Folded Reload
	v_cmp_le_i64_e64 s[12:13], s[38:39], v[0:1]
	s_waitcnt vmcnt(1)
	v_add_co_u32_e32 v8, vcc, v46, v4
	s_waitcnt vmcnt(0)
	v_addc_co_u32_e32 v9, vcc, v47, v5, vcc
	buffer_load_dword v4, off, s[64:67], 0 offset:32 ; 4-byte Folded Reload
	buffer_load_dword v5, off, s[64:67], 0 offset:36 ; 4-byte Folded Reload
	s_waitcnt vmcnt(0)
	v_cmp_eq_u64_e64 s[16:17], s[20:21], v[4:5]
	buffer_load_dword v4, off, s[64:67], 0 offset:8 ; 4-byte Folded Reload
	buffer_load_dword v5, off, s[64:67], 0 offset:12 ; 4-byte Folded Reload
	s_and_b64 s[48:49], s[36:37], s[16:17]
	s_waitcnt vmcnt(0)
	v_cmp_lt_i64_e32 vcc, v[0:1], v[4:5]
	s_or_b64 s[16:17], s[12:13], vcc
	s_or_b64 s[16:17], s[16:17], s[48:49]
	s_nor_b64 s[16:17], s[0:1], s[16:17]
	s_and_saveexec_b64 s[18:19], s[16:17]
	s_xor_b64 s[16:17], exec, s[18:19]
	s_cbranch_execz .LBB111_9
; %bb.8:                                ;   in Loop: Header=BB111_7 Depth=2
	global_load_dwordx4 v[10:13], v[8:9], off offset:-256
	s_waitcnt vmcnt(0)
	ds_write2_b64 v31, v[10:11], v[12:13] offset1:1
.LBB111_9:                              ;   in Loop: Header=BB111_7 Depth=2
	s_or_saveexec_b64 s[16:17], s[16:17]
	s_xor_b64 s[22:23], s[48:49], -1
	s_xor_b64 exec, exec, s[16:17]
	s_cbranch_execz .LBB111_15
; %bb.10:                               ;   in Loop: Header=BB111_7 Depth=2
	s_and_saveexec_b64 s[18:19], s[22:23]
	s_xor_b64 s[18:19], exec, s[18:19]
; %bb.11:                               ;   in Loop: Header=BB111_7 Depth=2
	v_mov_b32_e32 v10, v2
	v_mov_b32_e32 v11, v2
	;; [unrolled: 1-line block ×4, first 2 shown]
	ds_write_b128 v31, v[10:13]
; %bb.12:                               ;   in Loop: Header=BB111_7 Depth=2
	s_andn2_saveexec_b64 s[18:19], s[18:19]
; %bb.13:                               ;   in Loop: Header=BB111_7 Depth=2
	v_mov_b32_e32 v4, v2
	v_mov_b32_e32 v5, v2
	ds_write_b128 v31, v[2:5]
; %bb.14:                               ;   in Loop: Header=BB111_7 Depth=2
	s_or_b64 exec, exec, s[18:19]
.LBB111_15:                             ;   in Loop: Header=BB111_7 Depth=2
	s_or_b64 exec, exec, s[16:17]
	buffer_load_dword v4, off, s[64:67], 0 offset:40 ; 4-byte Folded Reload
	buffer_load_dword v5, off, s[64:67], 0 offset:44 ; 4-byte Folded Reload
	s_waitcnt vmcnt(0)
	v_cmp_eq_u64_e64 s[16:17], s[20:21], v[4:5]
	buffer_load_dword v4, off, s[64:67], 0 offset:24 ; 4-byte Folded Reload
	buffer_load_dword v5, off, s[64:67], 0 offset:28 ; 4-byte Folded Reload
	s_and_b64 s[16:17], s[36:37], s[16:17]
	s_waitcnt vmcnt(0)
	v_cmp_gt_i64_e64 s[18:19], v[4:5], v[0:1]
	s_or_b64 s[12:13], s[12:13], s[18:19]
	s_or_b64 s[12:13], s[12:13], s[16:17]
	s_nor_b64 s[12:13], s[2:3], s[12:13]
	s_and_saveexec_b64 s[18:19], s[12:13]
	s_xor_b64 s[12:13], exec, s[18:19]
	s_cbranch_execz .LBB111_17
; %bb.16:                               ;   in Loop: Header=BB111_7 Depth=2
	global_load_dwordx4 v[8:11], v[8:9], off
	v_add_u32_e32 v4, 0x100, v31
	s_waitcnt vmcnt(0)
	ds_write2_b64 v4, v[8:9], v[10:11] offset1:1
.LBB111_17:                             ;   in Loop: Header=BB111_7 Depth=2
	s_andn2_saveexec_b64 s[12:13], s[12:13]
	s_cbranch_execz .LBB111_23
; %bb.18:                               ;   in Loop: Header=BB111_7 Depth=2
	s_xor_b64 s[16:17], s[16:17], -1
	s_and_saveexec_b64 s[18:19], s[16:17]
	s_xor_b64 s[16:17], exec, s[18:19]
; %bb.19:                               ;   in Loop: Header=BB111_7 Depth=2
	v_mov_b32_e32 v8, v2
	v_mov_b32_e32 v9, v2
	;; [unrolled: 1-line block ×4, first 2 shown]
	ds_write_b128 v31, v[8:11] offset:256
; %bb.20:                               ;   in Loop: Header=BB111_7 Depth=2
	s_andn2_saveexec_b64 s[16:17], s[16:17]
; %bb.21:                               ;   in Loop: Header=BB111_7 Depth=2
	v_mov_b32_e32 v4, v2
	v_mov_b32_e32 v5, v2
	ds_write_b128 v31, v[2:5] offset:256
; %bb.22:                               ;   in Loop: Header=BB111_7 Depth=2
	s_or_b64 exec, exec, s[16:17]
.LBB111_23:                             ;   in Loop: Header=BB111_7 Depth=2
	s_or_b64 exec, exec, s[12:13]
	v_add_co_u32_e64 v4, s[12:13], 16, v0
	v_addc_co_u32_e64 v5, s[12:13], 0, v1, s[12:13]
	buffer_load_dword v0, off, s[64:67], 0  ; 4-byte Folded Reload
	buffer_load_dword v1, off, s[64:67], 0 offset:4 ; 4-byte Folded Reload
	buffer_load_dword v8, off, s[64:67], 0 offset:48 ; 4-byte Folded Reload
	;; [unrolled: 1-line block ×3, first 2 shown]
	v_cmp_le_i64_e64 s[12:13], s[38:39], v[4:5]
	s_waitcnt vmcnt(3)
	v_add_co_u32_e64 v0, s[16:17], v48, v0
	s_waitcnt vmcnt(2)
	v_addc_co_u32_e64 v1, s[16:17], v49, v1, s[16:17]
	s_waitcnt vmcnt(0)
	v_cmp_eq_u64_e64 s[16:17], s[20:21], v[8:9]
	buffer_load_dword v8, off, s[64:67], 0 offset:8 ; 4-byte Folded Reload
	buffer_load_dword v9, off, s[64:67], 0 offset:12 ; 4-byte Folded Reload
	s_and_b64 s[54:55], s[36:37], s[16:17]
	s_waitcnt vmcnt(0)
	v_cmp_lt_i64_e64 s[18:19], v[4:5], v[8:9]
	s_or_b64 s[16:17], s[12:13], s[18:19]
	s_or_b64 s[16:17], s[16:17], s[54:55]
	s_nor_b64 s[16:17], s[0:1], s[16:17]
	s_and_saveexec_b64 s[18:19], s[16:17]
	s_xor_b64 s[16:17], exec, s[18:19]
	s_cbranch_execz .LBB111_25
; %bb.24:                               ;   in Loop: Header=BB111_7 Depth=2
	global_load_dwordx4 v[8:11], v[0:1], off offset:-256
	v_add_u32_e32 v4, 0x2000, v31
	s_waitcnt vmcnt(0)
	ds_write2_b64 v4, v[8:9], v[10:11] offset1:1
.LBB111_25:                             ;   in Loop: Header=BB111_7 Depth=2
	s_andn2_saveexec_b64 s[16:17], s[16:17]
	s_cbranch_execz .LBB111_31
; %bb.26:                               ;   in Loop: Header=BB111_7 Depth=2
	s_xor_b64 s[18:19], s[54:55], -1
	s_and_saveexec_b64 s[54:55], s[18:19]
	s_xor_b64 s[18:19], exec, s[54:55]
; %bb.27:                               ;   in Loop: Header=BB111_7 Depth=2
	v_mov_b32_e32 v8, v2
	v_mov_b32_e32 v9, v2
	;; [unrolled: 1-line block ×4, first 2 shown]
	ds_write_b128 v31, v[8:11] offset:8192
; %bb.28:                               ;   in Loop: Header=BB111_7 Depth=2
	s_andn2_saveexec_b64 s[18:19], s[18:19]
; %bb.29:                               ;   in Loop: Header=BB111_7 Depth=2
	v_mov_b32_e32 v4, v2
	v_mov_b32_e32 v5, v2
	ds_write_b128 v31, v[2:5] offset:8192
; %bb.30:                               ;   in Loop: Header=BB111_7 Depth=2
	s_or_b64 exec, exec, s[18:19]
.LBB111_31:                             ;   in Loop: Header=BB111_7 Depth=2
	s_or_b64 exec, exec, s[16:17]
	s_or_b64 s[12:13], s[12:13], vcc
	s_or_b64 s[12:13], s[12:13], s[48:49]
	s_nor_b64 s[12:13], s[2:3], s[12:13]
	s_and_saveexec_b64 s[16:17], s[12:13]
	s_xor_b64 s[12:13], exec, s[16:17]
	s_cbranch_execz .LBB111_33
; %bb.32:                               ;   in Loop: Header=BB111_7 Depth=2
	global_load_dwordx4 v[8:11], v[0:1], off
	v_add_u32_e32 v0, 0x2100, v31
	s_waitcnt vmcnt(0)
	ds_write2_b64 v0, v[8:9], v[10:11] offset1:1
.LBB111_33:                             ;   in Loop: Header=BB111_7 Depth=2
	s_andn2_saveexec_b64 s[12:13], s[12:13]
	s_cbranch_execz .LBB111_39
; %bb.34:                               ;   in Loop: Header=BB111_7 Depth=2
	s_and_saveexec_b64 s[16:17], s[22:23]
	s_xor_b64 s[16:17], exec, s[16:17]
; %bb.35:                               ;   in Loop: Header=BB111_7 Depth=2
	v_mov_b32_e32 v8, v2
	v_mov_b32_e32 v9, v2
	;; [unrolled: 1-line block ×4, first 2 shown]
	ds_write_b128 v31, v[8:11] offset:8448
; %bb.36:                               ;   in Loop: Header=BB111_7 Depth=2
	s_andn2_saveexec_b64 s[16:17], s[16:17]
; %bb.37:                               ;   in Loop: Header=BB111_7 Depth=2
	v_mov_b32_e32 v4, v2
	v_mov_b32_e32 v5, v2
	ds_write_b128 v31, v[2:5] offset:8448
; %bb.38:                               ;   in Loop: Header=BB111_7 Depth=2
	s_or_b64 exec, exec, s[16:17]
.LBB111_39:                             ;   in Loop: Header=BB111_7 Depth=2
	s_or_b64 exec, exec, s[12:13]
	buffer_load_dword v4, off, s[64:67], 0 offset:8 ; 4-byte Folded Reload
	buffer_load_dword v5, off, s[64:67], 0 offset:12 ; 4-byte Folded Reload
	v_mov_b32_e32 v1, s21
	s_waitcnt vmcnt(1)
	v_add_co_u32_e32 v0, vcc, s20, v4
	s_waitcnt vmcnt(0)
	v_addc_co_u32_e32 v1, vcc, v5, v1, vcc
	v_cmp_gt_i64_e32 vcc, s[38:39], v[0:1]
	s_and_b64 s[12:13], s[8:9], vcc
	s_xor_b64 s[12:13], s[12:13], -1
	s_and_saveexec_b64 s[16:17], s[12:13]
	s_xor_b64 s[12:13], exec, s[16:17]
; %bb.40:                               ;   in Loop: Header=BB111_7 Depth=2
	v_mov_b32_e32 v8, v2
	v_mov_b32_e32 v9, v2
	;; [unrolled: 1-line block ×4, first 2 shown]
	ds_write_b128 v29, v[8:11]
; %bb.41:                               ;   in Loop: Header=BB111_7 Depth=2
	s_or_saveexec_b64 s[16:17], s[12:13]
	buffer_load_dword v4, off, s[64:67], 0  ; 4-byte Folded Reload
	buffer_load_dword v5, off, s[64:67], 0 offset:4 ; 4-byte Folded Reload
	s_waitcnt vmcnt(1)
	v_add_co_u32_e64 v4, s[12:13], v42, v4
	s_waitcnt vmcnt(0)
	v_addc_co_u32_e64 v5, s[12:13], v43, v5, s[12:13]
	s_xor_b64 exec, exec, s[16:17]
	s_cbranch_execz .LBB111_43
; %bb.42:                               ;   in Loop: Header=BB111_7 Depth=2
	global_load_dwordx4 v[8:11], v[4:5], off offset:-256
	s_waitcnt vmcnt(0)
	ds_write2_b64 v29, v[8:9], v[10:11] offset1:1
.LBB111_43:                             ;   in Loop: Header=BB111_7 Depth=2
	s_or_b64 exec, exec, s[16:17]
	v_cmp_gt_i64_e64 s[12:13], s[52:53], v[0:1]
	s_and_b64 s[16:17], s[8:9], s[12:13]
	s_xor_b64 s[16:17], s[16:17], -1
	s_and_saveexec_b64 s[18:19], s[16:17]
	s_xor_b64 s[16:17], exec, s[18:19]
; %bb.44:                               ;   in Loop: Header=BB111_7 Depth=2
	v_mov_b32_e32 v8, v2
	v_mov_b32_e32 v9, v2
	;; [unrolled: 1-line block ×4, first 2 shown]
	ds_write_b128 v29, v[8:11] offset:256
                                        ; implicit-def: $vgpr4_vgpr5
; %bb.45:                               ;   in Loop: Header=BB111_7 Depth=2
	s_andn2_saveexec_b64 s[16:17], s[16:17]
	s_cbranch_execz .LBB111_47
; %bb.46:                               ;   in Loop: Header=BB111_7 Depth=2
	global_load_dwordx4 v[8:11], v[4:5], off
	v_add_u32_e32 v0, 0x100, v29
	s_waitcnt vmcnt(0)
	ds_write2_b64 v0, v[8:9], v[10:11] offset1:1
.LBB111_47:                             ;   in Loop: Header=BB111_7 Depth=2
	s_or_b64 exec, exec, s[16:17]
	s_and_b64 s[16:17], s[10:11], vcc
	s_xor_b64 s[16:17], s[16:17], -1
	s_and_saveexec_b64 s[18:19], s[16:17]
	s_xor_b64 s[16:17], exec, s[18:19]
; %bb.48:                               ;   in Loop: Header=BB111_7 Depth=2
	v_mov_b32_e32 v8, v2
	v_mov_b32_e32 v9, v2
	;; [unrolled: 1-line block ×4, first 2 shown]
	ds_write_b128 v29, v[8:11] offset:8192
; %bb.49:                               ;   in Loop: Header=BB111_7 Depth=2
	s_or_saveexec_b64 s[16:17], s[16:17]
	buffer_load_dword v0, off, s[64:67], 0  ; 4-byte Folded Reload
	buffer_load_dword v1, off, s[64:67], 0 offset:4 ; 4-byte Folded Reload
	s_waitcnt vmcnt(1)
	v_add_co_u32_e32 v0, vcc, v44, v0
	s_waitcnt vmcnt(0)
	v_addc_co_u32_e32 v1, vcc, v45, v1, vcc
	s_xor_b64 exec, exec, s[16:17]
	s_cbranch_execz .LBB111_51
; %bb.50:                               ;   in Loop: Header=BB111_7 Depth=2
	global_load_dwordx4 v[8:11], v[0:1], off
	v_add_u32_e32 v4, 0x2000, v29
	s_waitcnt vmcnt(0)
	ds_write2_b64 v4, v[8:9], v[10:11] offset1:1
.LBB111_51:                             ;   in Loop: Header=BB111_7 Depth=2
	s_or_b64 exec, exec, s[16:17]
	s_and_b64 s[12:13], s[10:11], s[12:13]
	s_xor_b64 s[12:13], s[12:13], -1
	s_and_saveexec_b64 s[16:17], s[12:13]
	s_xor_b64 s[12:13], exec, s[16:17]
; %bb.52:                               ;   in Loop: Header=BB111_7 Depth=2
	v_mov_b32_e32 v8, v2
	v_mov_b32_e32 v9, v2
	;; [unrolled: 1-line block ×4, first 2 shown]
	ds_write_b128 v29, v[8:11] offset:8448
                                        ; implicit-def: $vgpr0_vgpr1
; %bb.53:                               ;   in Loop: Header=BB111_7 Depth=2
	s_andn2_saveexec_b64 s[12:13], s[12:13]
	s_cbranch_execz .LBB111_6
; %bb.54:                               ;   in Loop: Header=BB111_7 Depth=2
	global_load_dwordx4 v[8:11], v[0:1], off offset:256
	v_add_u32_e32 v0, 0x2100, v29
	s_waitcnt vmcnt(0)
	ds_write2_b64 v0, v[8:9], v[10:11] offset1:1
	s_branch .LBB111_6
.LBB111_55:                             ;   in Loop: Header=BB111_4 Depth=1
	buffer_store_dword v6, off, s[64:67], 0 offset:60 ; 4-byte Folded Spill
	s_nop 0
	buffer_store_dword v7, off, s[64:67], 0 offset:64 ; 4-byte Folded Spill
	v_mov_b32_e32 v6, 0
	v_mov_b32_e32 v58, 0
	;; [unrolled: 1-line block ×16, first 2 shown]
.LBB111_56:                             ;   in Loop: Header=BB111_4 Depth=1
	buffer_load_dword v8, off, s[64:67], 0 offset:56 ; 4-byte Folded Reload
	buffer_load_dword v0, off, s[64:67], 0 offset:68 ; 4-byte Folded Reload
	s_waitcnt vmcnt(1)
	v_mul_lo_u32 v4, s41, v8
	s_waitcnt vmcnt(0)
	v_mul_lo_u32 v5, s40, v0
	v_mad_u64_u32 v[0:1], s[8:9], s40, v8, 0
	v_cmp_gt_i32_e32 vcc, s50, v8
	v_add3_u32 v1, v1, v5, v4
	v_lshlrev_b64 v[0:1], 4, v[0:1]
	v_mov_b32_e32 v4, s56
	v_add_co_u32_e64 v0, s[8:9], s51, v0
	v_addc_co_u32_e64 v1, s[8:9], v4, v1, s[8:9]
	s_and_b64 s[8:9], s[4:5], vcc
	s_and_saveexec_b64 s[10:11], s[8:9]
	s_cbranch_execz .LBB111_58
; %bb.57:                               ;   in Loop: Header=BB111_4 Depth=1
	buffer_load_dword v4, off, s[64:67], 0  ; 4-byte Folded Reload
	buffer_load_dword v5, off, s[64:67], 0 offset:4 ; 4-byte Folded Reload
	v_mul_f64 v[14:15], s[44:45], v[58:59]
	s_waitcnt vmcnt(1)
	v_add_co_u32_e64 v12, s[8:9], v0, v4
	s_waitcnt vmcnt(0)
	v_addc_co_u32_e64 v13, s[8:9], v1, v5, s[8:9]
	global_load_dwordx4 v[8:11], v[12:13], off
	v_mul_f64 v[4:5], s[46:47], v[58:59]
	v_fma_f64 v[4:5], s[44:45], v[6:7], -v[4:5]
	v_fma_f64 v[6:7], s[46:47], v[6:7], v[14:15]
	s_waitcnt vmcnt(0)
	v_add_f64 v[4:5], v[8:9], v[4:5]
	v_add_f64 v[6:7], v[6:7], v[10:11]
	global_store_dwordx4 v[12:13], v[4:7], off
.LBB111_58:                             ;   in Loop: Header=BB111_4 Depth=1
	s_or_b64 exec, exec, s[10:11]
	s_and_b64 s[10:11], s[14:15], vcc
	s_and_saveexec_b64 s[8:9], s[10:11]
	s_cbranch_execz .LBB111_60
; %bb.59:                               ;   in Loop: Header=BB111_4 Depth=1
	buffer_load_dword v4, off, s[64:67], 0 offset:76 ; 4-byte Folded Reload
	buffer_load_dword v5, off, s[64:67], 0 offset:80 ; 4-byte Folded Reload
	v_mul_f64 v[8:9], s[46:47], v[56:57]
	v_mul_f64 v[10:11], s[44:45], v[56:57]
	v_fma_f64 v[8:9], s[44:45], v[54:55], -v[8:9]
	v_fma_f64 v[10:11], s[46:47], v[54:55], v[10:11]
	s_waitcnt vmcnt(0)
	v_lshlrev_b64 v[4:5], 4, v[4:5]
	v_add_co_u32_e32 v0, vcc, v0, v4
	v_addc_co_u32_e32 v1, vcc, v1, v5, vcc
	global_load_dwordx4 v[4:7], v[0:1], off
	s_waitcnt vmcnt(0)
	v_add_f64 v[4:5], v[4:5], v[8:9]
	v_add_f64 v[6:7], v[10:11], v[6:7]
	global_store_dwordx4 v[0:1], v[4:7], off
.LBB111_60:                             ;   in Loop: Header=BB111_4 Depth=1
	s_or_b64 exec, exec, s[8:9]
	buffer_load_dword v0, off, s[64:67], 0 offset:56 ; 4-byte Folded Reload
	s_waitcnt vmcnt(0)
	v_add_u32_e32 v4, 16, v0
	v_ashrrev_i32_e32 v0, 31, v4
	v_mul_lo_u32 v5, s40, v0
	v_mul_lo_u32 v6, s41, v4
	v_mad_u64_u32 v[0:1], s[8:9], s40, v4, 0
	v_cmp_gt_i32_e32 vcc, s50, v4
	v_mov_b32_e32 v4, s56
	v_add3_u32 v1, v1, v5, v6
	v_lshlrev_b64 v[0:1], 4, v[0:1]
	v_add_co_u32_e64 v0, s[8:9], s51, v0
	v_addc_co_u32_e64 v1, s[8:9], v4, v1, s[8:9]
	s_and_b64 s[8:9], s[4:5], vcc
	s_and_saveexec_b64 s[10:11], s[8:9]
	s_cbranch_execz .LBB111_62
; %bb.61:                               ;   in Loop: Header=BB111_4 Depth=1
	buffer_load_dword v4, off, s[64:67], 0  ; 4-byte Folded Reload
	buffer_load_dword v5, off, s[64:67], 0 offset:4 ; 4-byte Folded Reload
	v_mul_f64 v[10:11], s[46:47], v[52:53]
	v_mul_f64 v[12:13], s[44:45], v[52:53]
	v_fma_f64 v[10:11], s[44:45], v[18:19], -v[10:11]
	v_fma_f64 v[12:13], s[46:47], v[18:19], v[12:13]
	s_waitcnt vmcnt(1)
	v_add_co_u32_e64 v8, s[8:9], v0, v4
	s_waitcnt vmcnt(0)
	v_addc_co_u32_e64 v9, s[8:9], v1, v5, s[8:9]
	global_load_dwordx4 v[4:7], v[8:9], off
	s_waitcnt vmcnt(0)
	v_add_f64 v[4:5], v[4:5], v[10:11]
	v_add_f64 v[6:7], v[12:13], v[6:7]
	global_store_dwordx4 v[8:9], v[4:7], off
.LBB111_62:                             ;   in Loop: Header=BB111_4 Depth=1
	s_or_b64 exec, exec, s[10:11]
	s_and_b64 s[10:11], s[14:15], vcc
	s_and_saveexec_b64 s[8:9], s[10:11]
	s_cbranch_execz .LBB111_3
; %bb.63:                               ;   in Loop: Header=BB111_4 Depth=1
	buffer_load_dword v4, off, s[64:67], 0 offset:76 ; 4-byte Folded Reload
	buffer_load_dword v5, off, s[64:67], 0 offset:80 ; 4-byte Folded Reload
	v_mul_f64 v[8:9], s[46:47], v[50:51]
	v_mul_f64 v[10:11], s[44:45], v[50:51]
	v_fma_f64 v[8:9], s[44:45], v[16:17], -v[8:9]
	v_fma_f64 v[10:11], s[46:47], v[16:17], v[10:11]
	s_waitcnt vmcnt(0)
	v_lshlrev_b64 v[4:5], 4, v[4:5]
	v_add_co_u32_e32 v0, vcc, v0, v4
	v_addc_co_u32_e32 v1, vcc, v1, v5, vcc
	global_load_dwordx4 v[4:7], v[0:1], off
	s_waitcnt vmcnt(0)
	v_add_f64 v[4:5], v[4:5], v[8:9]
	v_add_f64 v[6:7], v[10:11], v[6:7]
	global_store_dwordx4 v[0:1], v[4:7], off
	s_branch .LBB111_3
.LBB111_64:
	s_endpgm
	.section	.rodata,"a",@progbits
	.p2align	6, 0x0
	.amdhsa_kernel _ZL30rocblas_trmm_outofplace_kernelI19rocblas_complex_numIdELi32ELi2ELb1ELb1ELb0ELb0ES1_KS1_S1_Ev17rocblas_diagonal_iiT6_lPT7_lllS6_lllPT8_llli
		.amdhsa_group_segment_fixed_size 32768
		.amdhsa_private_segment_fixed_size 104
		.amdhsa_kernarg_size 400
		.amdhsa_user_sgpr_count 6
		.amdhsa_user_sgpr_private_segment_buffer 1
		.amdhsa_user_sgpr_dispatch_ptr 0
		.amdhsa_user_sgpr_queue_ptr 0
		.amdhsa_user_sgpr_kernarg_segment_ptr 1
		.amdhsa_user_sgpr_dispatch_id 0
		.amdhsa_user_sgpr_flat_scratch_init 0
		.amdhsa_user_sgpr_private_segment_size 0
		.amdhsa_uses_dynamic_stack 0
		.amdhsa_system_sgpr_private_segment_wavefront_offset 1
		.amdhsa_system_sgpr_workgroup_id_x 1
		.amdhsa_system_sgpr_workgroup_id_y 1
		.amdhsa_system_sgpr_workgroup_id_z 1
		.amdhsa_system_sgpr_workgroup_info 0
		.amdhsa_system_vgpr_workitem_id 1
		.amdhsa_next_free_vgpr 64
		.amdhsa_next_free_sgpr 68
		.amdhsa_reserve_vcc 1
		.amdhsa_reserve_flat_scratch 0
		.amdhsa_float_round_mode_32 0
		.amdhsa_float_round_mode_16_64 0
		.amdhsa_float_denorm_mode_32 3
		.amdhsa_float_denorm_mode_16_64 3
		.amdhsa_dx10_clamp 1
		.amdhsa_ieee_mode 1
		.amdhsa_fp16_overflow 0
		.amdhsa_exception_fp_ieee_invalid_op 0
		.amdhsa_exception_fp_denorm_src 0
		.amdhsa_exception_fp_ieee_div_zero 0
		.amdhsa_exception_fp_ieee_overflow 0
		.amdhsa_exception_fp_ieee_underflow 0
		.amdhsa_exception_fp_ieee_inexact 0
		.amdhsa_exception_int_div_zero 0
	.end_amdhsa_kernel
	.section	.text._ZL30rocblas_trmm_outofplace_kernelI19rocblas_complex_numIdELi32ELi2ELb1ELb1ELb0ELb0ES1_KS1_S1_Ev17rocblas_diagonal_iiT6_lPT7_lllS6_lllPT8_llli,"axG",@progbits,_ZL30rocblas_trmm_outofplace_kernelI19rocblas_complex_numIdELi32ELi2ELb1ELb1ELb0ELb0ES1_KS1_S1_Ev17rocblas_diagonal_iiT6_lPT7_lllS6_lllPT8_llli,comdat
.Lfunc_end111:
	.size	_ZL30rocblas_trmm_outofplace_kernelI19rocblas_complex_numIdELi32ELi2ELb1ELb1ELb0ELb0ES1_KS1_S1_Ev17rocblas_diagonal_iiT6_lPT7_lllS6_lllPT8_llli, .Lfunc_end111-_ZL30rocblas_trmm_outofplace_kernelI19rocblas_complex_numIdELi32ELi2ELb1ELb1ELb0ELb0ES1_KS1_S1_Ev17rocblas_diagonal_iiT6_lPT7_lllS6_lllPT8_llli
                                        ; -- End function
	.set _ZL30rocblas_trmm_outofplace_kernelI19rocblas_complex_numIdELi32ELi2ELb1ELb1ELb0ELb0ES1_KS1_S1_Ev17rocblas_diagonal_iiT6_lPT7_lllS6_lllPT8_llli.num_vgpr, 64
	.set _ZL30rocblas_trmm_outofplace_kernelI19rocblas_complex_numIdELi32ELi2ELb1ELb1ELb0ELb0ES1_KS1_S1_Ev17rocblas_diagonal_iiT6_lPT7_lllS6_lllPT8_llli.num_agpr, 0
	.set _ZL30rocblas_trmm_outofplace_kernelI19rocblas_complex_numIdELi32ELi2ELb1ELb1ELb0ELb0ES1_KS1_S1_Ev17rocblas_diagonal_iiT6_lPT7_lllS6_lllPT8_llli.numbered_sgpr, 68
	.set _ZL30rocblas_trmm_outofplace_kernelI19rocblas_complex_numIdELi32ELi2ELb1ELb1ELb0ELb0ES1_KS1_S1_Ev17rocblas_diagonal_iiT6_lPT7_lllS6_lllPT8_llli.num_named_barrier, 0
	.set _ZL30rocblas_trmm_outofplace_kernelI19rocblas_complex_numIdELi32ELi2ELb1ELb1ELb0ELb0ES1_KS1_S1_Ev17rocblas_diagonal_iiT6_lPT7_lllS6_lllPT8_llli.private_seg_size, 104
	.set _ZL30rocblas_trmm_outofplace_kernelI19rocblas_complex_numIdELi32ELi2ELb1ELb1ELb0ELb0ES1_KS1_S1_Ev17rocblas_diagonal_iiT6_lPT7_lllS6_lllPT8_llli.uses_vcc, 1
	.set _ZL30rocblas_trmm_outofplace_kernelI19rocblas_complex_numIdELi32ELi2ELb1ELb1ELb0ELb0ES1_KS1_S1_Ev17rocblas_diagonal_iiT6_lPT7_lllS6_lllPT8_llli.uses_flat_scratch, 0
	.set _ZL30rocblas_trmm_outofplace_kernelI19rocblas_complex_numIdELi32ELi2ELb1ELb1ELb0ELb0ES1_KS1_S1_Ev17rocblas_diagonal_iiT6_lPT7_lllS6_lllPT8_llli.has_dyn_sized_stack, 0
	.set _ZL30rocblas_trmm_outofplace_kernelI19rocblas_complex_numIdELi32ELi2ELb1ELb1ELb0ELb0ES1_KS1_S1_Ev17rocblas_diagonal_iiT6_lPT7_lllS6_lllPT8_llli.has_recursion, 0
	.set _ZL30rocblas_trmm_outofplace_kernelI19rocblas_complex_numIdELi32ELi2ELb1ELb1ELb0ELb0ES1_KS1_S1_Ev17rocblas_diagonal_iiT6_lPT7_lllS6_lllPT8_llli.has_indirect_call, 0
	.section	.AMDGPU.csdata,"",@progbits
; Kernel info:
; codeLenInByte = 10744
; TotalNumSgprs: 72
; NumVgprs: 64
; ScratchSize: 104
; MemoryBound: 0
; FloatMode: 240
; IeeeMode: 1
; LDSByteSize: 32768 bytes/workgroup (compile time only)
; SGPRBlocks: 8
; VGPRBlocks: 15
; NumSGPRsForWavesPerEU: 72
; NumVGPRsForWavesPerEU: 64
; Occupancy: 4
; WaveLimiterHint : 0
; COMPUTE_PGM_RSRC2:SCRATCH_EN: 1
; COMPUTE_PGM_RSRC2:USER_SGPR: 6
; COMPUTE_PGM_RSRC2:TRAP_HANDLER: 0
; COMPUTE_PGM_RSRC2:TGID_X_EN: 1
; COMPUTE_PGM_RSRC2:TGID_Y_EN: 1
; COMPUTE_PGM_RSRC2:TGID_Z_EN: 1
; COMPUTE_PGM_RSRC2:TIDIG_COMP_CNT: 1
	.section	.text._ZL30rocblas_trmm_outofplace_kernelI19rocblas_complex_numIdELi32ELi2ELb1ELb0ELb1ELb0EPKS1_S2_S1_Ev17rocblas_diagonal_iiT6_lPT7_lllS7_lllPT8_llli,"axG",@progbits,_ZL30rocblas_trmm_outofplace_kernelI19rocblas_complex_numIdELi32ELi2ELb1ELb0ELb1ELb0EPKS1_S2_S1_Ev17rocblas_diagonal_iiT6_lPT7_lllS7_lllPT8_llli,comdat
	.globl	_ZL30rocblas_trmm_outofplace_kernelI19rocblas_complex_numIdELi32ELi2ELb1ELb0ELb1ELb0EPKS1_S2_S1_Ev17rocblas_diagonal_iiT6_lPT7_lllS7_lllPT8_llli ; -- Begin function _ZL30rocblas_trmm_outofplace_kernelI19rocblas_complex_numIdELi32ELi2ELb1ELb0ELb1ELb0EPKS1_S2_S1_Ev17rocblas_diagonal_iiT6_lPT7_lllS7_lllPT8_llli
	.p2align	8
	.type	_ZL30rocblas_trmm_outofplace_kernelI19rocblas_complex_numIdELi32ELi2ELb1ELb0ELb1ELb0EPKS1_S2_S1_Ev17rocblas_diagonal_iiT6_lPT7_lllS7_lllPT8_llli,@function
_ZL30rocblas_trmm_outofplace_kernelI19rocblas_complex_numIdELi32ELi2ELb1ELb0ELb1ELb0EPKS1_S2_S1_Ev17rocblas_diagonal_iiT6_lPT7_lllS7_lllPT8_llli: ; @_ZL30rocblas_trmm_outofplace_kernelI19rocblas_complex_numIdELi32ELi2ELb1ELb0ELb1ELb0EPKS1_S2_S1_Ev17rocblas_diagonal_iiT6_lPT7_lllS7_lllPT8_llli
; %bb.0:
	s_load_dwordx16 s[12:27], s[4:5], 0x10
	s_mov_b64 s[58:59], s[2:3]
	s_mov_b64 s[56:57], s[0:1]
	s_add_u32 s56, s56, s9
	s_addc_u32 s57, s57, 0
	s_waitcnt lgkmcnt(0)
	s_mul_i32 s0, s15, s8
	s_mul_hi_u32 s1, s14, s8
	s_add_i32 s1, s1, s0
	s_mul_i32 s0, s14, s8
	s_lshl_b64 s[0:1], s[0:1], 4
	s_add_u32 s0, s12, s0
	s_addc_u32 s1, s13, s1
	s_load_dwordx4 s[28:31], s[0:1], 0x0
	buffer_store_dword v1, off, s[56:59], 0 offset:56 ; 4-byte Folded Spill
	s_waitcnt lgkmcnt(0)
	v_cmp_eq_f64_e64 s[0:1], s[28:29], 0
	v_cmp_eq_f64_e64 s[2:3], s[30:31], 0
	s_and_b64 s[0:1], s[0:1], s[2:3]
	s_and_b64 vcc, exec, s[0:1]
	s_cbranch_vccnz .LBB112_64
; %bb.1:
	s_load_dwordx4 s[44:47], s[4:5], 0x0
	s_waitcnt lgkmcnt(0)
	s_add_i32 s0, s46, -1
	s_ashr_i32 s1, s0, 31
	s_lshr_b32 s1, s1, 27
	s_add_i32 s0, s0, s1
	s_ashr_i32 s33, s0, 5
	s_cmp_gt_i32 s7, s33
	s_cbranch_scc1 .LBB112_64
; %bb.2:
	s_load_dwordx4 s[48:51], s[4:5], 0x70
	s_load_dwordx8 s[36:43], s[4:5], 0x50
	s_load_dword s47, s[4:5], 0x8c
	buffer_load_dword v9, off, s[56:59], 0 offset:56 ; 4-byte Folded Reload
	s_waitcnt lgkmcnt(0)
	s_mul_i32 s1, s51, s8
	s_mul_hi_u32 s2, s50, s8
	s_mul_i32 s0, s50, s8
	s_add_i32 s1, s2, s1
	s_lshl_b64 s[0:1], s[0:1], 4
	s_add_u32 s2, s40, s0
	s_addc_u32 s3, s41, s1
	s_lshl_b64 s[0:1], s[42:43], 4
	s_add_u32 s52, s2, s0
	s_addc_u32 s53, s3, s1
	s_lshl_b32 s0, s6, 5
	v_add_u32_e32 v26, s0, v0
	v_lshlrev_b32_e32 v0, 4, v0
	v_ashrrev_i32_e32 v27, 31, v26
	s_sub_i32 s6, s45, s0
	s_cmp_gt_i32 s6, 0
	s_cselect_b64 s[34:35], -1, 0
	s_cmpk_eq_i32 s44, 0x84
	s_cselect_b64 s[40:41], -1, 0
	s_ashr_i32 s43, s45, 31
	s_ashr_i32 s54, s46, 31
	s_add_u32 s50, s45, -16
	s_mul_i32 s9, s39, s8
	s_mul_hi_u32 s10, s38, s8
	s_addc_u32 s51, s43, -1
	s_add_i32 s11, s10, s9
	s_mul_i32 s10, s38, s8
	s_lshl_b64 s[10:11], s[10:11], 4
	s_lshl_b64 s[12:13], s[26:27], 4
	s_mov_b32 s42, s45
	s_add_u32 s9, s10, s12
	s_addc_u32 s10, s11, s13
	s_add_u32 s9, s24, s9
	s_addc_u32 s10, s25, s10
	v_lshlrev_b64 v[7:8], 4, v[26:27]
	v_mov_b32_e32 v3, s10
	v_mul_lo_u32 v4, s20, v27
	v_mul_lo_u32 v5, s21, v26
	s_lshl_b64 s[24:25], s[36:37], 4
	s_lshl_b32 s55, s47, 5
	s_movk_i32 s44, 0x100
	v_cmp_gt_i32_e64 s[4:5], s45, v26
	s_waitcnt vmcnt(0)
	v_lshlrev_b32_e32 v1, 9, v9
	v_add_u32_e32 v36, v0, v1
	v_add_u32_e32 v37, 0x4000, v1
	v_add_co_u32_e32 v1, vcc, 16, v26
	v_addc_co_u32_e32 v2, vcc, 0, v27, vcc
	buffer_store_dword v1, off, s[56:59], 0 ; 4-byte Folded Spill
	s_nop 0
	buffer_store_dword v2, off, s[56:59], 0 offset:4 ; 4-byte Folded Spill
	v_add_u32_e32 v24, s0, v9
	v_ashrrev_i32_e32 v25, 31, v24
	v_sub_co_u32_e32 v10, vcc, v26, v24
	v_subb_co_u32_e32 v11, vcc, v27, v25, vcc
	v_add_co_u32_e32 v12, vcc, s9, v7
	s_mul_i32 s9, s23, s8
	v_addc_co_u32_e32 v13, vcc, v3, v8, vcc
	v_cmp_le_i32_e64 s[0:1], s45, v26
	v_add_u32_e32 v44, v37, v0
	v_lshl_add_u32 v20, s7, 5, v9
	v_cmp_le_i64_e64 s[2:3], s[42:43], v[1:2]
	v_add_u32_e32 v1, 16, v26
	v_ashrrev_i32_e32 v2, 31, v1
	v_cmp_gt_i32_e64 s[14:15], s45, v1
	buffer_store_dword v1, off, s[56:59], 0 offset:60 ; 4-byte Folded Spill
	s_nop 0
	buffer_store_dword v2, off, s[56:59], 0 offset:64 ; 4-byte Folded Spill
	v_mad_u64_u32 v[1:2], s[10:11], s20, v26, 0
	s_mul_hi_u32 s10, s22, s8
	s_add_i32 s9, s10, s9
	s_mul_i32 s8, s22, s8
	v_add3_u32 v2, v2, v4, v5
	s_lshl_b64 s[8:9], s[8:9], 4
	s_lshl_b64 s[10:11], s[18:19], 4
	v_lshlrev_b64 v[1:2], 4, v[1:2]
	s_add_u32 s8, s10, s8
	s_addc_u32 s9, s11, s9
	v_mov_b32_e32 v3, s9
	v_add_co_u32_e32 v4, vcc, s8, v1
	v_addc_co_u32_e32 v3, vcc, v3, v2, vcc
	v_lshlrev_b64 v[1:2], 4, v[24:25]
	v_mov_b32_e32 v5, s17
	v_add_co_u32_e32 v4, vcc, v4, v1
	v_addc_co_u32_e32 v3, vcc, v3, v2, vcc
	v_add_co_u32_e32 v6, vcc, s16, v4
	v_addc_co_u32_e32 v5, vcc, v5, v3, vcc
	v_add_co_u32_e32 v7, vcc, s44, v7
	v_mov_b32_e32 v3, s8
	v_addc_co_u32_e32 v8, vcc, 0, v8, vcc
	v_mov_b32_e32 v4, s9
	v_mad_u64_u32 v[3:4], s[8:9], s20, v7, v[3:4]
	v_mul_lo_u32 v8, s20, v8
	v_mul_lo_u32 v7, s21, v7
	v_add_co_u32_e32 v14, vcc, 16, v10
	v_addc_co_u32_e32 v15, vcc, 0, v11, vcc
	buffer_store_dword v14, off, s[56:59], 0 offset:16 ; 4-byte Folded Spill
	s_nop 0
	buffer_store_dword v15, off, s[56:59], 0 offset:20 ; 4-byte Folded Spill
	v_add3_u32 v4, v7, v4, v8
	v_add_co_u32_e32 v7, vcc, -16, v10
	buffer_store_dword v10, off, s[56:59], 0 offset:8 ; 4-byte Folded Spill
	s_nop 0
	buffer_store_dword v11, off, s[56:59], 0 offset:12 ; 4-byte Folded Spill
	v_addc_co_u32_e32 v8, vcc, -1, v11, vcc
	v_add_co_u32_e32 v1, vcc, v3, v1
	v_addc_co_u32_e32 v2, vcc, v4, v2, vcc
	v_mov_b32_e32 v3, s17
	v_add_co_u32_e32 v1, vcc, s16, v1
	buffer_store_dword v7, off, s[56:59], 0 offset:24 ; 4-byte Folded Spill
	s_nop 0
	buffer_store_dword v8, off, s[56:59], 0 offset:28 ; 4-byte Folded Spill
	buffer_store_dword v1, off, s[56:59], 0 offset:32 ; 4-byte Folded Spill
	v_addc_co_u32_e32 v1, vcc, v3, v2, vcc
	buffer_store_dword v1, off, s[56:59], 0 offset:36 ; 4-byte Folded Spill
	v_add_co_u32_e32 v1, vcc, s44, v12
	buffer_store_dword v12, off, s[56:59], 0 offset:68 ; 4-byte Folded Spill
	s_nop 0
	buffer_store_dword v13, off, s[56:59], 0 offset:72 ; 4-byte Folded Spill
	v_mov_b32_e32 v3, 0x3ff00000
	v_addc_co_u32_e32 v2, vcc, 0, v13, vcc
	buffer_store_dword v1, off, s[56:59], 0 offset:76 ; 4-byte Folded Spill
	s_nop 0
	buffer_store_dword v2, off, s[56:59], 0 offset:80 ; 4-byte Folded Spill
	v_add_co_u32_e32 v45, vcc, s44, v6
	v_addc_co_u32_e32 v1, vcc, 0, v5, vcc
	v_mov_b32_e32 v2, 0
	buffer_store_dword v1, off, s[56:59], 0 offset:40 ; 4-byte Folded Spill
	s_branch .LBB112_4
.LBB112_3:                              ;   in Loop: Header=BB112_4 Depth=1
	s_or_b64 exec, exec, s[8:9]
	s_add_i32 s7, s47, s7
	s_cmp_le_i32 s7, s33
	s_waitcnt vmcnt(1)
	v_add_u32_e32 v20, s55, v20
	s_cbranch_scc0 .LBB112_64
.LBB112_4:                              ; =>This Loop Header: Depth=1
                                        ;     Child Loop BB112_7 Depth 2
	buffer_load_dword v1, off, s[56:59], 0 offset:56 ; 4-byte Folded Reload
	s_andn2_b64 vcc, exec, s[34:35]
	s_waitcnt vmcnt(0)
	v_lshl_add_u32 v11, s7, 5, v1
	v_ashrrev_i32_e32 v1, 31, v11
	buffer_store_dword v11, off, s[56:59], 0 offset:44 ; 4-byte Folded Spill
	s_cbranch_vccnz .LBB112_55
; %bb.5:                                ;   in Loop: Header=BB112_4 Depth=1
	buffer_load_dword v4, off, s[56:59], 0 offset:76 ; 4-byte Folded Reload
	buffer_load_dword v5, off, s[56:59], 0 offset:80 ; 4-byte Folded Reload
	v_ashrrev_i32_e32 v21, 31, v20
	v_mul_lo_u32 v6, s25, v20
	v_mul_lo_u32 v7, s24, v21
	v_mov_b32_e32 v12, 0
	v_mov_b32_e32 v14, 0
	;; [unrolled: 1-line block ×8, first 2 shown]
	s_mov_b64 s[20:21], 0
	v_mov_b32_e32 v13, 0
	v_mov_b32_e32 v15, 0
	;; [unrolled: 1-line block ×8, first 2 shown]
	s_mov_b64 s[22:23], 0
	s_waitcnt vmcnt(0)
	v_mad_u64_u32 v[46:47], s[8:9], s24, v20, v[4:5]
	v_mov_b32_e32 v4, v20
	buffer_store_dword v4, off, s[56:59], 0 offset:48 ; 4-byte Folded Spill
	s_nop 0
	buffer_store_dword v5, off, s[56:59], 0 offset:52 ; 4-byte Folded Spill
	buffer_load_dword v9, off, s[56:59], 0 offset:68 ; 4-byte Folded Reload
	buffer_load_dword v10, off, s[56:59], 0 offset:72 ; 4-byte Folded Reload
	v_lshlrev_b64 v[4:5], 4, v[20:21]
	v_add3_u32 v47, v6, v47, v7
	v_add_co_u32_e32 v4, vcc, 0x100, v4
	v_addc_co_u32_e32 v5, vcc, 0, v5, vcc
	v_mul_lo_u32 v5, s36, v5
	v_mul_lo_u32 v8, s37, v4
	s_waitcnt vmcnt(0)
	v_mad_u64_u32 v[48:49], s[8:9], s36, v4, v[9:10]
	v_sub_co_u32_e32 v4, vcc, s46, v11
	v_add3_u32 v49, v8, v49, v5
	v_mov_b32_e32 v5, s54
	v_subb_co_u32_e32 v5, vcc, v5, v1, vcc
	v_cmp_lt_i64_e32 vcc, 0, v[4:5]
	v_cmp_lt_i64_e64 s[8:9], 16, v[4:5]
	s_branch .LBB112_7
.LBB112_6:                              ;   in Loop: Header=BB112_7 Depth=2
	s_or_b64 exec, exec, s[10:11]
	s_waitcnt lgkmcnt(0)
	s_barrier
	ds_read_b128 v[58:61], v37
	ds_read_b128 v[20:23], v37 offset:16
	ds_read_b128 v[8:11], v37 offset:32
	ds_read_b128 v[4:7], v37 offset:48
	ds_read_b128 v[32:35], v0
	s_add_u32 s22, s22, 32
	s_addc_u32 s23, s23, 0
	s_add_u32 s20, s20, 0x200
	s_addc_u32 s21, s21, 0
	s_waitcnt lgkmcnt(0)
	v_mul_f64 v[42:43], v[60:61], v[34:35]
	v_mul_f64 v[62:63], v[58:59], v[34:35]
	s_cmp_ge_i32 s22, s6
	v_fma_f64 v[42:43], v[58:59], v[32:33], -v[42:43]
	v_fma_f64 v[62:63], v[60:61], v[32:33], v[62:63]
	v_add_f64 v[28:29], v[54:55], v[42:43]
	v_add_f64 v[30:31], v[62:63], v[56:57]
	ds_read_b128 v[54:57], v0 offset:256
	s_waitcnt lgkmcnt(0)
	v_mul_f64 v[42:43], v[60:61], v[56:57]
	v_fma_f64 v[42:43], v[58:59], v[54:55], -v[42:43]
	v_mul_f64 v[58:59], v[58:59], v[56:57]
	v_add_f64 v[38:39], v[16:17], v[42:43]
	v_fma_f64 v[58:59], v[60:61], v[54:55], v[58:59]
	v_add_f64 v[40:41], v[58:59], v[18:19]
	ds_read_b128 v[16:19], v37 offset:8192
	s_waitcnt lgkmcnt(0)
	v_mul_f64 v[42:43], v[18:19], v[34:35]
	v_mul_f64 v[34:35], v[16:17], v[34:35]
	v_fma_f64 v[42:43], v[16:17], v[32:33], -v[42:43]
	v_fma_f64 v[32:33], v[18:19], v[32:33], v[34:35]
	v_add_f64 v[62:63], v[50:51], v[42:43]
	v_add_f64 v[42:43], v[32:33], v[52:53]
	v_mul_f64 v[32:33], v[18:19], v[56:57]
	v_fma_f64 v[32:33], v[16:17], v[54:55], -v[32:33]
	v_mul_f64 v[16:17], v[16:17], v[56:57]
	v_add_f64 v[58:59], v[14:15], v[32:33]
	v_fma_f64 v[16:17], v[18:19], v[54:55], v[16:17]
	ds_read_b128 v[32:35], v0 offset:1280
	v_add_f64 v[60:61], v[16:17], v[12:13]
	ds_read_b128 v[16:19], v0 offset:512
	s_waitcnt lgkmcnt(0)
	v_mul_f64 v[12:13], v[22:23], v[18:19]
	v_mul_f64 v[14:15], v[20:21], v[18:19]
	v_fma_f64 v[12:13], v[20:21], v[16:17], -v[12:13]
	v_fma_f64 v[14:15], v[22:23], v[16:17], v[14:15]
	v_add_f64 v[54:55], v[28:29], v[12:13]
	v_add_f64 v[56:57], v[14:15], v[30:31]
	ds_read_b128 v[12:15], v0 offset:768
	s_waitcnt lgkmcnt(0)
	v_mul_f64 v[28:29], v[22:23], v[14:15]
	v_fma_f64 v[28:29], v[20:21], v[12:13], -v[28:29]
	v_mul_f64 v[20:21], v[20:21], v[14:15]
	v_add_f64 v[50:51], v[38:39], v[28:29]
	v_fma_f64 v[20:21], v[22:23], v[12:13], v[20:21]
	v_mul_f64 v[38:39], v[10:11], v[34:35]
	v_add_f64 v[52:53], v[20:21], v[40:41]
	ds_read_b128 v[20:23], v37 offset:8208
	v_fma_f64 v[38:39], v[8:9], v[32:33], -v[38:39]
	s_waitcnt lgkmcnt(0)
	v_mul_f64 v[28:29], v[22:23], v[18:19]
	v_mul_f64 v[18:19], v[20:21], v[18:19]
	v_add_f64 v[38:39], v[50:51], v[38:39]
	v_fma_f64 v[28:29], v[20:21], v[16:17], -v[28:29]
	v_fma_f64 v[18:19], v[22:23], v[16:17], v[18:19]
	v_add_f64 v[16:17], v[62:63], v[28:29]
	v_mul_f64 v[28:29], v[22:23], v[14:15]
	v_mul_f64 v[14:15], v[20:21], v[14:15]
	v_add_f64 v[18:19], v[18:19], v[42:43]
	v_fma_f64 v[28:29], v[20:21], v[12:13], -v[28:29]
	v_fma_f64 v[14:15], v[22:23], v[12:13], v[14:15]
	ds_read_b128 v[20:23], v0 offset:1024
	s_waitcnt lgkmcnt(0)
	v_mul_f64 v[30:31], v[8:9], v[22:23]
	v_add_f64 v[12:13], v[58:59], v[28:29]
	v_mul_f64 v[28:29], v[10:11], v[22:23]
	v_add_f64 v[14:15], v[14:15], v[60:61]
	v_fma_f64 v[30:31], v[10:11], v[20:21], v[30:31]
	v_fma_f64 v[28:29], v[8:9], v[20:21], -v[28:29]
	v_mul_f64 v[8:9], v[8:9], v[34:35]
	v_add_f64 v[30:31], v[30:31], v[56:57]
	v_add_f64 v[28:29], v[54:55], v[28:29]
	v_fma_f64 v[8:9], v[10:11], v[32:33], v[8:9]
	v_add_f64 v[40:41], v[8:9], v[52:53]
	ds_read_b128 v[8:11], v37 offset:8224
	s_waitcnt lgkmcnt(0)
	v_mul_f64 v[42:43], v[10:11], v[22:23]
	v_mul_f64 v[22:23], v[8:9], v[22:23]
	v_fma_f64 v[42:43], v[8:9], v[20:21], -v[42:43]
	v_fma_f64 v[20:21], v[10:11], v[20:21], v[22:23]
	v_add_f64 v[42:43], v[16:17], v[42:43]
	v_mul_f64 v[16:17], v[10:11], v[34:35]
	v_add_f64 v[50:51], v[20:21], v[18:19]
	v_fma_f64 v[16:17], v[8:9], v[32:33], -v[16:17]
	v_mul_f64 v[8:9], v[8:9], v[34:35]
	v_add_f64 v[20:21], v[12:13], v[16:17]
	v_fma_f64 v[8:9], v[10:11], v[32:33], v[8:9]
	ds_read_b128 v[32:35], v37 offset:8240
	v_add_f64 v[22:23], v[8:9], v[14:15]
	ds_read_b128 v[12:15], v0 offset:1536
	s_waitcnt lgkmcnt(0)
	v_mul_f64 v[8:9], v[6:7], v[14:15]
	v_mul_f64 v[10:11], v[4:5], v[14:15]
	v_fma_f64 v[8:9], v[4:5], v[12:13], -v[8:9]
	v_fma_f64 v[10:11], v[6:7], v[12:13], v[10:11]
	v_add_f64 v[16:17], v[28:29], v[8:9]
	v_add_f64 v[18:19], v[10:11], v[30:31]
	ds_read_b128 v[8:11], v0 offset:1792
	s_waitcnt lgkmcnt(0)
	v_mul_f64 v[28:29], v[6:7], v[10:11]
	v_fma_f64 v[28:29], v[4:5], v[8:9], -v[28:29]
	v_mul_f64 v[4:5], v[4:5], v[10:11]
	v_fma_f64 v[6:7], v[6:7], v[8:9], v[4:5]
	v_add_f64 v[4:5], v[38:39], v[28:29]
	v_mul_f64 v[28:29], v[34:35], v[14:15]
	v_mul_f64 v[14:15], v[32:33], v[14:15]
	v_add_f64 v[6:7], v[6:7], v[40:41]
	v_fma_f64 v[28:29], v[32:33], v[12:13], -v[28:29]
	v_fma_f64 v[14:15], v[34:35], v[12:13], v[14:15]
	v_add_f64 v[12:13], v[42:43], v[28:29]
	v_mul_f64 v[28:29], v[34:35], v[10:11]
	v_mul_f64 v[10:11], v[32:33], v[10:11]
	v_add_f64 v[14:15], v[14:15], v[50:51]
	v_fma_f64 v[28:29], v[32:33], v[8:9], -v[28:29]
	v_fma_f64 v[8:9], v[34:35], v[8:9], v[10:11]
	v_add_f64 v[28:29], v[20:21], v[28:29]
	v_add_f64 v[30:31], v[8:9], v[22:23]
	ds_read_b128 v[8:11], v37 offset:64
	ds_read_b128 v[20:23], v0 offset:2048
	s_waitcnt lgkmcnt(0)
	v_mul_f64 v[32:33], v[10:11], v[22:23]
	v_mul_f64 v[34:35], v[8:9], v[22:23]
	v_fma_f64 v[32:33], v[8:9], v[20:21], -v[32:33]
	v_fma_f64 v[34:35], v[10:11], v[20:21], v[34:35]
	v_add_f64 v[16:17], v[16:17], v[32:33]
	v_add_f64 v[18:19], v[34:35], v[18:19]
	ds_read_b128 v[32:35], v0 offset:2304
	s_waitcnt lgkmcnt(0)
	v_mul_f64 v[38:39], v[10:11], v[34:35]
	v_fma_f64 v[38:39], v[8:9], v[32:33], -v[38:39]
	v_mul_f64 v[8:9], v[8:9], v[34:35]
	v_add_f64 v[38:39], v[4:5], v[38:39]
	v_fma_f64 v[8:9], v[10:11], v[32:33], v[8:9]
	v_add_f64 v[40:41], v[8:9], v[6:7]
	ds_read_b128 v[4:7], v37 offset:8256
	s_waitcnt lgkmcnt(0)
	v_mul_f64 v[8:9], v[6:7], v[22:23]
	v_mul_f64 v[10:11], v[4:5], v[22:23]
	v_fma_f64 v[8:9], v[4:5], v[20:21], -v[8:9]
	v_fma_f64 v[10:11], v[6:7], v[20:21], v[10:11]
	v_add_f64 v[20:21], v[12:13], v[8:9]
	v_mul_f64 v[8:9], v[6:7], v[34:35]
	v_add_f64 v[22:23], v[10:11], v[14:15]
	v_fma_f64 v[8:9], v[4:5], v[32:33], -v[8:9]
	v_mul_f64 v[4:5], v[4:5], v[34:35]
	v_add_f64 v[12:13], v[28:29], v[8:9]
	v_fma_f64 v[4:5], v[6:7], v[32:33], v[4:5]
	ds_read_b128 v[32:35], v37 offset:80
	ds_read_b128 v[8:11], v0 offset:2560
	s_waitcnt lgkmcnt(0)
	v_mul_f64 v[6:7], v[32:33], v[10:11]
	v_add_f64 v[14:15], v[4:5], v[30:31]
	v_mul_f64 v[4:5], v[34:35], v[10:11]
	v_fma_f64 v[6:7], v[34:35], v[8:9], v[6:7]
	v_fma_f64 v[4:5], v[32:33], v[8:9], -v[4:5]
	v_add_f64 v[52:53], v[6:7], v[18:19]
	v_add_f64 v[50:51], v[16:17], v[4:5]
	ds_read_b128 v[4:7], v0 offset:2816
	s_waitcnt lgkmcnt(0)
	v_mul_f64 v[16:17], v[34:35], v[6:7]
	v_mul_f64 v[18:19], v[32:33], v[6:7]
	v_fma_f64 v[16:17], v[32:33], v[4:5], -v[16:17]
	v_fma_f64 v[18:19], v[34:35], v[4:5], v[18:19]
	ds_read_b128 v[32:35], v37 offset:8272
	s_waitcnt lgkmcnt(0)
	v_mul_f64 v[28:29], v[34:35], v[10:11]
	v_mul_f64 v[10:11], v[32:33], v[10:11]
	v_add_f64 v[16:17], v[38:39], v[16:17]
	v_add_f64 v[18:19], v[18:19], v[40:41]
	v_fma_f64 v[28:29], v[32:33], v[8:9], -v[28:29]
	v_fma_f64 v[10:11], v[34:35], v[8:9], v[10:11]
	v_add_f64 v[8:9], v[20:21], v[28:29]
	v_mul_f64 v[20:21], v[34:35], v[6:7]
	v_mul_f64 v[6:7], v[32:33], v[6:7]
	v_add_f64 v[10:11], v[10:11], v[22:23]
	v_fma_f64 v[20:21], v[32:33], v[4:5], -v[20:21]
	v_fma_f64 v[4:5], v[34:35], v[4:5], v[6:7]
	v_add_f64 v[28:29], v[12:13], v[20:21]
	v_add_f64 v[30:31], v[4:5], v[14:15]
	ds_read_b128 v[12:15], v37 offset:96
	ds_read_b128 v[20:23], v0 offset:3072
	ds_read_b128 v[32:35], v0 offset:3328
	s_waitcnt lgkmcnt(1)
	v_mul_f64 v[4:5], v[14:15], v[22:23]
	s_waitcnt lgkmcnt(0)
	v_mul_f64 v[38:39], v[14:15], v[34:35]
	v_mul_f64 v[6:7], v[12:13], v[22:23]
	v_fma_f64 v[4:5], v[12:13], v[20:21], -v[4:5]
	v_fma_f64 v[38:39], v[12:13], v[32:33], -v[38:39]
	v_mul_f64 v[12:13], v[12:13], v[34:35]
	v_fma_f64 v[6:7], v[14:15], v[20:21], v[6:7]
	v_add_f64 v[4:5], v[50:51], v[4:5]
	v_add_f64 v[38:39], v[16:17], v[38:39]
	v_fma_f64 v[12:13], v[14:15], v[32:33], v[12:13]
	v_add_f64 v[6:7], v[6:7], v[52:53]
	v_add_f64 v[40:41], v[12:13], v[18:19]
	ds_read_b128 v[12:15], v37 offset:8288
	s_waitcnt lgkmcnt(0)
	v_mul_f64 v[16:17], v[14:15], v[22:23]
	v_mul_f64 v[18:19], v[12:13], v[22:23]
	v_fma_f64 v[16:17], v[12:13], v[20:21], -v[16:17]
	v_fma_f64 v[18:19], v[14:15], v[20:21], v[18:19]
	v_add_f64 v[20:21], v[8:9], v[16:17]
	v_add_f64 v[22:23], v[18:19], v[10:11]
	v_mul_f64 v[8:9], v[14:15], v[34:35]
	v_mul_f64 v[10:11], v[12:13], v[34:35]
	v_fma_f64 v[8:9], v[12:13], v[32:33], -v[8:9]
	v_fma_f64 v[10:11], v[14:15], v[32:33], v[10:11]
	v_add_f64 v[12:13], v[28:29], v[8:9]
	v_add_f64 v[14:15], v[10:11], v[30:31]
	ds_read_b128 v[16:19], v37 offset:112
	ds_read_b128 v[8:11], v0 offset:3584
	ds_read_b128 v[32:35], v37 offset:8304
	s_waitcnt lgkmcnt(1)
	v_mul_f64 v[28:29], v[18:19], v[10:11]
	v_mul_f64 v[30:31], v[16:17], v[10:11]
	v_fma_f64 v[28:29], v[16:17], v[8:9], -v[28:29]
	v_fma_f64 v[30:31], v[18:19], v[8:9], v[30:31]
	v_add_f64 v[50:51], v[4:5], v[28:29]
	v_add_f64 v[52:53], v[30:31], v[6:7]
	ds_read_b128 v[4:7], v0 offset:3840
	s_waitcnt lgkmcnt(0)
	v_mul_f64 v[28:29], v[18:19], v[6:7]
	v_fma_f64 v[28:29], v[16:17], v[4:5], -v[28:29]
	v_mul_f64 v[16:17], v[16:17], v[6:7]
	v_fma_f64 v[18:19], v[18:19], v[4:5], v[16:17]
	v_add_f64 v[16:17], v[38:39], v[28:29]
	v_mul_f64 v[28:29], v[34:35], v[10:11]
	v_mul_f64 v[10:11], v[32:33], v[10:11]
	v_add_f64 v[18:19], v[18:19], v[40:41]
	v_fma_f64 v[28:29], v[32:33], v[8:9], -v[28:29]
	v_fma_f64 v[10:11], v[34:35], v[8:9], v[10:11]
	v_add_f64 v[8:9], v[20:21], v[28:29]
	v_mul_f64 v[20:21], v[34:35], v[6:7]
	v_mul_f64 v[6:7], v[32:33], v[6:7]
	v_add_f64 v[10:11], v[10:11], v[22:23]
	v_fma_f64 v[20:21], v[32:33], v[4:5], -v[20:21]
	v_fma_f64 v[4:5], v[34:35], v[4:5], v[6:7]
	v_add_f64 v[28:29], v[12:13], v[20:21]
	v_add_f64 v[30:31], v[4:5], v[14:15]
	ds_read_b128 v[12:15], v37 offset:128
	ds_read_b128 v[20:23], v0 offset:4096
	ds_read_b128 v[32:35], v0 offset:4352
	s_waitcnt lgkmcnt(1)
	v_mul_f64 v[4:5], v[14:15], v[22:23]
	s_waitcnt lgkmcnt(0)
	v_mul_f64 v[38:39], v[14:15], v[34:35]
	v_mul_f64 v[6:7], v[12:13], v[22:23]
	v_fma_f64 v[4:5], v[12:13], v[20:21], -v[4:5]
	v_fma_f64 v[38:39], v[12:13], v[32:33], -v[38:39]
	v_mul_f64 v[12:13], v[12:13], v[34:35]
	v_fma_f64 v[6:7], v[14:15], v[20:21], v[6:7]
	v_add_f64 v[4:5], v[50:51], v[4:5]
	v_add_f64 v[38:39], v[16:17], v[38:39]
	v_fma_f64 v[12:13], v[14:15], v[32:33], v[12:13]
	v_add_f64 v[6:7], v[6:7], v[52:53]
	v_add_f64 v[40:41], v[12:13], v[18:19]
	ds_read_b128 v[12:15], v37 offset:8320
	s_waitcnt lgkmcnt(0)
	v_mul_f64 v[16:17], v[14:15], v[22:23]
	v_mul_f64 v[18:19], v[12:13], v[22:23]
	v_fma_f64 v[16:17], v[12:13], v[20:21], -v[16:17]
	v_fma_f64 v[18:19], v[14:15], v[20:21], v[18:19]
	v_add_f64 v[20:21], v[8:9], v[16:17]
	v_add_f64 v[22:23], v[18:19], v[10:11]
	v_mul_f64 v[8:9], v[14:15], v[34:35]
	v_mul_f64 v[10:11], v[12:13], v[34:35]
	v_fma_f64 v[8:9], v[12:13], v[32:33], -v[8:9]
	v_fma_f64 v[10:11], v[14:15], v[32:33], v[10:11]
	v_add_f64 v[12:13], v[28:29], v[8:9]
	v_add_f64 v[14:15], v[10:11], v[30:31]
	ds_read_b128 v[16:19], v37 offset:144
	ds_read_b128 v[8:11], v0 offset:4608
	ds_read_b128 v[32:35], v37 offset:8336
	s_waitcnt lgkmcnt(1)
	v_mul_f64 v[28:29], v[18:19], v[10:11]
	v_mul_f64 v[30:31], v[16:17], v[10:11]
	v_fma_f64 v[28:29], v[16:17], v[8:9], -v[28:29]
	v_fma_f64 v[30:31], v[18:19], v[8:9], v[30:31]
	v_add_f64 v[50:51], v[4:5], v[28:29]
	v_add_f64 v[52:53], v[30:31], v[6:7]
	ds_read_b128 v[4:7], v0 offset:4864
	s_waitcnt lgkmcnt(0)
	v_mul_f64 v[28:29], v[18:19], v[6:7]
	v_fma_f64 v[28:29], v[16:17], v[4:5], -v[28:29]
	v_mul_f64 v[16:17], v[16:17], v[6:7]
	v_fma_f64 v[18:19], v[18:19], v[4:5], v[16:17]
	v_add_f64 v[16:17], v[38:39], v[28:29]
	v_mul_f64 v[28:29], v[34:35], v[10:11]
	v_mul_f64 v[10:11], v[32:33], v[10:11]
	;; [unrolled: 61-line block ×11, first 2 shown]
	v_add_f64 v[22:23], v[22:23], v[40:41]
	v_fma_f64 v[28:29], v[32:33], v[8:9], -v[28:29]
	v_fma_f64 v[8:9], v[34:35], v[8:9], v[10:11]
	v_add_f64 v[28:29], v[16:17], v[28:29]
	v_add_f64 v[30:31], v[8:9], v[18:19]
	v_mul_f64 v[8:9], v[34:35], v[6:7]
	v_mul_f64 v[6:7], v[32:33], v[6:7]
	v_fma_f64 v[8:9], v[32:33], v[4:5], -v[8:9]
	v_fma_f64 v[4:5], v[34:35], v[4:5], v[6:7]
	v_add_f64 v[32:33], v[12:13], v[8:9]
	v_add_f64 v[34:35], v[4:5], v[14:15]
	ds_read_b128 v[8:11], v37 offset:448
	ds_read_b128 v[12:15], v0 offset:14336
	;; [unrolled: 1-line block ×3, first 2 shown]
	s_waitcnt lgkmcnt(1)
	v_mul_f64 v[4:5], v[10:11], v[14:15]
	s_waitcnt lgkmcnt(0)
	v_mul_f64 v[38:39], v[10:11], v[18:19]
	v_mul_f64 v[6:7], v[8:9], v[14:15]
	v_fma_f64 v[4:5], v[8:9], v[12:13], -v[4:5]
	v_fma_f64 v[38:39], v[8:9], v[16:17], -v[38:39]
	v_mul_f64 v[8:9], v[8:9], v[18:19]
	v_fma_f64 v[6:7], v[10:11], v[12:13], v[6:7]
	v_add_f64 v[4:5], v[50:51], v[4:5]
	v_add_f64 v[20:21], v[20:21], v[38:39]
	v_fma_f64 v[8:9], v[10:11], v[16:17], v[8:9]
	v_add_f64 v[6:7], v[6:7], v[52:53]
	v_add_f64 v[22:23], v[8:9], v[22:23]
	ds_read_b128 v[8:11], v37 offset:8640
	s_waitcnt lgkmcnt(0)
	v_mul_f64 v[38:39], v[10:11], v[14:15]
	v_mul_f64 v[14:15], v[8:9], v[14:15]
	v_fma_f64 v[38:39], v[8:9], v[12:13], -v[38:39]
	v_fma_f64 v[12:13], v[10:11], v[12:13], v[14:15]
	v_add_f64 v[50:51], v[28:29], v[38:39]
	v_add_f64 v[52:53], v[12:13], v[30:31]
	v_mul_f64 v[12:13], v[10:11], v[18:19]
	v_fma_f64 v[12:13], v[8:9], v[16:17], -v[12:13]
	v_mul_f64 v[8:9], v[8:9], v[18:19]
	v_fma_f64 v[8:9], v[10:11], v[16:17], v[8:9]
	v_add_f64 v[16:17], v[32:33], v[12:13]
	v_add_f64 v[18:19], v[8:9], v[34:35]
	ds_read_b128 v[12:15], v37 offset:464
	ds_read_b128 v[8:11], v0 offset:14848
	s_waitcnt lgkmcnt(0)
	v_mul_f64 v[28:29], v[14:15], v[10:11]
	v_mul_f64 v[30:31], v[12:13], v[10:11]
	v_fma_f64 v[28:29], v[12:13], v[8:9], -v[28:29]
	v_fma_f64 v[30:31], v[14:15], v[8:9], v[30:31]
	v_add_f64 v[54:55], v[4:5], v[28:29]
	v_add_f64 v[56:57], v[30:31], v[6:7]
	ds_read_b128 v[4:7], v0 offset:15104
	s_waitcnt lgkmcnt(0)
	v_mul_f64 v[28:29], v[14:15], v[6:7]
	v_fma_f64 v[28:29], v[12:13], v[4:5], -v[28:29]
	v_mul_f64 v[12:13], v[12:13], v[6:7]
	v_add_f64 v[20:21], v[20:21], v[28:29]
	v_fma_f64 v[12:13], v[14:15], v[4:5], v[12:13]
	v_add_f64 v[22:23], v[12:13], v[22:23]
	ds_read_b128 v[12:15], v37 offset:8656
	s_waitcnt lgkmcnt(0)
	v_mul_f64 v[28:29], v[14:15], v[10:11]
	v_mul_f64 v[10:11], v[12:13], v[10:11]
	v_fma_f64 v[28:29], v[12:13], v[8:9], -v[28:29]
	v_fma_f64 v[10:11], v[14:15], v[8:9], v[10:11]
	v_add_f64 v[8:9], v[50:51], v[28:29]
	v_mul_f64 v[28:29], v[14:15], v[6:7]
	v_mul_f64 v[6:7], v[12:13], v[6:7]
	v_add_f64 v[10:11], v[10:11], v[52:53]
	v_fma_f64 v[28:29], v[12:13], v[4:5], -v[28:29]
	v_fma_f64 v[4:5], v[14:15], v[4:5], v[6:7]
	v_add_f64 v[28:29], v[16:17], v[28:29]
	v_add_f64 v[30:31], v[4:5], v[18:19]
	ds_read_b128 v[12:15], v37 offset:480
	ds_read_b128 v[16:19], v0 offset:15360
	;; [unrolled: 1-line block ×3, first 2 shown]
	s_waitcnt lgkmcnt(1)
	v_mul_f64 v[4:5], v[14:15], v[18:19]
	s_waitcnt lgkmcnt(0)
	v_mul_f64 v[38:39], v[14:15], v[34:35]
	v_mul_f64 v[6:7], v[12:13], v[18:19]
	v_fma_f64 v[4:5], v[12:13], v[16:17], -v[4:5]
	v_fma_f64 v[38:39], v[12:13], v[32:33], -v[38:39]
	v_mul_f64 v[12:13], v[12:13], v[34:35]
	v_fma_f64 v[6:7], v[14:15], v[16:17], v[6:7]
	v_add_f64 v[4:5], v[54:55], v[4:5]
	v_add_f64 v[38:39], v[20:21], v[38:39]
	v_fma_f64 v[12:13], v[14:15], v[32:33], v[12:13]
	v_add_f64 v[6:7], v[6:7], v[56:57]
	v_add_f64 v[40:41], v[12:13], v[22:23]
	ds_read_b128 v[12:15], v37 offset:8672
	s_waitcnt lgkmcnt(0)
	v_mul_f64 v[20:21], v[14:15], v[18:19]
	v_mul_f64 v[18:19], v[12:13], v[18:19]
	v_fma_f64 v[20:21], v[12:13], v[16:17], -v[20:21]
	v_fma_f64 v[16:17], v[14:15], v[16:17], v[18:19]
	v_add_f64 v[50:51], v[8:9], v[20:21]
	v_add_f64 v[52:53], v[16:17], v[10:11]
	v_mul_f64 v[8:9], v[14:15], v[34:35]
	v_mul_f64 v[10:11], v[12:13], v[34:35]
	v_fma_f64 v[8:9], v[12:13], v[32:33], -v[8:9]
	v_fma_f64 v[10:11], v[14:15], v[32:33], v[10:11]
	v_add_f64 v[20:21], v[28:29], v[8:9]
	v_add_f64 v[22:23], v[10:11], v[30:31]
	ds_read_b128 v[12:15], v37 offset:496
	ds_read_b128 v[8:11], v0 offset:15872
	s_waitcnt lgkmcnt(0)
	v_mul_f64 v[16:17], v[14:15], v[10:11]
	v_mul_f64 v[18:19], v[12:13], v[10:11]
	v_fma_f64 v[16:17], v[12:13], v[8:9], -v[16:17]
	v_fma_f64 v[18:19], v[14:15], v[8:9], v[18:19]
	v_add_f64 v[54:55], v[4:5], v[16:17]
	v_add_f64 v[56:57], v[18:19], v[6:7]
	ds_read_b128 v[4:7], v0 offset:16128
	s_waitcnt lgkmcnt(0)
	v_mul_f64 v[16:17], v[14:15], v[6:7]
	v_fma_f64 v[16:17], v[12:13], v[4:5], -v[16:17]
	v_mul_f64 v[12:13], v[12:13], v[6:7]
	v_add_f64 v[16:17], v[38:39], v[16:17]
	v_fma_f64 v[12:13], v[14:15], v[4:5], v[12:13]
	v_add_f64 v[18:19], v[12:13], v[40:41]
	ds_read_b128 v[12:15], v37 offset:8688
	s_waitcnt lgkmcnt(0)
	s_barrier
	v_mul_f64 v[28:29], v[14:15], v[10:11]
	v_mul_f64 v[10:11], v[12:13], v[10:11]
	v_fma_f64 v[28:29], v[12:13], v[8:9], -v[28:29]
	v_fma_f64 v[8:9], v[14:15], v[8:9], v[10:11]
	v_add_f64 v[50:51], v[50:51], v[28:29]
	v_add_f64 v[52:53], v[8:9], v[52:53]
	v_mul_f64 v[8:9], v[14:15], v[6:7]
	v_mul_f64 v[6:7], v[12:13], v[6:7]
	v_fma_f64 v[8:9], v[12:13], v[4:5], -v[8:9]
	v_fma_f64 v[4:5], v[14:15], v[4:5], v[6:7]
	v_add_f64 v[14:15], v[20:21], v[8:9]
	v_add_f64 v[12:13], v[4:5], v[22:23]
	s_cbranch_scc1 .LBB112_56
.LBB112_7:                              ;   Parent Loop BB112_4 Depth=1
                                        ; =>  This Inner Loop Header: Depth=2
	buffer_load_dword v5, off, s[56:59], 0 offset:40 ; 4-byte Folded Reload
	v_mov_b32_e32 v4, s23
	v_add_co_u32_e64 v8, s[10:11], s22, v24
	v_addc_co_u32_e64 v9, s[10:11], v25, v4, s[10:11]
	v_mov_b32_e32 v4, s21
	v_add_co_u32_e64 v6, s[10:11], s20, v45
	v_cmp_le_i64_e64 s[12:13], s[42:43], v[8:9]
	s_waitcnt vmcnt(0)
	v_addc_co_u32_e64 v7, s[10:11], v5, v4, s[10:11]
	buffer_load_dword v4, off, s[56:59], 0 offset:8 ; 4-byte Folded Reload
	buffer_load_dword v5, off, s[56:59], 0 offset:12 ; 4-byte Folded Reload
	v_cmp_lt_i64_e64 s[10:11], v[8:9], v[26:27]
	s_waitcnt vmcnt(0)
	v_cmp_eq_u64_e64 s[16:17], s[22:23], v[4:5]
	s_and_b64 s[38:39], s[40:41], s[16:17]
	s_or_b64 s[16:17], s[12:13], s[10:11]
	s_or_b64 s[16:17], s[16:17], s[38:39]
	s_nor_b64 s[16:17], s[0:1], s[16:17]
	s_and_saveexec_b64 s[18:19], s[16:17]
	s_xor_b64 s[16:17], exec, s[18:19]
	s_cbranch_execz .LBB112_9
; %bb.8:                                ;   in Loop: Header=BB112_7 Depth=2
	global_load_dwordx4 v[20:23], v[6:7], off offset:-256
	s_waitcnt vmcnt(0)
	ds_write2_b64 v36, v[20:21], v[22:23] offset1:1
.LBB112_9:                              ;   in Loop: Header=BB112_7 Depth=2
	s_or_saveexec_b64 s[16:17], s[16:17]
	s_xor_b64 s[26:27], s[38:39], -1
	s_xor_b64 exec, exec, s[16:17]
	s_cbranch_execz .LBB112_15
; %bb.10:                               ;   in Loop: Header=BB112_7 Depth=2
	s_and_saveexec_b64 s[18:19], s[26:27]
	s_xor_b64 s[18:19], exec, s[18:19]
; %bb.11:                               ;   in Loop: Header=BB112_7 Depth=2
	v_mov_b32_e32 v20, v2
	v_mov_b32_e32 v21, v2
	;; [unrolled: 1-line block ×4, first 2 shown]
	ds_write_b128 v36, v[20:23]
; %bb.12:                               ;   in Loop: Header=BB112_7 Depth=2
	s_andn2_saveexec_b64 s[18:19], s[18:19]
; %bb.13:                               ;   in Loop: Header=BB112_7 Depth=2
	v_mov_b32_e32 v4, v2
	v_mov_b32_e32 v5, v2
	ds_write_b128 v36, v[2:5]
; %bb.14:                               ;   in Loop: Header=BB112_7 Depth=2
	s_or_b64 exec, exec, s[18:19]
.LBB112_15:                             ;   in Loop: Header=BB112_7 Depth=2
	s_or_b64 exec, exec, s[16:17]
	buffer_load_dword v4, off, s[56:59], 0 offset:16 ; 4-byte Folded Reload
	buffer_load_dword v5, off, s[56:59], 0 offset:20 ; 4-byte Folded Reload
	s_waitcnt vmcnt(0)
	v_cmp_eq_u64_e64 s[16:17], s[22:23], v[4:5]
	buffer_load_dword v4, off, s[56:59], 0  ; 4-byte Folded Reload
	buffer_load_dword v5, off, s[56:59], 0 offset:4 ; 4-byte Folded Reload
	s_and_b64 s[16:17], s[40:41], s[16:17]
	s_waitcnt vmcnt(0)
	v_cmp_gt_i64_e64 s[18:19], v[4:5], v[8:9]
	s_or_b64 s[12:13], s[12:13], s[18:19]
	s_or_b64 s[12:13], s[12:13], s[16:17]
	s_nor_b64 s[12:13], s[2:3], s[12:13]
	s_and_saveexec_b64 s[18:19], s[12:13]
	s_xor_b64 s[18:19], exec, s[18:19]
	s_cbranch_execz .LBB112_17
; %bb.16:                               ;   in Loop: Header=BB112_7 Depth=2
	buffer_load_dword v4, off, s[56:59], 0 offset:32 ; 4-byte Folded Reload
	buffer_load_dword v10, off, s[56:59], 0 offset:36 ; 4-byte Folded Reload
	v_mov_b32_e32 v5, s21
	s_waitcnt vmcnt(1)
	v_add_co_u32_e64 v4, s[12:13], s20, v4
	s_waitcnt vmcnt(0)
	v_addc_co_u32_e64 v5, s[12:13], v10, v5, s[12:13]
	global_load_dwordx4 v[20:23], v[4:5], off
	v_add_u32_e32 v4, 0x100, v36
	s_waitcnt vmcnt(0)
	ds_write2_b64 v4, v[20:21], v[22:23] offset1:1
.LBB112_17:                             ;   in Loop: Header=BB112_7 Depth=2
	s_andn2_saveexec_b64 s[12:13], s[18:19]
	s_cbranch_execz .LBB112_23
; %bb.18:                               ;   in Loop: Header=BB112_7 Depth=2
	s_xor_b64 s[16:17], s[16:17], -1
	s_and_saveexec_b64 s[18:19], s[16:17]
	s_xor_b64 s[16:17], exec, s[18:19]
; %bb.19:                               ;   in Loop: Header=BB112_7 Depth=2
	v_mov_b32_e32 v20, v2
	v_mov_b32_e32 v21, v2
	;; [unrolled: 1-line block ×4, first 2 shown]
	ds_write_b128 v36, v[20:23] offset:256
; %bb.20:                               ;   in Loop: Header=BB112_7 Depth=2
	s_andn2_saveexec_b64 s[16:17], s[16:17]
; %bb.21:                               ;   in Loop: Header=BB112_7 Depth=2
	v_mov_b32_e32 v4, v2
	v_mov_b32_e32 v5, v2
	ds_write_b128 v36, v[2:5] offset:256
; %bb.22:                               ;   in Loop: Header=BB112_7 Depth=2
	s_or_b64 exec, exec, s[16:17]
.LBB112_23:                             ;   in Loop: Header=BB112_7 Depth=2
	s_or_b64 exec, exec, s[12:13]
	v_add_co_u32_e64 v4, s[12:13], 16, v8
	v_addc_co_u32_e64 v5, s[12:13], 0, v9, s[12:13]
	buffer_load_dword v8, off, s[56:59], 0 offset:24 ; 4-byte Folded Reload
	buffer_load_dword v9, off, s[56:59], 0 offset:28 ; 4-byte Folded Reload
	v_cmp_le_i64_e64 s[12:13], s[42:43], v[4:5]
	v_cmp_lt_i64_e64 s[18:19], v[4:5], v[26:27]
	s_waitcnt vmcnt(0)
	v_cmp_eq_u64_e64 s[16:17], s[22:23], v[8:9]
	s_and_b64 s[44:45], s[40:41], s[16:17]
	s_or_b64 s[16:17], s[12:13], s[18:19]
	s_or_b64 s[16:17], s[16:17], s[44:45]
	s_nor_b64 s[16:17], s[0:1], s[16:17]
	s_and_saveexec_b64 s[18:19], s[16:17]
	s_xor_b64 s[16:17], exec, s[18:19]
	s_cbranch_execz .LBB112_25
; %bb.24:                               ;   in Loop: Header=BB112_7 Depth=2
	global_load_dwordx4 v[4:7], v[6:7], off
	v_add_u32_e32 v8, 0x2000, v36
	s_waitcnt vmcnt(0)
	ds_write2_b64 v8, v[4:5], v[6:7] offset1:1
.LBB112_25:                             ;   in Loop: Header=BB112_7 Depth=2
	s_andn2_saveexec_b64 s[16:17], s[16:17]
	s_cbranch_execz .LBB112_31
; %bb.26:                               ;   in Loop: Header=BB112_7 Depth=2
	s_xor_b64 s[18:19], s[44:45], -1
	s_and_saveexec_b64 s[44:45], s[18:19]
	s_xor_b64 s[18:19], exec, s[44:45]
; %bb.27:                               ;   in Loop: Header=BB112_7 Depth=2
	v_mov_b32_e32 v4, v2
	v_mov_b32_e32 v5, v2
	;; [unrolled: 1-line block ×4, first 2 shown]
	ds_write_b128 v36, v[4:7] offset:8192
; %bb.28:                               ;   in Loop: Header=BB112_7 Depth=2
	s_andn2_saveexec_b64 s[18:19], s[18:19]
; %bb.29:                               ;   in Loop: Header=BB112_7 Depth=2
	v_mov_b32_e32 v4, v2
	v_mov_b32_e32 v5, v2
	ds_write_b128 v36, v[2:5] offset:8192
; %bb.30:                               ;   in Loop: Header=BB112_7 Depth=2
	s_or_b64 exec, exec, s[18:19]
.LBB112_31:                             ;   in Loop: Header=BB112_7 Depth=2
	s_or_b64 exec, exec, s[16:17]
	s_or_b64 s[10:11], s[12:13], s[10:11]
	s_or_b64 s[10:11], s[10:11], s[38:39]
	s_nor_b64 s[10:11], s[2:3], s[10:11]
	s_and_saveexec_b64 s[12:13], s[10:11]
	s_xor_b64 s[12:13], exec, s[12:13]
	s_cbranch_execz .LBB112_33
; %bb.32:                               ;   in Loop: Header=BB112_7 Depth=2
	buffer_load_dword v4, off, s[56:59], 0 offset:32 ; 4-byte Folded Reload
	buffer_load_dword v6, off, s[56:59], 0 offset:36 ; 4-byte Folded Reload
	v_mov_b32_e32 v5, s21
	v_add_u32_e32 v8, 0x2100, v36
	s_waitcnt vmcnt(1)
	v_add_co_u32_e64 v4, s[10:11], s20, v4
	s_waitcnt vmcnt(0)
	v_addc_co_u32_e64 v5, s[10:11], v6, v5, s[10:11]
	global_load_dwordx4 v[4:7], v[4:5], off offset:256
	s_waitcnt vmcnt(0)
	ds_write2_b64 v8, v[4:5], v[6:7] offset1:1
.LBB112_33:                             ;   in Loop: Header=BB112_7 Depth=2
	s_andn2_saveexec_b64 s[10:11], s[12:13]
	s_cbranch_execz .LBB112_39
; %bb.34:                               ;   in Loop: Header=BB112_7 Depth=2
	s_and_saveexec_b64 s[12:13], s[26:27]
	s_xor_b64 s[12:13], exec, s[12:13]
; %bb.35:                               ;   in Loop: Header=BB112_7 Depth=2
	v_mov_b32_e32 v4, v2
	v_mov_b32_e32 v5, v2
	;; [unrolled: 1-line block ×4, first 2 shown]
	ds_write_b128 v36, v[4:7] offset:8448
; %bb.36:                               ;   in Loop: Header=BB112_7 Depth=2
	s_andn2_saveexec_b64 s[12:13], s[12:13]
; %bb.37:                               ;   in Loop: Header=BB112_7 Depth=2
	v_mov_b32_e32 v4, v2
	v_mov_b32_e32 v5, v2
	ds_write_b128 v36, v[2:5] offset:8448
; %bb.38:                               ;   in Loop: Header=BB112_7 Depth=2
	s_or_b64 exec, exec, s[12:13]
.LBB112_39:                             ;   in Loop: Header=BB112_7 Depth=2
	s_or_b64 exec, exec, s[10:11]
	v_mov_b32_e32 v5, s23
	v_add_co_u32_e64 v4, s[10:11], s22, v26
	v_addc_co_u32_e64 v5, s[10:11], v27, v5, s[10:11]
	v_cmp_gt_i64_e64 s[10:11], s[42:43], v[4:5]
	s_and_b64 s[12:13], vcc, s[10:11]
	s_xor_b64 s[12:13], s[12:13], -1
	s_and_saveexec_b64 s[16:17], s[12:13]
	s_xor_b64 s[12:13], exec, s[16:17]
; %bb.40:                               ;   in Loop: Header=BB112_7 Depth=2
	v_mov_b32_e32 v6, v2
	v_mov_b32_e32 v7, v2
	;; [unrolled: 1-line block ×4, first 2 shown]
	ds_write_b128 v44, v[6:9]
; %bb.41:                               ;   in Loop: Header=BB112_7 Depth=2
	s_or_saveexec_b64 s[16:17], s[12:13]
	v_mov_b32_e32 v7, s21
	v_add_co_u32_e64 v6, s[12:13], s20, v46
	v_addc_co_u32_e64 v7, s[12:13], v47, v7, s[12:13]
	s_xor_b64 exec, exec, s[16:17]
	s_cbranch_execz .LBB112_43
; %bb.42:                               ;   in Loop: Header=BB112_7 Depth=2
	global_load_dwordx4 v[8:11], v[6:7], off offset:-256
	s_waitcnt vmcnt(0)
	ds_write2_b64 v44, v[8:9], v[10:11] offset1:1
.LBB112_43:                             ;   in Loop: Header=BB112_7 Depth=2
	s_or_b64 exec, exec, s[16:17]
	v_cmp_gt_i64_e64 s[12:13], s[50:51], v[4:5]
	s_and_b64 s[16:17], vcc, s[12:13]
	s_xor_b64 s[16:17], s[16:17], -1
	s_and_saveexec_b64 s[18:19], s[16:17]
	s_xor_b64 s[16:17], exec, s[18:19]
; %bb.44:                               ;   in Loop: Header=BB112_7 Depth=2
	v_mov_b32_e32 v4, v2
	v_mov_b32_e32 v5, v2
	;; [unrolled: 1-line block ×4, first 2 shown]
	ds_write_b128 v44, v[4:7] offset:256
                                        ; implicit-def: $vgpr6_vgpr7
; %bb.45:                               ;   in Loop: Header=BB112_7 Depth=2
	s_andn2_saveexec_b64 s[16:17], s[16:17]
	s_cbranch_execz .LBB112_47
; %bb.46:                               ;   in Loop: Header=BB112_7 Depth=2
	global_load_dwordx4 v[4:7], v[6:7], off
	v_add_u32_e32 v8, 0x100, v44
	s_waitcnt vmcnt(0)
	ds_write2_b64 v8, v[4:5], v[6:7] offset1:1
.LBB112_47:                             ;   in Loop: Header=BB112_7 Depth=2
	s_or_b64 exec, exec, s[16:17]
	s_and_b64 s[10:11], s[8:9], s[10:11]
	s_xor_b64 s[10:11], s[10:11], -1
	s_and_saveexec_b64 s[16:17], s[10:11]
	s_xor_b64 s[10:11], exec, s[16:17]
; %bb.48:                               ;   in Loop: Header=BB112_7 Depth=2
	v_mov_b32_e32 v4, v2
	v_mov_b32_e32 v5, v2
	;; [unrolled: 1-line block ×4, first 2 shown]
	ds_write_b128 v44, v[4:7] offset:8192
; %bb.49:                               ;   in Loop: Header=BB112_7 Depth=2
	s_or_saveexec_b64 s[16:17], s[10:11]
	v_mov_b32_e32 v5, s21
	v_add_co_u32_e64 v4, s[10:11], s20, v48
	v_addc_co_u32_e64 v5, s[10:11], v49, v5, s[10:11]
	s_xor_b64 exec, exec, s[16:17]
	s_cbranch_execz .LBB112_51
; %bb.50:                               ;   in Loop: Header=BB112_7 Depth=2
	global_load_dwordx4 v[6:9], v[4:5], off
	v_add_u32_e32 v10, 0x2000, v44
	s_waitcnt vmcnt(0)
	ds_write2_b64 v10, v[6:7], v[8:9] offset1:1
.LBB112_51:                             ;   in Loop: Header=BB112_7 Depth=2
	s_or_b64 exec, exec, s[16:17]
	s_and_b64 s[10:11], s[8:9], s[12:13]
	s_xor_b64 s[10:11], s[10:11], -1
	s_and_saveexec_b64 s[12:13], s[10:11]
	s_xor_b64 s[10:11], exec, s[12:13]
; %bb.52:                               ;   in Loop: Header=BB112_7 Depth=2
	v_mov_b32_e32 v4, v2
	v_mov_b32_e32 v5, v2
	;; [unrolled: 1-line block ×4, first 2 shown]
	ds_write_b128 v44, v[4:7] offset:8448
                                        ; implicit-def: $vgpr4_vgpr5
; %bb.53:                               ;   in Loop: Header=BB112_7 Depth=2
	s_andn2_saveexec_b64 s[10:11], s[10:11]
	s_cbranch_execz .LBB112_6
; %bb.54:                               ;   in Loop: Header=BB112_7 Depth=2
	global_load_dwordx4 v[4:7], v[4:5], off offset:256
	v_add_u32_e32 v8, 0x2100, v44
	s_waitcnt vmcnt(0)
	ds_write2_b64 v8, v[4:5], v[6:7] offset1:1
	s_branch .LBB112_6
.LBB112_55:                             ;   in Loop: Header=BB112_4 Depth=1
	v_mov_b32_e32 v54, 0
	v_mov_b32_e32 v56, 0
	;; [unrolled: 1-line block ×16, first 2 shown]
	buffer_store_dword v20, off, s[56:59], 0 offset:48 ; 4-byte Folded Spill
	s_nop 0
	buffer_store_dword v21, off, s[56:59], 0 offset:52 ; 4-byte Folded Spill
.LBB112_56:                             ;   in Loop: Header=BB112_4 Depth=1
	buffer_load_dword v7, off, s[56:59], 0 offset:44 ; 4-byte Folded Reload
	v_mul_lo_u32 v1, s48, v1
	s_waitcnt vmcnt(0)
	v_mul_lo_u32 v6, s49, v7
	v_mad_u64_u32 v[4:5], s[8:9], s48, v7, 0
	v_cmp_gt_i32_e32 vcc, s46, v7
	v_add3_u32 v5, v5, v1, v6
	v_lshlrev_b64 v[4:5], 4, v[4:5]
	v_mov_b32_e32 v6, s53
	v_add_co_u32_e64 v1, s[8:9], s52, v4
	v_addc_co_u32_e64 v4, s[8:9], v6, v5, s[8:9]
	s_and_b64 s[8:9], s[4:5], vcc
	s_and_saveexec_b64 s[10:11], s[8:9]
	s_cbranch_execz .LBB112_58
; %bb.57:                               ;   in Loop: Header=BB112_4 Depth=1
	v_mul_f64 v[5:6], s[30:31], v[56:57]
	v_fma_f64 v[9:10], s[28:29], v[54:55], -v[5:6]
	v_mul_f64 v[5:6], s[28:29], v[56:57]
	v_fma_f64 v[20:21], s[30:31], v[54:55], v[5:6]
	v_lshlrev_b64 v[5:6], 4, v[26:27]
	v_add_co_u32_e64 v22, s[8:9], v1, v5
	v_addc_co_u32_e64 v23, s[8:9], v4, v6, s[8:9]
	global_load_dwordx4 v[5:8], v[22:23], off
	s_waitcnt vmcnt(0)
	v_add_f64 v[5:6], v[5:6], v[9:10]
	v_add_f64 v[7:8], v[20:21], v[7:8]
	global_store_dwordx4 v[22:23], v[5:8], off
.LBB112_58:                             ;   in Loop: Header=BB112_4 Depth=1
	s_or_b64 exec, exec, s[10:11]
	s_and_b64 s[10:11], s[14:15], vcc
	s_and_saveexec_b64 s[8:9], s[10:11]
	s_cbranch_execz .LBB112_60
; %bb.59:                               ;   in Loop: Header=BB112_4 Depth=1
	buffer_load_dword v5, off, s[56:59], 0 offset:60 ; 4-byte Folded Reload
	buffer_load_dword v6, off, s[56:59], 0 offset:64 ; 4-byte Folded Reload
	v_mul_f64 v[10:11], s[30:31], v[18:19]
	v_mul_f64 v[18:19], s[28:29], v[18:19]
	v_fma_f64 v[10:11], s[28:29], v[16:17], -v[10:11]
	v_fma_f64 v[16:17], s[30:31], v[16:17], v[18:19]
	s_waitcnt vmcnt(0)
	v_lshlrev_b64 v[5:6], 4, v[5:6]
	v_add_co_u32_e32 v8, vcc, v1, v5
	v_addc_co_u32_e32 v9, vcc, v4, v6, vcc
	global_load_dwordx4 v[4:7], v[8:9], off
	s_waitcnt vmcnt(0)
	v_add_f64 v[4:5], v[4:5], v[10:11]
	v_add_f64 v[6:7], v[16:17], v[6:7]
	global_store_dwordx4 v[8:9], v[4:7], off
.LBB112_60:                             ;   in Loop: Header=BB112_4 Depth=1
	s_or_b64 exec, exec, s[8:9]
	buffer_load_dword v1, off, s[56:59], 0 offset:44 ; 4-byte Folded Reload
	s_waitcnt vmcnt(0)
	v_add_u32_e32 v1, 16, v1
	v_ashrrev_i32_e32 v4, 31, v1
	v_mul_lo_u32 v6, s48, v4
	v_mul_lo_u32 v7, s49, v1
	v_mad_u64_u32 v[4:5], s[8:9], s48, v1, 0
	v_cmp_gt_i32_e32 vcc, s46, v1
	v_add3_u32 v5, v5, v6, v7
	v_lshlrev_b64 v[4:5], 4, v[4:5]
	v_mov_b32_e32 v6, s53
	v_add_co_u32_e64 v1, s[8:9], s52, v4
	v_addc_co_u32_e64 v4, s[8:9], v6, v5, s[8:9]
	s_and_b64 s[8:9], s[4:5], vcc
	s_mov_b64 s[10:11], exec
	buffer_load_dword v20, off, s[56:59], 0 offset:48 ; 4-byte Folded Reload
	buffer_load_dword v21, off, s[56:59], 0 offset:52 ; 4-byte Folded Reload
	s_and_b64 s[8:9], s[10:11], s[8:9]
	s_mov_b64 exec, s[8:9]
	s_cbranch_execz .LBB112_62
; %bb.61:                               ;   in Loop: Header=BB112_4 Depth=1
	v_lshlrev_b64 v[5:6], 4, v[26:27]
	v_mul_f64 v[16:17], s[30:31], v[52:53]
	v_add_co_u32_e64 v9, s[8:9], v1, v5
	v_addc_co_u32_e64 v10, s[8:9], v4, v6, s[8:9]
	global_load_dwordx4 v[5:8], v[9:10], off
	v_mul_f64 v[18:19], s[28:29], v[52:53]
	v_fma_f64 v[16:17], s[28:29], v[50:51], -v[16:17]
	v_fma_f64 v[18:19], s[30:31], v[50:51], v[18:19]
	s_waitcnt vmcnt(0)
	v_add_f64 v[5:6], v[5:6], v[16:17]
	v_add_f64 v[7:8], v[18:19], v[7:8]
	global_store_dwordx4 v[9:10], v[5:8], off
.LBB112_62:                             ;   in Loop: Header=BB112_4 Depth=1
	s_or_b64 exec, exec, s[10:11]
	s_and_b64 s[10:11], s[14:15], vcc
	s_and_saveexec_b64 s[8:9], s[10:11]
	s_cbranch_execz .LBB112_3
; %bb.63:                               ;   in Loop: Header=BB112_4 Depth=1
	buffer_load_dword v5, off, s[56:59], 0 offset:60 ; 4-byte Folded Reload
	buffer_load_dword v6, off, s[56:59], 0 offset:64 ; 4-byte Folded Reload
	v_mul_f64 v[10:11], s[30:31], v[12:13]
	v_mul_f64 v[12:13], s[28:29], v[12:13]
	v_fma_f64 v[10:11], s[28:29], v[14:15], -v[10:11]
	v_fma_f64 v[12:13], s[30:31], v[14:15], v[12:13]
	s_waitcnt vmcnt(0)
	v_lshlrev_b64 v[5:6], 4, v[5:6]
	v_add_co_u32_e32 v8, vcc, v1, v5
	v_addc_co_u32_e32 v9, vcc, v4, v6, vcc
	global_load_dwordx4 v[4:7], v[8:9], off
	s_waitcnt vmcnt(0)
	v_add_f64 v[4:5], v[4:5], v[10:11]
	v_add_f64 v[6:7], v[12:13], v[6:7]
	global_store_dwordx4 v[8:9], v[4:7], off
	s_branch .LBB112_3
.LBB112_64:
	s_endpgm
	.section	.rodata,"a",@progbits
	.p2align	6, 0x0
	.amdhsa_kernel _ZL30rocblas_trmm_outofplace_kernelI19rocblas_complex_numIdELi32ELi2ELb1ELb0ELb1ELb0EPKS1_S2_S1_Ev17rocblas_diagonal_iiT6_lPT7_lllS7_lllPT8_llli
		.amdhsa_group_segment_fixed_size 32768
		.amdhsa_private_segment_fixed_size 88
		.amdhsa_kernarg_size 392
		.amdhsa_user_sgpr_count 6
		.amdhsa_user_sgpr_private_segment_buffer 1
		.amdhsa_user_sgpr_dispatch_ptr 0
		.amdhsa_user_sgpr_queue_ptr 0
		.amdhsa_user_sgpr_kernarg_segment_ptr 1
		.amdhsa_user_sgpr_dispatch_id 0
		.amdhsa_user_sgpr_flat_scratch_init 0
		.amdhsa_user_sgpr_private_segment_size 0
		.amdhsa_uses_dynamic_stack 0
		.amdhsa_system_sgpr_private_segment_wavefront_offset 1
		.amdhsa_system_sgpr_workgroup_id_x 1
		.amdhsa_system_sgpr_workgroup_id_y 1
		.amdhsa_system_sgpr_workgroup_id_z 1
		.amdhsa_system_sgpr_workgroup_info 0
		.amdhsa_system_vgpr_workitem_id 1
		.amdhsa_next_free_vgpr 64
		.amdhsa_next_free_sgpr 61
		.amdhsa_reserve_vcc 1
		.amdhsa_reserve_flat_scratch 0
		.amdhsa_float_round_mode_32 0
		.amdhsa_float_round_mode_16_64 0
		.amdhsa_float_denorm_mode_32 3
		.amdhsa_float_denorm_mode_16_64 3
		.amdhsa_dx10_clamp 1
		.amdhsa_ieee_mode 1
		.amdhsa_fp16_overflow 0
		.amdhsa_exception_fp_ieee_invalid_op 0
		.amdhsa_exception_fp_denorm_src 0
		.amdhsa_exception_fp_ieee_div_zero 0
		.amdhsa_exception_fp_ieee_overflow 0
		.amdhsa_exception_fp_ieee_underflow 0
		.amdhsa_exception_fp_ieee_inexact 0
		.amdhsa_exception_int_div_zero 0
	.end_amdhsa_kernel
	.section	.text._ZL30rocblas_trmm_outofplace_kernelI19rocblas_complex_numIdELi32ELi2ELb1ELb0ELb1ELb0EPKS1_S2_S1_Ev17rocblas_diagonal_iiT6_lPT7_lllS7_lllPT8_llli,"axG",@progbits,_ZL30rocblas_trmm_outofplace_kernelI19rocblas_complex_numIdELi32ELi2ELb1ELb0ELb1ELb0EPKS1_S2_S1_Ev17rocblas_diagonal_iiT6_lPT7_lllS7_lllPT8_llli,comdat
.Lfunc_end112:
	.size	_ZL30rocblas_trmm_outofplace_kernelI19rocblas_complex_numIdELi32ELi2ELb1ELb0ELb1ELb0EPKS1_S2_S1_Ev17rocblas_diagonal_iiT6_lPT7_lllS7_lllPT8_llli, .Lfunc_end112-_ZL30rocblas_trmm_outofplace_kernelI19rocblas_complex_numIdELi32ELi2ELb1ELb0ELb1ELb0EPKS1_S2_S1_Ev17rocblas_diagonal_iiT6_lPT7_lllS7_lllPT8_llli
                                        ; -- End function
	.set _ZL30rocblas_trmm_outofplace_kernelI19rocblas_complex_numIdELi32ELi2ELb1ELb0ELb1ELb0EPKS1_S2_S1_Ev17rocblas_diagonal_iiT6_lPT7_lllS7_lllPT8_llli.num_vgpr, 64
	.set _ZL30rocblas_trmm_outofplace_kernelI19rocblas_complex_numIdELi32ELi2ELb1ELb0ELb1ELb0EPKS1_S2_S1_Ev17rocblas_diagonal_iiT6_lPT7_lllS7_lllPT8_llli.num_agpr, 0
	.set _ZL30rocblas_trmm_outofplace_kernelI19rocblas_complex_numIdELi32ELi2ELb1ELb0ELb1ELb0EPKS1_S2_S1_Ev17rocblas_diagonal_iiT6_lPT7_lllS7_lllPT8_llli.numbered_sgpr, 60
	.set _ZL30rocblas_trmm_outofplace_kernelI19rocblas_complex_numIdELi32ELi2ELb1ELb0ELb1ELb0EPKS1_S2_S1_Ev17rocblas_diagonal_iiT6_lPT7_lllS7_lllPT8_llli.num_named_barrier, 0
	.set _ZL30rocblas_trmm_outofplace_kernelI19rocblas_complex_numIdELi32ELi2ELb1ELb0ELb1ELb0EPKS1_S2_S1_Ev17rocblas_diagonal_iiT6_lPT7_lllS7_lllPT8_llli.private_seg_size, 88
	.set _ZL30rocblas_trmm_outofplace_kernelI19rocblas_complex_numIdELi32ELi2ELb1ELb0ELb1ELb0EPKS1_S2_S1_Ev17rocblas_diagonal_iiT6_lPT7_lllS7_lllPT8_llli.uses_vcc, 1
	.set _ZL30rocblas_trmm_outofplace_kernelI19rocblas_complex_numIdELi32ELi2ELb1ELb0ELb1ELb0EPKS1_S2_S1_Ev17rocblas_diagonal_iiT6_lPT7_lllS7_lllPT8_llli.uses_flat_scratch, 0
	.set _ZL30rocblas_trmm_outofplace_kernelI19rocblas_complex_numIdELi32ELi2ELb1ELb0ELb1ELb0EPKS1_S2_S1_Ev17rocblas_diagonal_iiT6_lPT7_lllS7_lllPT8_llli.has_dyn_sized_stack, 0
	.set _ZL30rocblas_trmm_outofplace_kernelI19rocblas_complex_numIdELi32ELi2ELb1ELb0ELb1ELb0EPKS1_S2_S1_Ev17rocblas_diagonal_iiT6_lPT7_lllS7_lllPT8_llli.has_recursion, 0
	.set _ZL30rocblas_trmm_outofplace_kernelI19rocblas_complex_numIdELi32ELi2ELb1ELb0ELb1ELb0EPKS1_S2_S1_Ev17rocblas_diagonal_iiT6_lPT7_lllS7_lllPT8_llli.has_indirect_call, 0
	.section	.AMDGPU.csdata,"",@progbits
; Kernel info:
; codeLenInByte = 10620
; TotalNumSgprs: 64
; NumVgprs: 64
; ScratchSize: 88
; MemoryBound: 0
; FloatMode: 240
; IeeeMode: 1
; LDSByteSize: 32768 bytes/workgroup (compile time only)
; SGPRBlocks: 8
; VGPRBlocks: 15
; NumSGPRsForWavesPerEU: 65
; NumVGPRsForWavesPerEU: 64
; Occupancy: 4
; WaveLimiterHint : 0
; COMPUTE_PGM_RSRC2:SCRATCH_EN: 1
; COMPUTE_PGM_RSRC2:USER_SGPR: 6
; COMPUTE_PGM_RSRC2:TRAP_HANDLER: 0
; COMPUTE_PGM_RSRC2:TGID_X_EN: 1
; COMPUTE_PGM_RSRC2:TGID_Y_EN: 1
; COMPUTE_PGM_RSRC2:TGID_Z_EN: 1
; COMPUTE_PGM_RSRC2:TIDIG_COMP_CNT: 1
	.section	.text._ZL30rocblas_trmm_outofplace_kernelI19rocblas_complex_numIdELi32ELi2ELb1ELb0ELb1ELb0ES1_KS1_S1_Ev17rocblas_diagonal_iiT6_lPT7_lllS6_lllPT8_llli,"axG",@progbits,_ZL30rocblas_trmm_outofplace_kernelI19rocblas_complex_numIdELi32ELi2ELb1ELb0ELb1ELb0ES1_KS1_S1_Ev17rocblas_diagonal_iiT6_lPT7_lllS6_lllPT8_llli,comdat
	.globl	_ZL30rocblas_trmm_outofplace_kernelI19rocblas_complex_numIdELi32ELi2ELb1ELb0ELb1ELb0ES1_KS1_S1_Ev17rocblas_diagonal_iiT6_lPT7_lllS6_lllPT8_llli ; -- Begin function _ZL30rocblas_trmm_outofplace_kernelI19rocblas_complex_numIdELi32ELi2ELb1ELb0ELb1ELb0ES1_KS1_S1_Ev17rocblas_diagonal_iiT6_lPT7_lllS6_lllPT8_llli
	.p2align	8
	.type	_ZL30rocblas_trmm_outofplace_kernelI19rocblas_complex_numIdELi32ELi2ELb1ELb0ELb1ELb0ES1_KS1_S1_Ev17rocblas_diagonal_iiT6_lPT7_lllS6_lllPT8_llli,@function
_ZL30rocblas_trmm_outofplace_kernelI19rocblas_complex_numIdELi32ELi2ELb1ELb0ELb1ELb0ES1_KS1_S1_Ev17rocblas_diagonal_iiT6_lPT7_lllS6_lllPT8_llli: ; @_ZL30rocblas_trmm_outofplace_kernelI19rocblas_complex_numIdELi32ELi2ELb1ELb0ELb1ELb0ES1_KS1_S1_Ev17rocblas_diagonal_iiT6_lPT7_lllS6_lllPT8_llli
; %bb.0:
	s_load_dwordx4 s[44:47], s[4:5], 0x10
	s_mov_b64 s[58:59], s[2:3]
	s_mov_b64 s[56:57], s[0:1]
	s_add_u32 s56, s56, s9
	s_addc_u32 s57, s57, 0
	s_waitcnt lgkmcnt(0)
	v_cmp_eq_f64_e64 s[0:1], s[44:45], 0
	v_cmp_eq_f64_e64 s[2:3], s[46:47], 0
	buffer_store_dword v1, off, s[56:59], 0 offset:56 ; 4-byte Folded Spill
	s_and_b64 s[0:1], s[0:1], s[2:3]
	s_and_b64 vcc, exec, s[0:1]
	s_cbranch_vccnz .LBB113_64
; %bb.1:
	s_load_dwordx4 s[48:51], s[4:5], 0x0
	s_waitcnt lgkmcnt(0)
	s_add_i32 s0, s50, -1
	s_ashr_i32 s1, s0, 31
	s_lshr_b32 s1, s1, 27
	s_add_i32 s0, s0, s1
	s_ashr_i32 s33, s0, 5
	s_cmp_gt_i32 s7, s33
	s_cbranch_scc1 .LBB113_64
; %bb.2:
	s_load_dwordx8 s[36:43], s[4:5], 0x68
	s_load_dwordx16 s[16:31], s[4:5], 0x28
	buffer_load_dword v9, off, s[56:59], 0 offset:56 ; 4-byte Folded Reload
	s_load_dword s54, s[4:5], 0x94
	s_waitcnt lgkmcnt(0)
	s_mul_i32 s1, s43, s8
	s_mul_hi_u32 s2, s42, s8
	s_mul_i32 s0, s42, s8
	s_add_i32 s1, s2, s1
	s_lshl_b64 s[0:1], s[0:1], 4
	s_add_u32 s2, s36, s0
	s_addc_u32 s3, s37, s1
	s_lshl_b64 s[0:1], s[38:39], 4
	s_add_u32 s51, s2, s0
	s_addc_u32 s52, s3, s1
	s_lshl_b32 s0, s6, 5
	v_add_u32_e32 v26, s0, v0
	v_lshlrev_b32_e32 v0, 4, v0
	v_ashrrev_i32_e32 v27, 31, v26
	s_sub_i32 s6, s49, s0
	s_cmp_gt_i32 s6, 0
	s_cselect_b64 s[34:35], -1, 0
	s_cmpk_eq_i32 s48, 0x84
	s_cselect_b64 s[36:37], -1, 0
	s_ashr_i32 s39, s49, 31
	s_ashr_i32 s53, s50, 31
	s_add_u32 s42, s49, -16
	s_mul_i32 s9, s31, s8
	s_mul_hi_u32 s10, s30, s8
	s_addc_u32 s43, s39, -1
	s_add_i32 s11, s10, s9
	s_mul_i32 s10, s30, s8
	s_lshl_b64 s[10:11], s[10:11], 4
	s_lshl_b64 s[12:13], s[26:27], 4
	s_mov_b32 s38, s49
	s_add_u32 s9, s10, s12
	s_addc_u32 s10, s11, s13
	s_add_u32 s9, s24, s9
	s_addc_u32 s10, s25, s10
	v_lshlrev_b64 v[7:8], 4, v[26:27]
	v_mov_b32_e32 v3, s10
	v_mul_lo_u32 v4, s20, v27
	v_mul_lo_u32 v5, s21, v26
	s_lshl_b64 s[24:25], s[28:29], 4
	s_lshl_b32 s55, s54, 5
	s_movk_i32 s48, 0x100
	v_cmp_gt_i32_e64 s[4:5], s49, v26
	s_waitcnt vmcnt(0)
	v_lshlrev_b32_e32 v1, 9, v9
	v_add_u32_e32 v36, v0, v1
	v_add_u32_e32 v37, 0x4000, v1
	v_add_co_u32_e32 v1, vcc, 16, v26
	v_addc_co_u32_e32 v2, vcc, 0, v27, vcc
	buffer_store_dword v1, off, s[56:59], 0 ; 4-byte Folded Spill
	s_nop 0
	buffer_store_dword v2, off, s[56:59], 0 offset:4 ; 4-byte Folded Spill
	v_add_u32_e32 v24, s0, v9
	v_ashrrev_i32_e32 v25, 31, v24
	v_sub_co_u32_e32 v10, vcc, v26, v24
	v_subb_co_u32_e32 v11, vcc, v27, v25, vcc
	v_add_co_u32_e32 v12, vcc, s9, v7
	s_mul_i32 s9, s23, s8
	v_addc_co_u32_e32 v13, vcc, v3, v8, vcc
	v_cmp_le_i32_e64 s[0:1], s49, v26
	v_add_u32_e32 v44, v37, v0
	v_lshl_add_u32 v20, s7, 5, v9
	v_cmp_le_i64_e64 s[2:3], s[38:39], v[1:2]
	v_add_u32_e32 v1, 16, v26
	v_ashrrev_i32_e32 v2, 31, v1
	v_cmp_gt_i32_e64 s[14:15], s49, v1
	buffer_store_dword v1, off, s[56:59], 0 offset:60 ; 4-byte Folded Spill
	s_nop 0
	buffer_store_dword v2, off, s[56:59], 0 offset:64 ; 4-byte Folded Spill
	v_mad_u64_u32 v[1:2], s[10:11], s20, v26, 0
	s_mul_hi_u32 s10, s22, s8
	s_add_i32 s9, s10, s9
	s_mul_i32 s8, s22, s8
	v_add3_u32 v2, v2, v4, v5
	s_lshl_b64 s[8:9], s[8:9], 4
	s_lshl_b64 s[10:11], s[18:19], 4
	v_lshlrev_b64 v[1:2], 4, v[1:2]
	s_add_u32 s8, s10, s8
	s_addc_u32 s9, s11, s9
	v_mov_b32_e32 v3, s9
	v_add_co_u32_e32 v4, vcc, s8, v1
	v_addc_co_u32_e32 v3, vcc, v3, v2, vcc
	v_lshlrev_b64 v[1:2], 4, v[24:25]
	v_mov_b32_e32 v5, s17
	v_add_co_u32_e32 v4, vcc, v4, v1
	v_addc_co_u32_e32 v3, vcc, v3, v2, vcc
	v_add_co_u32_e32 v6, vcc, s16, v4
	v_addc_co_u32_e32 v5, vcc, v5, v3, vcc
	v_add_co_u32_e32 v7, vcc, s48, v7
	v_mov_b32_e32 v3, s8
	v_addc_co_u32_e32 v8, vcc, 0, v8, vcc
	v_mov_b32_e32 v4, s9
	v_mad_u64_u32 v[3:4], s[8:9], s20, v7, v[3:4]
	v_mul_lo_u32 v8, s20, v8
	v_mul_lo_u32 v7, s21, v7
	v_add_co_u32_e32 v14, vcc, 16, v10
	v_addc_co_u32_e32 v15, vcc, 0, v11, vcc
	buffer_store_dword v14, off, s[56:59], 0 offset:16 ; 4-byte Folded Spill
	s_nop 0
	buffer_store_dword v15, off, s[56:59], 0 offset:20 ; 4-byte Folded Spill
	v_add3_u32 v4, v7, v4, v8
	v_add_co_u32_e32 v7, vcc, -16, v10
	buffer_store_dword v10, off, s[56:59], 0 offset:8 ; 4-byte Folded Spill
	s_nop 0
	buffer_store_dword v11, off, s[56:59], 0 offset:12 ; 4-byte Folded Spill
	v_addc_co_u32_e32 v8, vcc, -1, v11, vcc
	v_add_co_u32_e32 v1, vcc, v3, v1
	v_addc_co_u32_e32 v2, vcc, v4, v2, vcc
	v_mov_b32_e32 v3, s17
	v_add_co_u32_e32 v1, vcc, s16, v1
	buffer_store_dword v7, off, s[56:59], 0 offset:24 ; 4-byte Folded Spill
	s_nop 0
	buffer_store_dword v8, off, s[56:59], 0 offset:28 ; 4-byte Folded Spill
	buffer_store_dword v1, off, s[56:59], 0 offset:32 ; 4-byte Folded Spill
	v_addc_co_u32_e32 v1, vcc, v3, v2, vcc
	buffer_store_dword v1, off, s[56:59], 0 offset:36 ; 4-byte Folded Spill
	v_add_co_u32_e32 v1, vcc, s48, v12
	buffer_store_dword v12, off, s[56:59], 0 offset:68 ; 4-byte Folded Spill
	s_nop 0
	buffer_store_dword v13, off, s[56:59], 0 offset:72 ; 4-byte Folded Spill
	v_mov_b32_e32 v3, 0x3ff00000
	v_addc_co_u32_e32 v2, vcc, 0, v13, vcc
	buffer_store_dword v1, off, s[56:59], 0 offset:76 ; 4-byte Folded Spill
	s_nop 0
	buffer_store_dword v2, off, s[56:59], 0 offset:80 ; 4-byte Folded Spill
	v_add_co_u32_e32 v45, vcc, s48, v6
	v_addc_co_u32_e32 v1, vcc, 0, v5, vcc
	v_mov_b32_e32 v2, 0
	buffer_store_dword v1, off, s[56:59], 0 offset:40 ; 4-byte Folded Spill
	s_branch .LBB113_4
.LBB113_3:                              ;   in Loop: Header=BB113_4 Depth=1
	s_or_b64 exec, exec, s[8:9]
	s_add_i32 s7, s54, s7
	s_cmp_le_i32 s7, s33
	s_waitcnt vmcnt(1)
	v_add_u32_e32 v20, s55, v20
	s_cbranch_scc0 .LBB113_64
.LBB113_4:                              ; =>This Loop Header: Depth=1
                                        ;     Child Loop BB113_7 Depth 2
	buffer_load_dword v1, off, s[56:59], 0 offset:56 ; 4-byte Folded Reload
	s_andn2_b64 vcc, exec, s[34:35]
	s_waitcnt vmcnt(0)
	v_lshl_add_u32 v11, s7, 5, v1
	v_ashrrev_i32_e32 v1, 31, v11
	buffer_store_dword v11, off, s[56:59], 0 offset:44 ; 4-byte Folded Spill
	s_cbranch_vccnz .LBB113_55
; %bb.5:                                ;   in Loop: Header=BB113_4 Depth=1
	buffer_load_dword v4, off, s[56:59], 0 offset:76 ; 4-byte Folded Reload
	buffer_load_dword v5, off, s[56:59], 0 offset:80 ; 4-byte Folded Reload
	v_ashrrev_i32_e32 v21, 31, v20
	v_mul_lo_u32 v6, s25, v20
	v_mul_lo_u32 v7, s24, v21
	v_mov_b32_e32 v12, 0
	v_mov_b32_e32 v14, 0
	v_mov_b32_e32 v52, 0
	v_mov_b32_e32 v50, 0
	v_mov_b32_e32 v18, 0
	v_mov_b32_e32 v16, 0
	v_mov_b32_e32 v56, 0
	v_mov_b32_e32 v54, 0
	s_mov_b64 s[20:21], 0
	v_mov_b32_e32 v13, 0
	v_mov_b32_e32 v15, 0
	;; [unrolled: 1-line block ×8, first 2 shown]
	s_mov_b64 s[22:23], 0
	s_waitcnt vmcnt(0)
	v_mad_u64_u32 v[46:47], s[8:9], s24, v20, v[4:5]
	v_mov_b32_e32 v4, v20
	buffer_store_dword v4, off, s[56:59], 0 offset:48 ; 4-byte Folded Spill
	s_nop 0
	buffer_store_dword v5, off, s[56:59], 0 offset:52 ; 4-byte Folded Spill
	buffer_load_dword v9, off, s[56:59], 0 offset:68 ; 4-byte Folded Reload
	buffer_load_dword v10, off, s[56:59], 0 offset:72 ; 4-byte Folded Reload
	v_lshlrev_b64 v[4:5], 4, v[20:21]
	v_add3_u32 v47, v6, v47, v7
	v_add_co_u32_e32 v4, vcc, 0x100, v4
	v_addc_co_u32_e32 v5, vcc, 0, v5, vcc
	v_mul_lo_u32 v5, s28, v5
	v_mul_lo_u32 v8, s29, v4
	s_waitcnt vmcnt(0)
	v_mad_u64_u32 v[48:49], s[8:9], s28, v4, v[9:10]
	v_sub_co_u32_e32 v4, vcc, s50, v11
	v_add3_u32 v49, v8, v49, v5
	v_mov_b32_e32 v5, s53
	v_subb_co_u32_e32 v5, vcc, v5, v1, vcc
	v_cmp_lt_i64_e32 vcc, 0, v[4:5]
	v_cmp_lt_i64_e64 s[8:9], 16, v[4:5]
	s_branch .LBB113_7
.LBB113_6:                              ;   in Loop: Header=BB113_7 Depth=2
	s_or_b64 exec, exec, s[10:11]
	s_waitcnt lgkmcnt(0)
	s_barrier
	ds_read_b128 v[58:61], v37
	ds_read_b128 v[20:23], v37 offset:16
	ds_read_b128 v[8:11], v37 offset:32
	;; [unrolled: 1-line block ×3, first 2 shown]
	ds_read_b128 v[32:35], v0
	s_add_u32 s22, s22, 32
	s_addc_u32 s23, s23, 0
	s_add_u32 s20, s20, 0x200
	s_addc_u32 s21, s21, 0
	s_waitcnt lgkmcnt(0)
	v_mul_f64 v[42:43], v[60:61], v[34:35]
	v_mul_f64 v[62:63], v[58:59], v[34:35]
	s_cmp_ge_i32 s22, s6
	v_fma_f64 v[42:43], v[58:59], v[32:33], -v[42:43]
	v_fma_f64 v[62:63], v[60:61], v[32:33], v[62:63]
	v_add_f64 v[28:29], v[54:55], v[42:43]
	v_add_f64 v[30:31], v[62:63], v[56:57]
	ds_read_b128 v[54:57], v0 offset:256
	s_waitcnt lgkmcnt(0)
	v_mul_f64 v[42:43], v[60:61], v[56:57]
	v_fma_f64 v[42:43], v[58:59], v[54:55], -v[42:43]
	v_mul_f64 v[58:59], v[58:59], v[56:57]
	v_add_f64 v[38:39], v[16:17], v[42:43]
	v_fma_f64 v[58:59], v[60:61], v[54:55], v[58:59]
	v_add_f64 v[40:41], v[58:59], v[18:19]
	ds_read_b128 v[16:19], v37 offset:8192
	s_waitcnt lgkmcnt(0)
	v_mul_f64 v[42:43], v[18:19], v[34:35]
	v_mul_f64 v[34:35], v[16:17], v[34:35]
	v_fma_f64 v[42:43], v[16:17], v[32:33], -v[42:43]
	v_fma_f64 v[32:33], v[18:19], v[32:33], v[34:35]
	v_add_f64 v[62:63], v[50:51], v[42:43]
	v_add_f64 v[42:43], v[32:33], v[52:53]
	v_mul_f64 v[32:33], v[18:19], v[56:57]
	v_fma_f64 v[32:33], v[16:17], v[54:55], -v[32:33]
	v_mul_f64 v[16:17], v[16:17], v[56:57]
	v_add_f64 v[58:59], v[14:15], v[32:33]
	v_fma_f64 v[16:17], v[18:19], v[54:55], v[16:17]
	ds_read_b128 v[32:35], v0 offset:1280
	v_add_f64 v[60:61], v[16:17], v[12:13]
	ds_read_b128 v[16:19], v0 offset:512
	s_waitcnt lgkmcnt(0)
	v_mul_f64 v[12:13], v[22:23], v[18:19]
	v_mul_f64 v[14:15], v[20:21], v[18:19]
	v_fma_f64 v[12:13], v[20:21], v[16:17], -v[12:13]
	v_fma_f64 v[14:15], v[22:23], v[16:17], v[14:15]
	v_add_f64 v[54:55], v[28:29], v[12:13]
	v_add_f64 v[56:57], v[14:15], v[30:31]
	ds_read_b128 v[12:15], v0 offset:768
	s_waitcnt lgkmcnt(0)
	v_mul_f64 v[28:29], v[22:23], v[14:15]
	v_fma_f64 v[28:29], v[20:21], v[12:13], -v[28:29]
	v_mul_f64 v[20:21], v[20:21], v[14:15]
	v_add_f64 v[50:51], v[38:39], v[28:29]
	v_fma_f64 v[20:21], v[22:23], v[12:13], v[20:21]
	v_mul_f64 v[38:39], v[10:11], v[34:35]
	v_add_f64 v[52:53], v[20:21], v[40:41]
	ds_read_b128 v[20:23], v37 offset:8208
	v_fma_f64 v[38:39], v[8:9], v[32:33], -v[38:39]
	s_waitcnt lgkmcnt(0)
	v_mul_f64 v[28:29], v[22:23], v[18:19]
	v_mul_f64 v[18:19], v[20:21], v[18:19]
	v_add_f64 v[38:39], v[50:51], v[38:39]
	v_fma_f64 v[28:29], v[20:21], v[16:17], -v[28:29]
	v_fma_f64 v[18:19], v[22:23], v[16:17], v[18:19]
	v_add_f64 v[16:17], v[62:63], v[28:29]
	v_mul_f64 v[28:29], v[22:23], v[14:15]
	v_mul_f64 v[14:15], v[20:21], v[14:15]
	v_add_f64 v[18:19], v[18:19], v[42:43]
	v_fma_f64 v[28:29], v[20:21], v[12:13], -v[28:29]
	v_fma_f64 v[14:15], v[22:23], v[12:13], v[14:15]
	ds_read_b128 v[20:23], v0 offset:1024
	s_waitcnt lgkmcnt(0)
	v_mul_f64 v[30:31], v[8:9], v[22:23]
	v_add_f64 v[12:13], v[58:59], v[28:29]
	v_mul_f64 v[28:29], v[10:11], v[22:23]
	v_add_f64 v[14:15], v[14:15], v[60:61]
	v_fma_f64 v[30:31], v[10:11], v[20:21], v[30:31]
	v_fma_f64 v[28:29], v[8:9], v[20:21], -v[28:29]
	v_mul_f64 v[8:9], v[8:9], v[34:35]
	v_add_f64 v[30:31], v[30:31], v[56:57]
	v_add_f64 v[28:29], v[54:55], v[28:29]
	v_fma_f64 v[8:9], v[10:11], v[32:33], v[8:9]
	v_add_f64 v[40:41], v[8:9], v[52:53]
	ds_read_b128 v[8:11], v37 offset:8224
	s_waitcnt lgkmcnt(0)
	v_mul_f64 v[42:43], v[10:11], v[22:23]
	v_mul_f64 v[22:23], v[8:9], v[22:23]
	v_fma_f64 v[42:43], v[8:9], v[20:21], -v[42:43]
	v_fma_f64 v[20:21], v[10:11], v[20:21], v[22:23]
	v_add_f64 v[42:43], v[16:17], v[42:43]
	v_mul_f64 v[16:17], v[10:11], v[34:35]
	v_add_f64 v[50:51], v[20:21], v[18:19]
	v_fma_f64 v[16:17], v[8:9], v[32:33], -v[16:17]
	v_mul_f64 v[8:9], v[8:9], v[34:35]
	v_add_f64 v[20:21], v[12:13], v[16:17]
	v_fma_f64 v[8:9], v[10:11], v[32:33], v[8:9]
	ds_read_b128 v[32:35], v37 offset:8240
	v_add_f64 v[22:23], v[8:9], v[14:15]
	ds_read_b128 v[12:15], v0 offset:1536
	s_waitcnt lgkmcnt(0)
	v_mul_f64 v[8:9], v[6:7], v[14:15]
	v_mul_f64 v[10:11], v[4:5], v[14:15]
	v_fma_f64 v[8:9], v[4:5], v[12:13], -v[8:9]
	v_fma_f64 v[10:11], v[6:7], v[12:13], v[10:11]
	v_add_f64 v[16:17], v[28:29], v[8:9]
	v_add_f64 v[18:19], v[10:11], v[30:31]
	ds_read_b128 v[8:11], v0 offset:1792
	s_waitcnt lgkmcnt(0)
	v_mul_f64 v[28:29], v[6:7], v[10:11]
	v_fma_f64 v[28:29], v[4:5], v[8:9], -v[28:29]
	v_mul_f64 v[4:5], v[4:5], v[10:11]
	v_fma_f64 v[6:7], v[6:7], v[8:9], v[4:5]
	v_add_f64 v[4:5], v[38:39], v[28:29]
	v_mul_f64 v[28:29], v[34:35], v[14:15]
	v_mul_f64 v[14:15], v[32:33], v[14:15]
	v_add_f64 v[6:7], v[6:7], v[40:41]
	v_fma_f64 v[28:29], v[32:33], v[12:13], -v[28:29]
	v_fma_f64 v[14:15], v[34:35], v[12:13], v[14:15]
	v_add_f64 v[12:13], v[42:43], v[28:29]
	v_mul_f64 v[28:29], v[34:35], v[10:11]
	v_mul_f64 v[10:11], v[32:33], v[10:11]
	v_add_f64 v[14:15], v[14:15], v[50:51]
	v_fma_f64 v[28:29], v[32:33], v[8:9], -v[28:29]
	v_fma_f64 v[8:9], v[34:35], v[8:9], v[10:11]
	v_add_f64 v[28:29], v[20:21], v[28:29]
	v_add_f64 v[30:31], v[8:9], v[22:23]
	ds_read_b128 v[8:11], v37 offset:64
	ds_read_b128 v[20:23], v0 offset:2048
	s_waitcnt lgkmcnt(0)
	v_mul_f64 v[32:33], v[10:11], v[22:23]
	v_mul_f64 v[34:35], v[8:9], v[22:23]
	v_fma_f64 v[32:33], v[8:9], v[20:21], -v[32:33]
	v_fma_f64 v[34:35], v[10:11], v[20:21], v[34:35]
	v_add_f64 v[16:17], v[16:17], v[32:33]
	v_add_f64 v[18:19], v[34:35], v[18:19]
	ds_read_b128 v[32:35], v0 offset:2304
	s_waitcnt lgkmcnt(0)
	v_mul_f64 v[38:39], v[10:11], v[34:35]
	v_fma_f64 v[38:39], v[8:9], v[32:33], -v[38:39]
	v_mul_f64 v[8:9], v[8:9], v[34:35]
	v_add_f64 v[38:39], v[4:5], v[38:39]
	v_fma_f64 v[8:9], v[10:11], v[32:33], v[8:9]
	v_add_f64 v[40:41], v[8:9], v[6:7]
	ds_read_b128 v[4:7], v37 offset:8256
	s_waitcnt lgkmcnt(0)
	v_mul_f64 v[8:9], v[6:7], v[22:23]
	v_mul_f64 v[10:11], v[4:5], v[22:23]
	v_fma_f64 v[8:9], v[4:5], v[20:21], -v[8:9]
	v_fma_f64 v[10:11], v[6:7], v[20:21], v[10:11]
	v_add_f64 v[20:21], v[12:13], v[8:9]
	v_mul_f64 v[8:9], v[6:7], v[34:35]
	v_add_f64 v[22:23], v[10:11], v[14:15]
	v_fma_f64 v[8:9], v[4:5], v[32:33], -v[8:9]
	v_mul_f64 v[4:5], v[4:5], v[34:35]
	v_add_f64 v[12:13], v[28:29], v[8:9]
	v_fma_f64 v[4:5], v[6:7], v[32:33], v[4:5]
	ds_read_b128 v[32:35], v37 offset:80
	ds_read_b128 v[8:11], v0 offset:2560
	s_waitcnt lgkmcnt(0)
	v_mul_f64 v[6:7], v[32:33], v[10:11]
	v_add_f64 v[14:15], v[4:5], v[30:31]
	v_mul_f64 v[4:5], v[34:35], v[10:11]
	v_fma_f64 v[6:7], v[34:35], v[8:9], v[6:7]
	v_fma_f64 v[4:5], v[32:33], v[8:9], -v[4:5]
	v_add_f64 v[52:53], v[6:7], v[18:19]
	v_add_f64 v[50:51], v[16:17], v[4:5]
	ds_read_b128 v[4:7], v0 offset:2816
	s_waitcnt lgkmcnt(0)
	v_mul_f64 v[16:17], v[34:35], v[6:7]
	v_mul_f64 v[18:19], v[32:33], v[6:7]
	v_fma_f64 v[16:17], v[32:33], v[4:5], -v[16:17]
	v_fma_f64 v[18:19], v[34:35], v[4:5], v[18:19]
	ds_read_b128 v[32:35], v37 offset:8272
	s_waitcnt lgkmcnt(0)
	v_mul_f64 v[28:29], v[34:35], v[10:11]
	v_mul_f64 v[10:11], v[32:33], v[10:11]
	v_add_f64 v[16:17], v[38:39], v[16:17]
	v_add_f64 v[18:19], v[18:19], v[40:41]
	v_fma_f64 v[28:29], v[32:33], v[8:9], -v[28:29]
	v_fma_f64 v[10:11], v[34:35], v[8:9], v[10:11]
	v_add_f64 v[8:9], v[20:21], v[28:29]
	v_mul_f64 v[20:21], v[34:35], v[6:7]
	v_mul_f64 v[6:7], v[32:33], v[6:7]
	v_add_f64 v[10:11], v[10:11], v[22:23]
	v_fma_f64 v[20:21], v[32:33], v[4:5], -v[20:21]
	v_fma_f64 v[4:5], v[34:35], v[4:5], v[6:7]
	v_add_f64 v[28:29], v[12:13], v[20:21]
	v_add_f64 v[30:31], v[4:5], v[14:15]
	ds_read_b128 v[12:15], v37 offset:96
	ds_read_b128 v[20:23], v0 offset:3072
	ds_read_b128 v[32:35], v0 offset:3328
	s_waitcnt lgkmcnt(1)
	v_mul_f64 v[4:5], v[14:15], v[22:23]
	s_waitcnt lgkmcnt(0)
	v_mul_f64 v[38:39], v[14:15], v[34:35]
	v_mul_f64 v[6:7], v[12:13], v[22:23]
	v_fma_f64 v[4:5], v[12:13], v[20:21], -v[4:5]
	v_fma_f64 v[38:39], v[12:13], v[32:33], -v[38:39]
	v_mul_f64 v[12:13], v[12:13], v[34:35]
	v_fma_f64 v[6:7], v[14:15], v[20:21], v[6:7]
	v_add_f64 v[4:5], v[50:51], v[4:5]
	v_add_f64 v[38:39], v[16:17], v[38:39]
	v_fma_f64 v[12:13], v[14:15], v[32:33], v[12:13]
	v_add_f64 v[6:7], v[6:7], v[52:53]
	v_add_f64 v[40:41], v[12:13], v[18:19]
	ds_read_b128 v[12:15], v37 offset:8288
	s_waitcnt lgkmcnt(0)
	v_mul_f64 v[16:17], v[14:15], v[22:23]
	v_mul_f64 v[18:19], v[12:13], v[22:23]
	v_fma_f64 v[16:17], v[12:13], v[20:21], -v[16:17]
	v_fma_f64 v[18:19], v[14:15], v[20:21], v[18:19]
	v_add_f64 v[20:21], v[8:9], v[16:17]
	v_add_f64 v[22:23], v[18:19], v[10:11]
	v_mul_f64 v[8:9], v[14:15], v[34:35]
	v_mul_f64 v[10:11], v[12:13], v[34:35]
	v_fma_f64 v[8:9], v[12:13], v[32:33], -v[8:9]
	v_fma_f64 v[10:11], v[14:15], v[32:33], v[10:11]
	v_add_f64 v[12:13], v[28:29], v[8:9]
	v_add_f64 v[14:15], v[10:11], v[30:31]
	ds_read_b128 v[16:19], v37 offset:112
	ds_read_b128 v[8:11], v0 offset:3584
	ds_read_b128 v[32:35], v37 offset:8304
	s_waitcnt lgkmcnt(1)
	v_mul_f64 v[28:29], v[18:19], v[10:11]
	v_mul_f64 v[30:31], v[16:17], v[10:11]
	v_fma_f64 v[28:29], v[16:17], v[8:9], -v[28:29]
	v_fma_f64 v[30:31], v[18:19], v[8:9], v[30:31]
	v_add_f64 v[50:51], v[4:5], v[28:29]
	v_add_f64 v[52:53], v[30:31], v[6:7]
	ds_read_b128 v[4:7], v0 offset:3840
	s_waitcnt lgkmcnt(0)
	v_mul_f64 v[28:29], v[18:19], v[6:7]
	v_fma_f64 v[28:29], v[16:17], v[4:5], -v[28:29]
	v_mul_f64 v[16:17], v[16:17], v[6:7]
	v_fma_f64 v[18:19], v[18:19], v[4:5], v[16:17]
	v_add_f64 v[16:17], v[38:39], v[28:29]
	v_mul_f64 v[28:29], v[34:35], v[10:11]
	v_mul_f64 v[10:11], v[32:33], v[10:11]
	v_add_f64 v[18:19], v[18:19], v[40:41]
	v_fma_f64 v[28:29], v[32:33], v[8:9], -v[28:29]
	v_fma_f64 v[10:11], v[34:35], v[8:9], v[10:11]
	v_add_f64 v[8:9], v[20:21], v[28:29]
	v_mul_f64 v[20:21], v[34:35], v[6:7]
	v_mul_f64 v[6:7], v[32:33], v[6:7]
	v_add_f64 v[10:11], v[10:11], v[22:23]
	v_fma_f64 v[20:21], v[32:33], v[4:5], -v[20:21]
	v_fma_f64 v[4:5], v[34:35], v[4:5], v[6:7]
	v_add_f64 v[28:29], v[12:13], v[20:21]
	v_add_f64 v[30:31], v[4:5], v[14:15]
	ds_read_b128 v[12:15], v37 offset:128
	ds_read_b128 v[20:23], v0 offset:4096
	ds_read_b128 v[32:35], v0 offset:4352
	s_waitcnt lgkmcnt(1)
	v_mul_f64 v[4:5], v[14:15], v[22:23]
	s_waitcnt lgkmcnt(0)
	v_mul_f64 v[38:39], v[14:15], v[34:35]
	v_mul_f64 v[6:7], v[12:13], v[22:23]
	v_fma_f64 v[4:5], v[12:13], v[20:21], -v[4:5]
	v_fma_f64 v[38:39], v[12:13], v[32:33], -v[38:39]
	v_mul_f64 v[12:13], v[12:13], v[34:35]
	v_fma_f64 v[6:7], v[14:15], v[20:21], v[6:7]
	v_add_f64 v[4:5], v[50:51], v[4:5]
	v_add_f64 v[38:39], v[16:17], v[38:39]
	v_fma_f64 v[12:13], v[14:15], v[32:33], v[12:13]
	v_add_f64 v[6:7], v[6:7], v[52:53]
	v_add_f64 v[40:41], v[12:13], v[18:19]
	ds_read_b128 v[12:15], v37 offset:8320
	s_waitcnt lgkmcnt(0)
	v_mul_f64 v[16:17], v[14:15], v[22:23]
	v_mul_f64 v[18:19], v[12:13], v[22:23]
	v_fma_f64 v[16:17], v[12:13], v[20:21], -v[16:17]
	v_fma_f64 v[18:19], v[14:15], v[20:21], v[18:19]
	v_add_f64 v[20:21], v[8:9], v[16:17]
	v_add_f64 v[22:23], v[18:19], v[10:11]
	v_mul_f64 v[8:9], v[14:15], v[34:35]
	v_mul_f64 v[10:11], v[12:13], v[34:35]
	v_fma_f64 v[8:9], v[12:13], v[32:33], -v[8:9]
	v_fma_f64 v[10:11], v[14:15], v[32:33], v[10:11]
	v_add_f64 v[12:13], v[28:29], v[8:9]
	v_add_f64 v[14:15], v[10:11], v[30:31]
	ds_read_b128 v[16:19], v37 offset:144
	ds_read_b128 v[8:11], v0 offset:4608
	ds_read_b128 v[32:35], v37 offset:8336
	s_waitcnt lgkmcnt(1)
	v_mul_f64 v[28:29], v[18:19], v[10:11]
	v_mul_f64 v[30:31], v[16:17], v[10:11]
	v_fma_f64 v[28:29], v[16:17], v[8:9], -v[28:29]
	v_fma_f64 v[30:31], v[18:19], v[8:9], v[30:31]
	v_add_f64 v[50:51], v[4:5], v[28:29]
	v_add_f64 v[52:53], v[30:31], v[6:7]
	ds_read_b128 v[4:7], v0 offset:4864
	s_waitcnt lgkmcnt(0)
	v_mul_f64 v[28:29], v[18:19], v[6:7]
	v_fma_f64 v[28:29], v[16:17], v[4:5], -v[28:29]
	v_mul_f64 v[16:17], v[16:17], v[6:7]
	v_fma_f64 v[18:19], v[18:19], v[4:5], v[16:17]
	v_add_f64 v[16:17], v[38:39], v[28:29]
	v_mul_f64 v[28:29], v[34:35], v[10:11]
	v_mul_f64 v[10:11], v[32:33], v[10:11]
	;; [unrolled: 61-line block ×11, first 2 shown]
	v_add_f64 v[22:23], v[22:23], v[40:41]
	v_fma_f64 v[28:29], v[32:33], v[8:9], -v[28:29]
	v_fma_f64 v[8:9], v[34:35], v[8:9], v[10:11]
	v_add_f64 v[28:29], v[16:17], v[28:29]
	v_add_f64 v[30:31], v[8:9], v[18:19]
	v_mul_f64 v[8:9], v[34:35], v[6:7]
	v_mul_f64 v[6:7], v[32:33], v[6:7]
	v_fma_f64 v[8:9], v[32:33], v[4:5], -v[8:9]
	v_fma_f64 v[4:5], v[34:35], v[4:5], v[6:7]
	v_add_f64 v[32:33], v[12:13], v[8:9]
	v_add_f64 v[34:35], v[4:5], v[14:15]
	ds_read_b128 v[8:11], v37 offset:448
	ds_read_b128 v[12:15], v0 offset:14336
	;; [unrolled: 1-line block ×3, first 2 shown]
	s_waitcnt lgkmcnt(1)
	v_mul_f64 v[4:5], v[10:11], v[14:15]
	s_waitcnt lgkmcnt(0)
	v_mul_f64 v[38:39], v[10:11], v[18:19]
	v_mul_f64 v[6:7], v[8:9], v[14:15]
	v_fma_f64 v[4:5], v[8:9], v[12:13], -v[4:5]
	v_fma_f64 v[38:39], v[8:9], v[16:17], -v[38:39]
	v_mul_f64 v[8:9], v[8:9], v[18:19]
	v_fma_f64 v[6:7], v[10:11], v[12:13], v[6:7]
	v_add_f64 v[4:5], v[50:51], v[4:5]
	v_add_f64 v[20:21], v[20:21], v[38:39]
	v_fma_f64 v[8:9], v[10:11], v[16:17], v[8:9]
	v_add_f64 v[6:7], v[6:7], v[52:53]
	v_add_f64 v[22:23], v[8:9], v[22:23]
	ds_read_b128 v[8:11], v37 offset:8640
	s_waitcnt lgkmcnt(0)
	v_mul_f64 v[38:39], v[10:11], v[14:15]
	v_mul_f64 v[14:15], v[8:9], v[14:15]
	v_fma_f64 v[38:39], v[8:9], v[12:13], -v[38:39]
	v_fma_f64 v[12:13], v[10:11], v[12:13], v[14:15]
	v_add_f64 v[50:51], v[28:29], v[38:39]
	v_add_f64 v[52:53], v[12:13], v[30:31]
	v_mul_f64 v[12:13], v[10:11], v[18:19]
	v_fma_f64 v[12:13], v[8:9], v[16:17], -v[12:13]
	v_mul_f64 v[8:9], v[8:9], v[18:19]
	v_fma_f64 v[8:9], v[10:11], v[16:17], v[8:9]
	v_add_f64 v[16:17], v[32:33], v[12:13]
	v_add_f64 v[18:19], v[8:9], v[34:35]
	ds_read_b128 v[12:15], v37 offset:464
	ds_read_b128 v[8:11], v0 offset:14848
	s_waitcnt lgkmcnt(0)
	v_mul_f64 v[28:29], v[14:15], v[10:11]
	v_mul_f64 v[30:31], v[12:13], v[10:11]
	v_fma_f64 v[28:29], v[12:13], v[8:9], -v[28:29]
	v_fma_f64 v[30:31], v[14:15], v[8:9], v[30:31]
	v_add_f64 v[54:55], v[4:5], v[28:29]
	v_add_f64 v[56:57], v[30:31], v[6:7]
	ds_read_b128 v[4:7], v0 offset:15104
	s_waitcnt lgkmcnt(0)
	v_mul_f64 v[28:29], v[14:15], v[6:7]
	v_fma_f64 v[28:29], v[12:13], v[4:5], -v[28:29]
	v_mul_f64 v[12:13], v[12:13], v[6:7]
	v_add_f64 v[20:21], v[20:21], v[28:29]
	v_fma_f64 v[12:13], v[14:15], v[4:5], v[12:13]
	v_add_f64 v[22:23], v[12:13], v[22:23]
	ds_read_b128 v[12:15], v37 offset:8656
	s_waitcnt lgkmcnt(0)
	v_mul_f64 v[28:29], v[14:15], v[10:11]
	v_mul_f64 v[10:11], v[12:13], v[10:11]
	v_fma_f64 v[28:29], v[12:13], v[8:9], -v[28:29]
	v_fma_f64 v[10:11], v[14:15], v[8:9], v[10:11]
	v_add_f64 v[8:9], v[50:51], v[28:29]
	v_mul_f64 v[28:29], v[14:15], v[6:7]
	v_mul_f64 v[6:7], v[12:13], v[6:7]
	v_add_f64 v[10:11], v[10:11], v[52:53]
	v_fma_f64 v[28:29], v[12:13], v[4:5], -v[28:29]
	v_fma_f64 v[4:5], v[14:15], v[4:5], v[6:7]
	v_add_f64 v[28:29], v[16:17], v[28:29]
	v_add_f64 v[30:31], v[4:5], v[18:19]
	ds_read_b128 v[12:15], v37 offset:480
	ds_read_b128 v[16:19], v0 offset:15360
	;; [unrolled: 1-line block ×3, first 2 shown]
	s_waitcnt lgkmcnt(1)
	v_mul_f64 v[4:5], v[14:15], v[18:19]
	s_waitcnt lgkmcnt(0)
	v_mul_f64 v[38:39], v[14:15], v[34:35]
	v_mul_f64 v[6:7], v[12:13], v[18:19]
	v_fma_f64 v[4:5], v[12:13], v[16:17], -v[4:5]
	v_fma_f64 v[38:39], v[12:13], v[32:33], -v[38:39]
	v_mul_f64 v[12:13], v[12:13], v[34:35]
	v_fma_f64 v[6:7], v[14:15], v[16:17], v[6:7]
	v_add_f64 v[4:5], v[54:55], v[4:5]
	v_add_f64 v[38:39], v[20:21], v[38:39]
	v_fma_f64 v[12:13], v[14:15], v[32:33], v[12:13]
	v_add_f64 v[6:7], v[6:7], v[56:57]
	v_add_f64 v[40:41], v[12:13], v[22:23]
	ds_read_b128 v[12:15], v37 offset:8672
	s_waitcnt lgkmcnt(0)
	v_mul_f64 v[20:21], v[14:15], v[18:19]
	v_mul_f64 v[18:19], v[12:13], v[18:19]
	v_fma_f64 v[20:21], v[12:13], v[16:17], -v[20:21]
	v_fma_f64 v[16:17], v[14:15], v[16:17], v[18:19]
	v_add_f64 v[50:51], v[8:9], v[20:21]
	v_add_f64 v[52:53], v[16:17], v[10:11]
	v_mul_f64 v[8:9], v[14:15], v[34:35]
	v_mul_f64 v[10:11], v[12:13], v[34:35]
	v_fma_f64 v[8:9], v[12:13], v[32:33], -v[8:9]
	v_fma_f64 v[10:11], v[14:15], v[32:33], v[10:11]
	v_add_f64 v[20:21], v[28:29], v[8:9]
	v_add_f64 v[22:23], v[10:11], v[30:31]
	ds_read_b128 v[12:15], v37 offset:496
	ds_read_b128 v[8:11], v0 offset:15872
	s_waitcnt lgkmcnt(0)
	v_mul_f64 v[16:17], v[14:15], v[10:11]
	v_mul_f64 v[18:19], v[12:13], v[10:11]
	v_fma_f64 v[16:17], v[12:13], v[8:9], -v[16:17]
	v_fma_f64 v[18:19], v[14:15], v[8:9], v[18:19]
	v_add_f64 v[54:55], v[4:5], v[16:17]
	v_add_f64 v[56:57], v[18:19], v[6:7]
	ds_read_b128 v[4:7], v0 offset:16128
	s_waitcnt lgkmcnt(0)
	v_mul_f64 v[16:17], v[14:15], v[6:7]
	v_fma_f64 v[16:17], v[12:13], v[4:5], -v[16:17]
	v_mul_f64 v[12:13], v[12:13], v[6:7]
	v_add_f64 v[16:17], v[38:39], v[16:17]
	v_fma_f64 v[12:13], v[14:15], v[4:5], v[12:13]
	v_add_f64 v[18:19], v[12:13], v[40:41]
	ds_read_b128 v[12:15], v37 offset:8688
	s_waitcnt lgkmcnt(0)
	s_barrier
	v_mul_f64 v[28:29], v[14:15], v[10:11]
	v_mul_f64 v[10:11], v[12:13], v[10:11]
	v_fma_f64 v[28:29], v[12:13], v[8:9], -v[28:29]
	v_fma_f64 v[8:9], v[14:15], v[8:9], v[10:11]
	v_add_f64 v[50:51], v[50:51], v[28:29]
	v_add_f64 v[52:53], v[8:9], v[52:53]
	v_mul_f64 v[8:9], v[14:15], v[6:7]
	v_mul_f64 v[6:7], v[12:13], v[6:7]
	v_fma_f64 v[8:9], v[12:13], v[4:5], -v[8:9]
	v_fma_f64 v[4:5], v[14:15], v[4:5], v[6:7]
	v_add_f64 v[14:15], v[20:21], v[8:9]
	v_add_f64 v[12:13], v[4:5], v[22:23]
	s_cbranch_scc1 .LBB113_56
.LBB113_7:                              ;   Parent Loop BB113_4 Depth=1
                                        ; =>  This Inner Loop Header: Depth=2
	buffer_load_dword v5, off, s[56:59], 0 offset:40 ; 4-byte Folded Reload
	v_mov_b32_e32 v4, s23
	v_add_co_u32_e64 v8, s[10:11], s22, v24
	v_addc_co_u32_e64 v9, s[10:11], v25, v4, s[10:11]
	v_mov_b32_e32 v4, s21
	v_add_co_u32_e64 v6, s[10:11], s20, v45
	v_cmp_le_i64_e64 s[12:13], s[38:39], v[8:9]
	s_waitcnt vmcnt(0)
	v_addc_co_u32_e64 v7, s[10:11], v5, v4, s[10:11]
	buffer_load_dword v4, off, s[56:59], 0 offset:8 ; 4-byte Folded Reload
	buffer_load_dword v5, off, s[56:59], 0 offset:12 ; 4-byte Folded Reload
	v_cmp_lt_i64_e64 s[10:11], v[8:9], v[26:27]
	s_waitcnt vmcnt(0)
	v_cmp_eq_u64_e64 s[16:17], s[22:23], v[4:5]
	s_and_b64 s[30:31], s[36:37], s[16:17]
	s_or_b64 s[16:17], s[12:13], s[10:11]
	s_or_b64 s[16:17], s[16:17], s[30:31]
	s_nor_b64 s[16:17], s[0:1], s[16:17]
	s_and_saveexec_b64 s[18:19], s[16:17]
	s_xor_b64 s[16:17], exec, s[18:19]
	s_cbranch_execz .LBB113_9
; %bb.8:                                ;   in Loop: Header=BB113_7 Depth=2
	global_load_dwordx4 v[20:23], v[6:7], off offset:-256
	s_waitcnt vmcnt(0)
	ds_write2_b64 v36, v[20:21], v[22:23] offset1:1
.LBB113_9:                              ;   in Loop: Header=BB113_7 Depth=2
	s_or_saveexec_b64 s[16:17], s[16:17]
	s_xor_b64 s[26:27], s[30:31], -1
	s_xor_b64 exec, exec, s[16:17]
	s_cbranch_execz .LBB113_15
; %bb.10:                               ;   in Loop: Header=BB113_7 Depth=2
	s_and_saveexec_b64 s[18:19], s[26:27]
	s_xor_b64 s[18:19], exec, s[18:19]
; %bb.11:                               ;   in Loop: Header=BB113_7 Depth=2
	v_mov_b32_e32 v20, v2
	v_mov_b32_e32 v21, v2
	;; [unrolled: 1-line block ×4, first 2 shown]
	ds_write_b128 v36, v[20:23]
; %bb.12:                               ;   in Loop: Header=BB113_7 Depth=2
	s_andn2_saveexec_b64 s[18:19], s[18:19]
; %bb.13:                               ;   in Loop: Header=BB113_7 Depth=2
	v_mov_b32_e32 v4, v2
	v_mov_b32_e32 v5, v2
	ds_write_b128 v36, v[2:5]
; %bb.14:                               ;   in Loop: Header=BB113_7 Depth=2
	s_or_b64 exec, exec, s[18:19]
.LBB113_15:                             ;   in Loop: Header=BB113_7 Depth=2
	s_or_b64 exec, exec, s[16:17]
	buffer_load_dword v4, off, s[56:59], 0 offset:16 ; 4-byte Folded Reload
	buffer_load_dword v5, off, s[56:59], 0 offset:20 ; 4-byte Folded Reload
	s_waitcnt vmcnt(0)
	v_cmp_eq_u64_e64 s[16:17], s[22:23], v[4:5]
	buffer_load_dword v4, off, s[56:59], 0  ; 4-byte Folded Reload
	buffer_load_dword v5, off, s[56:59], 0 offset:4 ; 4-byte Folded Reload
	s_and_b64 s[16:17], s[36:37], s[16:17]
	s_waitcnt vmcnt(0)
	v_cmp_gt_i64_e64 s[18:19], v[4:5], v[8:9]
	s_or_b64 s[12:13], s[12:13], s[18:19]
	s_or_b64 s[12:13], s[12:13], s[16:17]
	s_nor_b64 s[12:13], s[2:3], s[12:13]
	s_and_saveexec_b64 s[18:19], s[12:13]
	s_xor_b64 s[18:19], exec, s[18:19]
	s_cbranch_execz .LBB113_17
; %bb.16:                               ;   in Loop: Header=BB113_7 Depth=2
	buffer_load_dword v4, off, s[56:59], 0 offset:32 ; 4-byte Folded Reload
	buffer_load_dword v10, off, s[56:59], 0 offset:36 ; 4-byte Folded Reload
	v_mov_b32_e32 v5, s21
	s_waitcnt vmcnt(1)
	v_add_co_u32_e64 v4, s[12:13], s20, v4
	s_waitcnt vmcnt(0)
	v_addc_co_u32_e64 v5, s[12:13], v10, v5, s[12:13]
	global_load_dwordx4 v[20:23], v[4:5], off
	v_add_u32_e32 v4, 0x100, v36
	s_waitcnt vmcnt(0)
	ds_write2_b64 v4, v[20:21], v[22:23] offset1:1
.LBB113_17:                             ;   in Loop: Header=BB113_7 Depth=2
	s_andn2_saveexec_b64 s[12:13], s[18:19]
	s_cbranch_execz .LBB113_23
; %bb.18:                               ;   in Loop: Header=BB113_7 Depth=2
	s_xor_b64 s[16:17], s[16:17], -1
	s_and_saveexec_b64 s[18:19], s[16:17]
	s_xor_b64 s[16:17], exec, s[18:19]
; %bb.19:                               ;   in Loop: Header=BB113_7 Depth=2
	v_mov_b32_e32 v20, v2
	v_mov_b32_e32 v21, v2
	;; [unrolled: 1-line block ×4, first 2 shown]
	ds_write_b128 v36, v[20:23] offset:256
; %bb.20:                               ;   in Loop: Header=BB113_7 Depth=2
	s_andn2_saveexec_b64 s[16:17], s[16:17]
; %bb.21:                               ;   in Loop: Header=BB113_7 Depth=2
	v_mov_b32_e32 v4, v2
	v_mov_b32_e32 v5, v2
	ds_write_b128 v36, v[2:5] offset:256
; %bb.22:                               ;   in Loop: Header=BB113_7 Depth=2
	s_or_b64 exec, exec, s[16:17]
.LBB113_23:                             ;   in Loop: Header=BB113_7 Depth=2
	s_or_b64 exec, exec, s[12:13]
	v_add_co_u32_e64 v4, s[12:13], 16, v8
	v_addc_co_u32_e64 v5, s[12:13], 0, v9, s[12:13]
	buffer_load_dword v8, off, s[56:59], 0 offset:24 ; 4-byte Folded Reload
	buffer_load_dword v9, off, s[56:59], 0 offset:28 ; 4-byte Folded Reload
	v_cmp_le_i64_e64 s[12:13], s[38:39], v[4:5]
	v_cmp_lt_i64_e64 s[18:19], v[4:5], v[26:27]
	s_waitcnt vmcnt(0)
	v_cmp_eq_u64_e64 s[16:17], s[22:23], v[8:9]
	s_and_b64 s[48:49], s[36:37], s[16:17]
	s_or_b64 s[16:17], s[12:13], s[18:19]
	s_or_b64 s[16:17], s[16:17], s[48:49]
	s_nor_b64 s[16:17], s[0:1], s[16:17]
	s_and_saveexec_b64 s[18:19], s[16:17]
	s_xor_b64 s[16:17], exec, s[18:19]
	s_cbranch_execz .LBB113_25
; %bb.24:                               ;   in Loop: Header=BB113_7 Depth=2
	global_load_dwordx4 v[4:7], v[6:7], off
	v_add_u32_e32 v8, 0x2000, v36
	s_waitcnt vmcnt(0)
	ds_write2_b64 v8, v[4:5], v[6:7] offset1:1
.LBB113_25:                             ;   in Loop: Header=BB113_7 Depth=2
	s_andn2_saveexec_b64 s[16:17], s[16:17]
	s_cbranch_execz .LBB113_31
; %bb.26:                               ;   in Loop: Header=BB113_7 Depth=2
	s_xor_b64 s[18:19], s[48:49], -1
	s_and_saveexec_b64 s[48:49], s[18:19]
	s_xor_b64 s[18:19], exec, s[48:49]
; %bb.27:                               ;   in Loop: Header=BB113_7 Depth=2
	v_mov_b32_e32 v4, v2
	v_mov_b32_e32 v5, v2
	v_mov_b32_e32 v6, v2
	v_mov_b32_e32 v7, v2
	ds_write_b128 v36, v[4:7] offset:8192
; %bb.28:                               ;   in Loop: Header=BB113_7 Depth=2
	s_andn2_saveexec_b64 s[18:19], s[18:19]
; %bb.29:                               ;   in Loop: Header=BB113_7 Depth=2
	v_mov_b32_e32 v4, v2
	v_mov_b32_e32 v5, v2
	ds_write_b128 v36, v[2:5] offset:8192
; %bb.30:                               ;   in Loop: Header=BB113_7 Depth=2
	s_or_b64 exec, exec, s[18:19]
.LBB113_31:                             ;   in Loop: Header=BB113_7 Depth=2
	s_or_b64 exec, exec, s[16:17]
	s_or_b64 s[10:11], s[12:13], s[10:11]
	s_or_b64 s[10:11], s[10:11], s[30:31]
	s_nor_b64 s[10:11], s[2:3], s[10:11]
	s_and_saveexec_b64 s[12:13], s[10:11]
	s_xor_b64 s[12:13], exec, s[12:13]
	s_cbranch_execz .LBB113_33
; %bb.32:                               ;   in Loop: Header=BB113_7 Depth=2
	buffer_load_dword v4, off, s[56:59], 0 offset:32 ; 4-byte Folded Reload
	buffer_load_dword v6, off, s[56:59], 0 offset:36 ; 4-byte Folded Reload
	v_mov_b32_e32 v5, s21
	v_add_u32_e32 v8, 0x2100, v36
	s_waitcnt vmcnt(1)
	v_add_co_u32_e64 v4, s[10:11], s20, v4
	s_waitcnt vmcnt(0)
	v_addc_co_u32_e64 v5, s[10:11], v6, v5, s[10:11]
	global_load_dwordx4 v[4:7], v[4:5], off offset:256
	s_waitcnt vmcnt(0)
	ds_write2_b64 v8, v[4:5], v[6:7] offset1:1
.LBB113_33:                             ;   in Loop: Header=BB113_7 Depth=2
	s_andn2_saveexec_b64 s[10:11], s[12:13]
	s_cbranch_execz .LBB113_39
; %bb.34:                               ;   in Loop: Header=BB113_7 Depth=2
	s_and_saveexec_b64 s[12:13], s[26:27]
	s_xor_b64 s[12:13], exec, s[12:13]
; %bb.35:                               ;   in Loop: Header=BB113_7 Depth=2
	v_mov_b32_e32 v4, v2
	v_mov_b32_e32 v5, v2
	v_mov_b32_e32 v6, v2
	v_mov_b32_e32 v7, v2
	ds_write_b128 v36, v[4:7] offset:8448
; %bb.36:                               ;   in Loop: Header=BB113_7 Depth=2
	s_andn2_saveexec_b64 s[12:13], s[12:13]
; %bb.37:                               ;   in Loop: Header=BB113_7 Depth=2
	v_mov_b32_e32 v4, v2
	v_mov_b32_e32 v5, v2
	ds_write_b128 v36, v[2:5] offset:8448
; %bb.38:                               ;   in Loop: Header=BB113_7 Depth=2
	s_or_b64 exec, exec, s[12:13]
.LBB113_39:                             ;   in Loop: Header=BB113_7 Depth=2
	s_or_b64 exec, exec, s[10:11]
	v_mov_b32_e32 v5, s23
	v_add_co_u32_e64 v4, s[10:11], s22, v26
	v_addc_co_u32_e64 v5, s[10:11], v27, v5, s[10:11]
	v_cmp_gt_i64_e64 s[10:11], s[38:39], v[4:5]
	s_and_b64 s[12:13], vcc, s[10:11]
	s_xor_b64 s[12:13], s[12:13], -1
	s_and_saveexec_b64 s[16:17], s[12:13]
	s_xor_b64 s[12:13], exec, s[16:17]
; %bb.40:                               ;   in Loop: Header=BB113_7 Depth=2
	v_mov_b32_e32 v6, v2
	v_mov_b32_e32 v7, v2
	;; [unrolled: 1-line block ×4, first 2 shown]
	ds_write_b128 v44, v[6:9]
; %bb.41:                               ;   in Loop: Header=BB113_7 Depth=2
	s_or_saveexec_b64 s[16:17], s[12:13]
	v_mov_b32_e32 v7, s21
	v_add_co_u32_e64 v6, s[12:13], s20, v46
	v_addc_co_u32_e64 v7, s[12:13], v47, v7, s[12:13]
	s_xor_b64 exec, exec, s[16:17]
	s_cbranch_execz .LBB113_43
; %bb.42:                               ;   in Loop: Header=BB113_7 Depth=2
	global_load_dwordx4 v[8:11], v[6:7], off offset:-256
	s_waitcnt vmcnt(0)
	ds_write2_b64 v44, v[8:9], v[10:11] offset1:1
.LBB113_43:                             ;   in Loop: Header=BB113_7 Depth=2
	s_or_b64 exec, exec, s[16:17]
	v_cmp_gt_i64_e64 s[12:13], s[42:43], v[4:5]
	s_and_b64 s[16:17], vcc, s[12:13]
	s_xor_b64 s[16:17], s[16:17], -1
	s_and_saveexec_b64 s[18:19], s[16:17]
	s_xor_b64 s[16:17], exec, s[18:19]
; %bb.44:                               ;   in Loop: Header=BB113_7 Depth=2
	v_mov_b32_e32 v4, v2
	v_mov_b32_e32 v5, v2
	;; [unrolled: 1-line block ×4, first 2 shown]
	ds_write_b128 v44, v[4:7] offset:256
                                        ; implicit-def: $vgpr6_vgpr7
; %bb.45:                               ;   in Loop: Header=BB113_7 Depth=2
	s_andn2_saveexec_b64 s[16:17], s[16:17]
	s_cbranch_execz .LBB113_47
; %bb.46:                               ;   in Loop: Header=BB113_7 Depth=2
	global_load_dwordx4 v[4:7], v[6:7], off
	v_add_u32_e32 v8, 0x100, v44
	s_waitcnt vmcnt(0)
	ds_write2_b64 v8, v[4:5], v[6:7] offset1:1
.LBB113_47:                             ;   in Loop: Header=BB113_7 Depth=2
	s_or_b64 exec, exec, s[16:17]
	s_and_b64 s[10:11], s[8:9], s[10:11]
	s_xor_b64 s[10:11], s[10:11], -1
	s_and_saveexec_b64 s[16:17], s[10:11]
	s_xor_b64 s[10:11], exec, s[16:17]
; %bb.48:                               ;   in Loop: Header=BB113_7 Depth=2
	v_mov_b32_e32 v4, v2
	v_mov_b32_e32 v5, v2
	;; [unrolled: 1-line block ×4, first 2 shown]
	ds_write_b128 v44, v[4:7] offset:8192
; %bb.49:                               ;   in Loop: Header=BB113_7 Depth=2
	s_or_saveexec_b64 s[16:17], s[10:11]
	v_mov_b32_e32 v5, s21
	v_add_co_u32_e64 v4, s[10:11], s20, v48
	v_addc_co_u32_e64 v5, s[10:11], v49, v5, s[10:11]
	s_xor_b64 exec, exec, s[16:17]
	s_cbranch_execz .LBB113_51
; %bb.50:                               ;   in Loop: Header=BB113_7 Depth=2
	global_load_dwordx4 v[6:9], v[4:5], off
	v_add_u32_e32 v10, 0x2000, v44
	s_waitcnt vmcnt(0)
	ds_write2_b64 v10, v[6:7], v[8:9] offset1:1
.LBB113_51:                             ;   in Loop: Header=BB113_7 Depth=2
	s_or_b64 exec, exec, s[16:17]
	s_and_b64 s[10:11], s[8:9], s[12:13]
	s_xor_b64 s[10:11], s[10:11], -1
	s_and_saveexec_b64 s[12:13], s[10:11]
	s_xor_b64 s[10:11], exec, s[12:13]
; %bb.52:                               ;   in Loop: Header=BB113_7 Depth=2
	v_mov_b32_e32 v4, v2
	v_mov_b32_e32 v5, v2
	;; [unrolled: 1-line block ×4, first 2 shown]
	ds_write_b128 v44, v[4:7] offset:8448
                                        ; implicit-def: $vgpr4_vgpr5
; %bb.53:                               ;   in Loop: Header=BB113_7 Depth=2
	s_andn2_saveexec_b64 s[10:11], s[10:11]
	s_cbranch_execz .LBB113_6
; %bb.54:                               ;   in Loop: Header=BB113_7 Depth=2
	global_load_dwordx4 v[4:7], v[4:5], off offset:256
	v_add_u32_e32 v8, 0x2100, v44
	s_waitcnt vmcnt(0)
	ds_write2_b64 v8, v[4:5], v[6:7] offset1:1
	s_branch .LBB113_6
.LBB113_55:                             ;   in Loop: Header=BB113_4 Depth=1
	v_mov_b32_e32 v54, 0
	v_mov_b32_e32 v56, 0
	;; [unrolled: 1-line block ×16, first 2 shown]
	buffer_store_dword v20, off, s[56:59], 0 offset:48 ; 4-byte Folded Spill
	s_nop 0
	buffer_store_dword v21, off, s[56:59], 0 offset:52 ; 4-byte Folded Spill
.LBB113_56:                             ;   in Loop: Header=BB113_4 Depth=1
	buffer_load_dword v7, off, s[56:59], 0 offset:44 ; 4-byte Folded Reload
	v_mul_lo_u32 v1, s40, v1
	s_waitcnt vmcnt(0)
	v_mul_lo_u32 v6, s41, v7
	v_mad_u64_u32 v[4:5], s[8:9], s40, v7, 0
	v_cmp_gt_i32_e32 vcc, s50, v7
	v_add3_u32 v5, v5, v1, v6
	v_lshlrev_b64 v[4:5], 4, v[4:5]
	v_mov_b32_e32 v6, s52
	v_add_co_u32_e64 v1, s[8:9], s51, v4
	v_addc_co_u32_e64 v4, s[8:9], v6, v5, s[8:9]
	s_and_b64 s[8:9], s[4:5], vcc
	s_and_saveexec_b64 s[10:11], s[8:9]
	s_cbranch_execz .LBB113_58
; %bb.57:                               ;   in Loop: Header=BB113_4 Depth=1
	v_mul_f64 v[5:6], s[46:47], v[56:57]
	v_fma_f64 v[9:10], s[44:45], v[54:55], -v[5:6]
	v_mul_f64 v[5:6], s[44:45], v[56:57]
	v_fma_f64 v[20:21], s[46:47], v[54:55], v[5:6]
	v_lshlrev_b64 v[5:6], 4, v[26:27]
	v_add_co_u32_e64 v22, s[8:9], v1, v5
	v_addc_co_u32_e64 v23, s[8:9], v4, v6, s[8:9]
	global_load_dwordx4 v[5:8], v[22:23], off
	s_waitcnt vmcnt(0)
	v_add_f64 v[5:6], v[5:6], v[9:10]
	v_add_f64 v[7:8], v[20:21], v[7:8]
	global_store_dwordx4 v[22:23], v[5:8], off
.LBB113_58:                             ;   in Loop: Header=BB113_4 Depth=1
	s_or_b64 exec, exec, s[10:11]
	s_and_b64 s[10:11], s[14:15], vcc
	s_and_saveexec_b64 s[8:9], s[10:11]
	s_cbranch_execz .LBB113_60
; %bb.59:                               ;   in Loop: Header=BB113_4 Depth=1
	buffer_load_dword v5, off, s[56:59], 0 offset:60 ; 4-byte Folded Reload
	buffer_load_dword v6, off, s[56:59], 0 offset:64 ; 4-byte Folded Reload
	v_mul_f64 v[10:11], s[46:47], v[18:19]
	v_mul_f64 v[18:19], s[44:45], v[18:19]
	v_fma_f64 v[10:11], s[44:45], v[16:17], -v[10:11]
	v_fma_f64 v[16:17], s[46:47], v[16:17], v[18:19]
	s_waitcnt vmcnt(0)
	v_lshlrev_b64 v[5:6], 4, v[5:6]
	v_add_co_u32_e32 v8, vcc, v1, v5
	v_addc_co_u32_e32 v9, vcc, v4, v6, vcc
	global_load_dwordx4 v[4:7], v[8:9], off
	s_waitcnt vmcnt(0)
	v_add_f64 v[4:5], v[4:5], v[10:11]
	v_add_f64 v[6:7], v[16:17], v[6:7]
	global_store_dwordx4 v[8:9], v[4:7], off
.LBB113_60:                             ;   in Loop: Header=BB113_4 Depth=1
	s_or_b64 exec, exec, s[8:9]
	buffer_load_dword v1, off, s[56:59], 0 offset:44 ; 4-byte Folded Reload
	s_waitcnt vmcnt(0)
	v_add_u32_e32 v1, 16, v1
	v_ashrrev_i32_e32 v4, 31, v1
	v_mul_lo_u32 v6, s40, v4
	v_mul_lo_u32 v7, s41, v1
	v_mad_u64_u32 v[4:5], s[8:9], s40, v1, 0
	v_cmp_gt_i32_e32 vcc, s50, v1
	v_add3_u32 v5, v5, v6, v7
	v_lshlrev_b64 v[4:5], 4, v[4:5]
	v_mov_b32_e32 v6, s52
	v_add_co_u32_e64 v1, s[8:9], s51, v4
	v_addc_co_u32_e64 v4, s[8:9], v6, v5, s[8:9]
	s_and_b64 s[8:9], s[4:5], vcc
	s_mov_b64 s[10:11], exec
	buffer_load_dword v20, off, s[56:59], 0 offset:48 ; 4-byte Folded Reload
	buffer_load_dword v21, off, s[56:59], 0 offset:52 ; 4-byte Folded Reload
	s_and_b64 s[8:9], s[10:11], s[8:9]
	s_mov_b64 exec, s[8:9]
	s_cbranch_execz .LBB113_62
; %bb.61:                               ;   in Loop: Header=BB113_4 Depth=1
	v_lshlrev_b64 v[5:6], 4, v[26:27]
	v_mul_f64 v[16:17], s[46:47], v[52:53]
	v_add_co_u32_e64 v9, s[8:9], v1, v5
	v_addc_co_u32_e64 v10, s[8:9], v4, v6, s[8:9]
	global_load_dwordx4 v[5:8], v[9:10], off
	v_mul_f64 v[18:19], s[44:45], v[52:53]
	v_fma_f64 v[16:17], s[44:45], v[50:51], -v[16:17]
	v_fma_f64 v[18:19], s[46:47], v[50:51], v[18:19]
	s_waitcnt vmcnt(0)
	v_add_f64 v[5:6], v[5:6], v[16:17]
	v_add_f64 v[7:8], v[18:19], v[7:8]
	global_store_dwordx4 v[9:10], v[5:8], off
.LBB113_62:                             ;   in Loop: Header=BB113_4 Depth=1
	s_or_b64 exec, exec, s[10:11]
	s_and_b64 s[10:11], s[14:15], vcc
	s_and_saveexec_b64 s[8:9], s[10:11]
	s_cbranch_execz .LBB113_3
; %bb.63:                               ;   in Loop: Header=BB113_4 Depth=1
	buffer_load_dword v5, off, s[56:59], 0 offset:60 ; 4-byte Folded Reload
	buffer_load_dword v6, off, s[56:59], 0 offset:64 ; 4-byte Folded Reload
	v_mul_f64 v[10:11], s[46:47], v[12:13]
	v_mul_f64 v[12:13], s[44:45], v[12:13]
	v_fma_f64 v[10:11], s[44:45], v[14:15], -v[10:11]
	v_fma_f64 v[12:13], s[46:47], v[14:15], v[12:13]
	s_waitcnt vmcnt(0)
	v_lshlrev_b64 v[5:6], 4, v[5:6]
	v_add_co_u32_e32 v8, vcc, v1, v5
	v_addc_co_u32_e32 v9, vcc, v4, v6, vcc
	global_load_dwordx4 v[4:7], v[8:9], off
	s_waitcnt vmcnt(0)
	v_add_f64 v[4:5], v[4:5], v[10:11]
	v_add_f64 v[6:7], v[12:13], v[6:7]
	global_store_dwordx4 v[8:9], v[4:7], off
	s_branch .LBB113_3
.LBB113_64:
	s_endpgm
	.section	.rodata,"a",@progbits
	.p2align	6, 0x0
	.amdhsa_kernel _ZL30rocblas_trmm_outofplace_kernelI19rocblas_complex_numIdELi32ELi2ELb1ELb0ELb1ELb0ES1_KS1_S1_Ev17rocblas_diagonal_iiT6_lPT7_lllS6_lllPT8_llli
		.amdhsa_group_segment_fixed_size 32768
		.amdhsa_private_segment_fixed_size 88
		.amdhsa_kernarg_size 400
		.amdhsa_user_sgpr_count 6
		.amdhsa_user_sgpr_private_segment_buffer 1
		.amdhsa_user_sgpr_dispatch_ptr 0
		.amdhsa_user_sgpr_queue_ptr 0
		.amdhsa_user_sgpr_kernarg_segment_ptr 1
		.amdhsa_user_sgpr_dispatch_id 0
		.amdhsa_user_sgpr_flat_scratch_init 0
		.amdhsa_user_sgpr_private_segment_size 0
		.amdhsa_uses_dynamic_stack 0
		.amdhsa_system_sgpr_private_segment_wavefront_offset 1
		.amdhsa_system_sgpr_workgroup_id_x 1
		.amdhsa_system_sgpr_workgroup_id_y 1
		.amdhsa_system_sgpr_workgroup_id_z 1
		.amdhsa_system_sgpr_workgroup_info 0
		.amdhsa_system_vgpr_workitem_id 1
		.amdhsa_next_free_vgpr 64
		.amdhsa_next_free_sgpr 61
		.amdhsa_reserve_vcc 1
		.amdhsa_reserve_flat_scratch 0
		.amdhsa_float_round_mode_32 0
		.amdhsa_float_round_mode_16_64 0
		.amdhsa_float_denorm_mode_32 3
		.amdhsa_float_denorm_mode_16_64 3
		.amdhsa_dx10_clamp 1
		.amdhsa_ieee_mode 1
		.amdhsa_fp16_overflow 0
		.amdhsa_exception_fp_ieee_invalid_op 0
		.amdhsa_exception_fp_denorm_src 0
		.amdhsa_exception_fp_ieee_div_zero 0
		.amdhsa_exception_fp_ieee_overflow 0
		.amdhsa_exception_fp_ieee_underflow 0
		.amdhsa_exception_fp_ieee_inexact 0
		.amdhsa_exception_int_div_zero 0
	.end_amdhsa_kernel
	.section	.text._ZL30rocblas_trmm_outofplace_kernelI19rocblas_complex_numIdELi32ELi2ELb1ELb0ELb1ELb0ES1_KS1_S1_Ev17rocblas_diagonal_iiT6_lPT7_lllS6_lllPT8_llli,"axG",@progbits,_ZL30rocblas_trmm_outofplace_kernelI19rocblas_complex_numIdELi32ELi2ELb1ELb0ELb1ELb0ES1_KS1_S1_Ev17rocblas_diagonal_iiT6_lPT7_lllS6_lllPT8_llli,comdat
.Lfunc_end113:
	.size	_ZL30rocblas_trmm_outofplace_kernelI19rocblas_complex_numIdELi32ELi2ELb1ELb0ELb1ELb0ES1_KS1_S1_Ev17rocblas_diagonal_iiT6_lPT7_lllS6_lllPT8_llli, .Lfunc_end113-_ZL30rocblas_trmm_outofplace_kernelI19rocblas_complex_numIdELi32ELi2ELb1ELb0ELb1ELb0ES1_KS1_S1_Ev17rocblas_diagonal_iiT6_lPT7_lllS6_lllPT8_llli
                                        ; -- End function
	.set _ZL30rocblas_trmm_outofplace_kernelI19rocblas_complex_numIdELi32ELi2ELb1ELb0ELb1ELb0ES1_KS1_S1_Ev17rocblas_diagonal_iiT6_lPT7_lllS6_lllPT8_llli.num_vgpr, 64
	.set _ZL30rocblas_trmm_outofplace_kernelI19rocblas_complex_numIdELi32ELi2ELb1ELb0ELb1ELb0ES1_KS1_S1_Ev17rocblas_diagonal_iiT6_lPT7_lllS6_lllPT8_llli.num_agpr, 0
	.set _ZL30rocblas_trmm_outofplace_kernelI19rocblas_complex_numIdELi32ELi2ELb1ELb0ELb1ELb0ES1_KS1_S1_Ev17rocblas_diagonal_iiT6_lPT7_lllS6_lllPT8_llli.numbered_sgpr, 60
	.set _ZL30rocblas_trmm_outofplace_kernelI19rocblas_complex_numIdELi32ELi2ELb1ELb0ELb1ELb0ES1_KS1_S1_Ev17rocblas_diagonal_iiT6_lPT7_lllS6_lllPT8_llli.num_named_barrier, 0
	.set _ZL30rocblas_trmm_outofplace_kernelI19rocblas_complex_numIdELi32ELi2ELb1ELb0ELb1ELb0ES1_KS1_S1_Ev17rocblas_diagonal_iiT6_lPT7_lllS6_lllPT8_llli.private_seg_size, 88
	.set _ZL30rocblas_trmm_outofplace_kernelI19rocblas_complex_numIdELi32ELi2ELb1ELb0ELb1ELb0ES1_KS1_S1_Ev17rocblas_diagonal_iiT6_lPT7_lllS6_lllPT8_llli.uses_vcc, 1
	.set _ZL30rocblas_trmm_outofplace_kernelI19rocblas_complex_numIdELi32ELi2ELb1ELb0ELb1ELb0ES1_KS1_S1_Ev17rocblas_diagonal_iiT6_lPT7_lllS6_lllPT8_llli.uses_flat_scratch, 0
	.set _ZL30rocblas_trmm_outofplace_kernelI19rocblas_complex_numIdELi32ELi2ELb1ELb0ELb1ELb0ES1_KS1_S1_Ev17rocblas_diagonal_iiT6_lPT7_lllS6_lllPT8_llli.has_dyn_sized_stack, 0
	.set _ZL30rocblas_trmm_outofplace_kernelI19rocblas_complex_numIdELi32ELi2ELb1ELb0ELb1ELb0ES1_KS1_S1_Ev17rocblas_diagonal_iiT6_lPT7_lllS6_lllPT8_llli.has_recursion, 0
	.set _ZL30rocblas_trmm_outofplace_kernelI19rocblas_complex_numIdELi32ELi2ELb1ELb0ELb1ELb0ES1_KS1_S1_Ev17rocblas_diagonal_iiT6_lPT7_lllS6_lllPT8_llli.has_indirect_call, 0
	.section	.AMDGPU.csdata,"",@progbits
; Kernel info:
; codeLenInByte = 10580
; TotalNumSgprs: 64
; NumVgprs: 64
; ScratchSize: 88
; MemoryBound: 0
; FloatMode: 240
; IeeeMode: 1
; LDSByteSize: 32768 bytes/workgroup (compile time only)
; SGPRBlocks: 8
; VGPRBlocks: 15
; NumSGPRsForWavesPerEU: 65
; NumVGPRsForWavesPerEU: 64
; Occupancy: 4
; WaveLimiterHint : 0
; COMPUTE_PGM_RSRC2:SCRATCH_EN: 1
; COMPUTE_PGM_RSRC2:USER_SGPR: 6
; COMPUTE_PGM_RSRC2:TRAP_HANDLER: 0
; COMPUTE_PGM_RSRC2:TGID_X_EN: 1
; COMPUTE_PGM_RSRC2:TGID_Y_EN: 1
; COMPUTE_PGM_RSRC2:TGID_Z_EN: 1
; COMPUTE_PGM_RSRC2:TIDIG_COMP_CNT: 1
	.section	.text._ZL30rocblas_trmm_outofplace_kernelI19rocblas_complex_numIdELi32ELi2ELb1ELb1ELb1ELb0EPKS1_S2_S1_Ev17rocblas_diagonal_iiT6_lPT7_lllS7_lllPT8_llli,"axG",@progbits,_ZL30rocblas_trmm_outofplace_kernelI19rocblas_complex_numIdELi32ELi2ELb1ELb1ELb1ELb0EPKS1_S2_S1_Ev17rocblas_diagonal_iiT6_lPT7_lllS7_lllPT8_llli,comdat
	.globl	_ZL30rocblas_trmm_outofplace_kernelI19rocblas_complex_numIdELi32ELi2ELb1ELb1ELb1ELb0EPKS1_S2_S1_Ev17rocblas_diagonal_iiT6_lPT7_lllS7_lllPT8_llli ; -- Begin function _ZL30rocblas_trmm_outofplace_kernelI19rocblas_complex_numIdELi32ELi2ELb1ELb1ELb1ELb0EPKS1_S2_S1_Ev17rocblas_diagonal_iiT6_lPT7_lllS7_lllPT8_llli
	.p2align	8
	.type	_ZL30rocblas_trmm_outofplace_kernelI19rocblas_complex_numIdELi32ELi2ELb1ELb1ELb1ELb0EPKS1_S2_S1_Ev17rocblas_diagonal_iiT6_lPT7_lllS7_lllPT8_llli,@function
_ZL30rocblas_trmm_outofplace_kernelI19rocblas_complex_numIdELi32ELi2ELb1ELb1ELb1ELb0EPKS1_S2_S1_Ev17rocblas_diagonal_iiT6_lPT7_lllS7_lllPT8_llli: ; @_ZL30rocblas_trmm_outofplace_kernelI19rocblas_complex_numIdELi32ELi2ELb1ELb1ELb1ELb0EPKS1_S2_S1_Ev17rocblas_diagonal_iiT6_lPT7_lllS7_lllPT8_llli
; %bb.0:
	s_load_dwordx16 s[12:27], s[4:5], 0x10
	s_mov_b64 s[58:59], s[2:3]
	s_mov_b64 s[56:57], s[0:1]
	s_add_u32 s56, s56, s9
	s_addc_u32 s57, s57, 0
	s_waitcnt lgkmcnt(0)
	s_mul_i32 s0, s15, s8
	s_mul_hi_u32 s1, s14, s8
	s_add_i32 s1, s1, s0
	s_mul_i32 s0, s14, s8
	s_lshl_b64 s[0:1], s[0:1], 4
	s_add_u32 s0, s12, s0
	s_addc_u32 s1, s13, s1
	s_load_dwordx4 s[28:31], s[0:1], 0x0
	s_waitcnt lgkmcnt(0)
	v_cmp_eq_f64_e64 s[0:1], s[28:29], 0
	v_cmp_eq_f64_e64 s[2:3], s[30:31], 0
	s_and_b64 s[0:1], s[0:1], s[2:3]
	s_and_b64 vcc, exec, s[0:1]
	s_cbranch_vccnz .LBB114_63
; %bb.1:
	s_load_dwordx4 s[44:47], s[4:5], 0x0
	s_waitcnt lgkmcnt(0)
	s_add_i32 s0, s46, -1
	s_ashr_i32 s1, s0, 31
	s_lshr_b32 s1, s1, 27
	s_add_i32 s0, s0, s1
	s_ashr_i32 s33, s0, 5
	s_cmp_gt_i32 s7, s33
	s_cbranch_scc1 .LBB114_63
; %bb.2:
	s_load_dwordx4 s[48:51], s[4:5], 0x70
	s_load_dwordx8 s[36:43], s[4:5], 0x50
	s_load_dword s47, s[4:5], 0x8c
	v_lshlrev_b32_e32 v2, 9, v1
	v_lshlrev_b32_e32 v38, 4, v0
	s_waitcnt lgkmcnt(0)
	s_mul_i32 s1, s51, s8
	s_mul_hi_u32 s2, s50, s8
	s_mul_i32 s0, s50, s8
	s_add_i32 s1, s2, s1
	s_lshl_b64 s[0:1], s[0:1], 4
	s_add_u32 s2, s40, s0
	s_addc_u32 s3, s41, s1
	s_lshl_b64 s[0:1], s[42:43], 4
	s_add_u32 s52, s2, s0
	s_addc_u32 s53, s3, s1
	s_lshl_b32 s54, s6, 5
	v_add_u32_e32 v24, s54, v0
	v_ashrrev_i32_e32 v25, 31, v24
	v_add_u32_e32 v39, v38, v2
	v_add_u32_e32 v36, 0x4000, v2
	v_add_co_u32_e32 v2, vcc, 16, v24
	v_addc_co_u32_e32 v3, vcc, 0, v25, vcc
	buffer_store_dword v2, off, s[56:59], 0 ; 4-byte Folded Spill
	s_nop 0
	buffer_store_dword v3, off, s[56:59], 0 offset:4 ; 4-byte Folded Spill
	s_cmp_gt_i32 s6, -1
	s_cselect_b64 s[34:35], -1, 0
	s_cmpk_eq_i32 s44, 0x84
	v_sub_co_u32_e32 v28, vcc, v24, v1
	s_cselect_b64 s[40:41], -1, 0
	s_ashr_i32 s43, s45, 31
	s_mov_b32 s42, s45
	s_ashr_i32 s6, s46, 31
	v_subbrev_co_u32_e32 v29, vcc, 0, v25, vcc
	s_add_u32 s50, s45, -16
	s_mul_i32 s9, s39, s8
	s_mul_hi_u32 s10, s38, s8
	s_addc_u32 s51, s43, -1
	s_add_i32 s11, s10, s9
	s_mul_i32 s10, s38, s8
	s_lshl_b64 s[10:11], s[10:11], 4
	s_lshl_b64 s[12:13], s[26:27], 4
	s_add_u32 s9, s10, s12
	s_addc_u32 s10, s11, s13
	s_add_u32 s12, s24, s9
	s_addc_u32 s9, s25, s10
	v_mul_lo_u32 v6, s20, v25
	v_mul_lo_u32 v7, s21, v24
	v_mov_b32_e32 v8, s9
	s_mul_i32 s9, s23, s8
	s_lshl_b64 s[24:25], s[36:37], 4
	s_lshl_b32 s55, s47, 5
	s_movk_i32 s44, 0x100
	v_add_u32_e32 v4, 16, v24
	v_ashrrev_i32_e32 v5, 31, v4
	v_cmp_gt_i32_e64 s[14:15], s45, v4
	v_lshlrev_b64 v[4:5], 4, v[4:5]
	v_cmp_le_i32_e64 s[0:1], s45, v24
	v_cmp_gt_i32_e64 s[4:5], s45, v24
	v_add_u32_e32 v41, v36, v38
	v_lshl_add_u32 v20, s7, 5, v1
	v_cmp_le_i64_e64 s[2:3], s[42:43], v[2:3]
	v_add_co_u32_e32 v2, vcc, 16, v28
	v_addc_co_u32_e32 v3, vcc, 0, v29, vcc
	buffer_store_dword v2, off, s[56:59], 0 offset:8 ; 4-byte Folded Spill
	s_nop 0
	buffer_store_dword v3, off, s[56:59], 0 offset:12 ; 4-byte Folded Spill
	v_add_co_u32_e32 v2, vcc, -16, v28
	v_addc_co_u32_e32 v3, vcc, -1, v29, vcc
	buffer_store_dword v2, off, s[56:59], 0 offset:16 ; 4-byte Folded Spill
	s_nop 0
	buffer_store_dword v3, off, s[56:59], 0 offset:20 ; 4-byte Folded Spill
	v_mad_u64_u32 v[2:3], s[10:11], s20, v24, 0
	s_mul_hi_u32 s10, s22, s8
	s_add_i32 s9, s10, s9
	s_mul_i32 s8, s22, s8
	v_add3_u32 v3, v3, v6, v7
	s_lshl_b64 s[8:9], s[8:9], 4
	s_lshl_b64 s[10:11], s[18:19], 4
	v_lshlrev_b64 v[2:3], 4, v[2:3]
	s_add_u32 s8, s10, s8
	s_addc_u32 s9, s11, s9
	v_mov_b32_e32 v6, s9
	v_add_co_u32_e32 v7, vcc, s8, v2
	v_addc_co_u32_e32 v6, vcc, v6, v3, vcc
	v_lshlrev_b64 v[2:3], 4, v[24:25]
	v_add_co_u32_e32 v9, vcc, s44, v2
	v_addc_co_u32_e32 v10, vcc, 0, v3, vcc
	v_mov_b32_e32 v2, s8
	v_mov_b32_e32 v3, s9
	v_mad_u64_u32 v[2:3], s[8:9], s20, v9, v[2:3]
	v_mul_lo_u32 v10, s20, v10
	v_mul_lo_u32 v9, s21, v9
	v_add_co_u32_e32 v11, vcc, s12, v38
	v_addc_co_u32_e32 v12, vcc, 0, v8, vcc
	v_add3_u32 v3, v9, v3, v10
	v_add_co_u32_e32 v9, vcc, s44, v11
	buffer_store_dword v11, off, s[56:59], 0 offset:48 ; 4-byte Folded Spill
	s_nop 0
	buffer_store_dword v12, off, s[56:59], 0 offset:52 ; 4-byte Folded Spill
	v_lshlrev_b32_e32 v8, 4, v1
	v_addc_co_u32_e32 v10, vcc, 0, v12, vcc
	v_add_co_u32_e32 v7, vcc, v7, v8
	buffer_store_dword v9, off, s[56:59], 0 offset:56 ; 4-byte Folded Spill
	s_nop 0
	buffer_store_dword v10, off, s[56:59], 0 offset:60 ; 4-byte Folded Spill
	v_addc_co_u32_e32 v6, vcc, 0, v6, vcc
	v_mov_b32_e32 v9, s17
	v_add_co_u32_e32 v7, vcc, s16, v7
	v_addc_co_u32_e32 v6, vcc, v9, v6, vcc
	v_add_co_u32_e32 v37, vcc, s44, v7
	v_addc_co_u32_e32 v34, vcc, 0, v6, vcc
	;; [unrolled: 2-line block ×3, first 2 shown]
	v_mov_b32_e32 v6, s17
	v_add_co_u32_e32 v35, vcc, s16, v2
	v_addc_co_u32_e32 v40, vcc, v6, v3, vcc
	v_mov_b32_e32 v2, 0
	v_mov_b32_e32 v3, 0x3ff00000
	buffer_store_dword v4, off, s[56:59], 0 offset:40 ; 4-byte Folded Spill
	s_nop 0
	buffer_store_dword v5, off, s[56:59], 0 offset:44 ; 4-byte Folded Spill
	s_branch .LBB114_4
.LBB114_3:                              ;   in Loop: Header=BB114_4 Depth=1
	s_or_b64 exec, exec, s[8:9]
	s_add_i32 s7, s47, s7
	s_cmp_le_i32 s7, s33
	s_waitcnt vmcnt(1)
	v_add_u32_e32 v20, s55, v20
	s_cbranch_scc0 .LBB114_63
.LBB114_4:                              ; =>This Loop Header: Depth=1
                                        ;     Child Loop BB114_7 Depth 2
	v_lshl_add_u32 v4, s7, 5, v1
	v_mov_b32_e32 v48, 0
	v_mov_b32_e32 v50, 0
	;; [unrolled: 1-line block ×8, first 2 shown]
	buffer_store_dword v20, off, s[56:59], 0 offset:28 ; 4-byte Folded Spill
	s_waitcnt vmcnt(1)
	buffer_store_dword v21, off, s[56:59], 0 offset:32 ; 4-byte Folded Spill
	v_mov_b32_e32 v49, 0
	s_andn2_b64 vcc, exec, s[34:35]
	v_mov_b32_e32 v51, 0
	v_mov_b32_e32 v17, 0
	;; [unrolled: 1-line block ×7, first 2 shown]
	buffer_store_dword v4, off, s[56:59], 0 offset:24 ; 4-byte Folded Spill
	v_ashrrev_i32_e32 v4, 31, v4
	buffer_store_dword v4, off, s[56:59], 0 offset:36 ; 4-byte Folded Spill
	s_cbranch_vccnz .LBB114_55
; %bb.5:                                ;   in Loop: Header=BB114_4 Depth=1
	buffer_load_dword v4, off, s[56:59], 0 offset:28 ; 4-byte Folded Reload
	buffer_load_dword v5, off, s[56:59], 0 offset:32 ; 4-byte Folded Reload
	v_mov_b32_e32 v12, 0
	v_mov_b32_e32 v14, 0
	;; [unrolled: 1-line block ×8, first 2 shown]
	s_mov_b64 s[20:21], 0
	v_mov_b32_e32 v13, 0
	v_mov_b32_e32 v15, 0
	;; [unrolled: 1-line block ×8, first 2 shown]
	s_mov_b64 s[22:23], 0
	s_waitcnt vmcnt(1)
	v_mov_b32_e32 v8, v4
	buffer_load_dword v4, off, s[56:59], 0 offset:56 ; 4-byte Folded Reload
	buffer_load_dword v5, off, s[56:59], 0 offset:60 ; 4-byte Folded Reload
	v_ashrrev_i32_e32 v9, 31, v8
	v_mul_lo_u32 v7, s24, v9
	v_mul_lo_u32 v6, s25, v8
	s_waitcnt vmcnt(0)
	v_mad_u64_u32 v[44:45], s[8:9], s24, v8, v[4:5]
	v_mov_b32_e32 v4, v8
	buffer_store_dword v4, off, s[56:59], 0 offset:28 ; 4-byte Folded Spill
	s_nop 0
	buffer_store_dword v5, off, s[56:59], 0 offset:32 ; 4-byte Folded Spill
	v_lshlrev_b64 v[4:5], 4, v[8:9]
	buffer_load_dword v9, off, s[56:59], 0 offset:48 ; 4-byte Folded Reload
	buffer_load_dword v10, off, s[56:59], 0 offset:52 ; 4-byte Folded Reload
	v_add_co_u32_e32 v4, vcc, 0x100, v4
	v_mul_lo_u32 v8, s37, v4
	v_add3_u32 v45, v6, v45, v7
	v_addc_co_u32_e32 v5, vcc, 0, v5, vcc
	v_mul_lo_u32 v5, s36, v5
	buffer_load_dword v6, off, s[56:59], 0 offset:36 ; 4-byte Folded Reload
	s_waitcnt vmcnt(1)
	v_mad_u64_u32 v[46:47], s[8:9], s36, v4, v[9:10]
	buffer_load_dword v4, off, s[56:59], 0 offset:24 ; 4-byte Folded Reload
	v_add3_u32 v47, v8, v47, v5
	v_mov_b32_e32 v5, s6
	s_waitcnt vmcnt(0)
	v_sub_co_u32_e32 v4, vcc, s46, v4
	v_subb_co_u32_e32 v5, vcc, v5, v6, vcc
	v_cmp_lt_i64_e32 vcc, 0, v[4:5]
	v_cmp_lt_i64_e64 s[8:9], 16, v[4:5]
	s_branch .LBB114_7
.LBB114_6:                              ;   in Loop: Header=BB114_7 Depth=2
	s_or_b64 exec, exec, s[10:11]
	s_waitcnt lgkmcnt(0)
	s_barrier
	ds_read_b128 v[56:59], v36
	ds_read_b128 v[20:23], v36 offset:16
	ds_read_b128 v[8:11], v36 offset:32
	;; [unrolled: 1-line block ×3, first 2 shown]
	ds_read_b128 v[60:63], v38
	s_add_u32 s22, s22, 32
	s_addc_u32 s23, s23, 0
	s_sub_i32 s10, s22, 32
	s_add_u32 s20, s20, 0x200
	s_waitcnt lgkmcnt(0)
	v_mul_f64 v[42:43], v[58:59], v[62:63]
	v_mul_f64 v[26:27], v[56:57], v[62:63]
	s_addc_u32 s21, s21, 0
	s_cmp_ge_i32 s10, s54
	v_fma_f64 v[42:43], v[56:57], v[60:61], -v[42:43]
	v_fma_f64 v[26:27], v[58:59], v[60:61], v[26:27]
	v_add_f64 v[42:43], v[48:49], v[42:43]
	v_add_f64 v[26:27], v[26:27], v[50:51]
	ds_read_b128 v[48:51], v38 offset:256
	s_waitcnt lgkmcnt(0)
	v_mul_f64 v[30:31], v[58:59], v[50:51]
	v_fma_f64 v[30:31], v[56:57], v[48:49], -v[30:31]
	v_mul_f64 v[56:57], v[56:57], v[50:51]
	v_add_f64 v[30:31], v[16:17], v[30:31]
	v_fma_f64 v[56:57], v[58:59], v[48:49], v[56:57]
	v_add_f64 v[32:33], v[56:57], v[18:19]
	ds_read_b128 v[16:19], v36 offset:8192
	s_waitcnt lgkmcnt(0)
	v_mul_f64 v[56:57], v[18:19], v[62:63]
	v_mul_f64 v[58:59], v[16:17], v[62:63]
	v_fma_f64 v[56:57], v[16:17], v[60:61], -v[56:57]
	v_fma_f64 v[58:59], v[18:19], v[60:61], v[58:59]
	v_add_f64 v[60:61], v[52:53], v[56:57]
	v_mul_f64 v[52:53], v[18:19], v[50:51]
	v_add_f64 v[62:63], v[58:59], v[54:55]
	v_fma_f64 v[52:53], v[16:17], v[48:49], -v[52:53]
	v_mul_f64 v[16:17], v[16:17], v[50:51]
	v_add_f64 v[56:57], v[14:15], v[52:53]
	v_fma_f64 v[16:17], v[18:19], v[48:49], v[16:17]
	v_add_f64 v[58:59], v[16:17], v[12:13]
	ds_read_b128 v[16:19], v38 offset:512
	s_waitcnt lgkmcnt(0)
	v_mul_f64 v[12:13], v[22:23], v[18:19]
	v_mul_f64 v[14:15], v[20:21], v[18:19]
	v_fma_f64 v[12:13], v[20:21], v[16:17], -v[12:13]
	v_fma_f64 v[14:15], v[22:23], v[16:17], v[14:15]
	v_add_f64 v[52:53], v[42:43], v[12:13]
	v_add_f64 v[54:55], v[14:15], v[26:27]
	ds_read_b128 v[12:15], v38 offset:768
	s_waitcnt lgkmcnt(0)
	v_mul_f64 v[26:27], v[22:23], v[14:15]
	v_fma_f64 v[26:27], v[20:21], v[12:13], -v[26:27]
	v_mul_f64 v[20:21], v[20:21], v[14:15]
	v_add_f64 v[48:49], v[30:31], v[26:27]
	v_fma_f64 v[20:21], v[22:23], v[12:13], v[20:21]
	v_add_f64 v[50:51], v[20:21], v[32:33]
	ds_read_b128 v[20:23], v36 offset:8208
	s_waitcnt lgkmcnt(0)
	v_mul_f64 v[26:27], v[22:23], v[18:19]
	v_mul_f64 v[18:19], v[20:21], v[18:19]
	v_fma_f64 v[26:27], v[20:21], v[16:17], -v[26:27]
	v_fma_f64 v[18:19], v[22:23], v[16:17], v[18:19]
	v_add_f64 v[16:17], v[60:61], v[26:27]
	v_mul_f64 v[26:27], v[22:23], v[14:15]
	v_mul_f64 v[14:15], v[20:21], v[14:15]
	v_add_f64 v[18:19], v[18:19], v[62:63]
	v_fma_f64 v[26:27], v[20:21], v[12:13], -v[26:27]
	v_fma_f64 v[14:15], v[22:23], v[12:13], v[14:15]
	ds_read_b128 v[20:23], v38 offset:1024
	s_waitcnt lgkmcnt(0)
	v_mul_f64 v[30:31], v[8:9], v[22:23]
	v_add_f64 v[12:13], v[56:57], v[26:27]
	v_mul_f64 v[26:27], v[10:11], v[22:23]
	v_add_f64 v[14:15], v[14:15], v[58:59]
	v_fma_f64 v[30:31], v[10:11], v[20:21], v[30:31]
	v_fma_f64 v[26:27], v[8:9], v[20:21], -v[26:27]
	v_add_f64 v[30:31], v[30:31], v[54:55]
	v_add_f64 v[26:27], v[52:53], v[26:27]
	ds_read_b128 v[52:55], v38 offset:1280
	s_waitcnt lgkmcnt(0)
	v_mul_f64 v[32:33], v[10:11], v[54:55]
	v_fma_f64 v[32:33], v[8:9], v[52:53], -v[32:33]
	v_mul_f64 v[8:9], v[8:9], v[54:55]
	v_add_f64 v[32:33], v[48:49], v[32:33]
	v_fma_f64 v[8:9], v[10:11], v[52:53], v[8:9]
	v_add_f64 v[42:43], v[8:9], v[50:51]
	ds_read_b128 v[8:11], v36 offset:8224
	s_waitcnt lgkmcnt(0)
	v_mul_f64 v[48:49], v[10:11], v[22:23]
	v_mul_f64 v[22:23], v[8:9], v[22:23]
	v_fma_f64 v[48:49], v[8:9], v[20:21], -v[48:49]
	v_fma_f64 v[20:21], v[10:11], v[20:21], v[22:23]
	v_add_f64 v[48:49], v[16:17], v[48:49]
	v_mul_f64 v[16:17], v[10:11], v[54:55]
	v_add_f64 v[50:51], v[20:21], v[18:19]
	v_fma_f64 v[16:17], v[8:9], v[52:53], -v[16:17]
	v_mul_f64 v[8:9], v[8:9], v[54:55]
	v_add_f64 v[20:21], v[12:13], v[16:17]
	v_fma_f64 v[8:9], v[10:11], v[52:53], v[8:9]
	ds_read_b128 v[52:55], v36 offset:8240
	v_add_f64 v[22:23], v[8:9], v[14:15]
	ds_read_b128 v[12:15], v38 offset:1536
	s_waitcnt lgkmcnt(0)
	v_mul_f64 v[8:9], v[6:7], v[14:15]
	v_mul_f64 v[10:11], v[4:5], v[14:15]
	v_fma_f64 v[8:9], v[4:5], v[12:13], -v[8:9]
	v_fma_f64 v[10:11], v[6:7], v[12:13], v[10:11]
	v_add_f64 v[16:17], v[26:27], v[8:9]
	v_add_f64 v[18:19], v[10:11], v[30:31]
	ds_read_b128 v[8:11], v38 offset:1792
	s_waitcnt lgkmcnt(0)
	v_mul_f64 v[26:27], v[6:7], v[10:11]
	v_fma_f64 v[26:27], v[4:5], v[8:9], -v[26:27]
	v_mul_f64 v[4:5], v[4:5], v[10:11]
	v_fma_f64 v[6:7], v[6:7], v[8:9], v[4:5]
	v_add_f64 v[4:5], v[32:33], v[26:27]
	v_mul_f64 v[26:27], v[54:55], v[14:15]
	v_mul_f64 v[14:15], v[52:53], v[14:15]
	v_add_f64 v[6:7], v[6:7], v[42:43]
	v_fma_f64 v[26:27], v[52:53], v[12:13], -v[26:27]
	v_fma_f64 v[14:15], v[54:55], v[12:13], v[14:15]
	v_add_f64 v[12:13], v[48:49], v[26:27]
	v_mul_f64 v[26:27], v[54:55], v[10:11]
	v_mul_f64 v[10:11], v[52:53], v[10:11]
	v_add_f64 v[14:15], v[14:15], v[50:51]
	v_fma_f64 v[26:27], v[52:53], v[8:9], -v[26:27]
	v_fma_f64 v[8:9], v[54:55], v[8:9], v[10:11]
	v_add_f64 v[26:27], v[20:21], v[26:27]
	v_add_f64 v[30:31], v[8:9], v[22:23]
	ds_read_b128 v[8:11], v36 offset:64
	ds_read_b128 v[20:23], v38 offset:2048
	;; [unrolled: 1-line block ×3, first 2 shown]
	s_waitcnt lgkmcnt(1)
	v_mul_f64 v[32:33], v[10:11], v[22:23]
	v_mul_f64 v[42:43], v[8:9], v[22:23]
	v_fma_f64 v[32:33], v[8:9], v[20:21], -v[32:33]
	v_fma_f64 v[42:43], v[10:11], v[20:21], v[42:43]
	v_add_f64 v[16:17], v[16:17], v[32:33]
	s_waitcnt lgkmcnt(0)
	v_mul_f64 v[32:33], v[10:11], v[50:51]
	v_add_f64 v[18:19], v[42:43], v[18:19]
	v_fma_f64 v[32:33], v[8:9], v[48:49], -v[32:33]
	v_mul_f64 v[8:9], v[8:9], v[50:51]
	v_add_f64 v[32:33], v[4:5], v[32:33]
	v_fma_f64 v[8:9], v[10:11], v[48:49], v[8:9]
	v_add_f64 v[42:43], v[8:9], v[6:7]
	ds_read_b128 v[4:7], v36 offset:8256
	s_waitcnt lgkmcnt(0)
	v_mul_f64 v[8:9], v[6:7], v[22:23]
	v_mul_f64 v[10:11], v[4:5], v[22:23]
	v_fma_f64 v[8:9], v[4:5], v[20:21], -v[8:9]
	v_fma_f64 v[10:11], v[6:7], v[20:21], v[10:11]
	v_add_f64 v[20:21], v[12:13], v[8:9]
	v_mul_f64 v[8:9], v[6:7], v[50:51]
	v_add_f64 v[22:23], v[10:11], v[14:15]
	v_fma_f64 v[8:9], v[4:5], v[48:49], -v[8:9]
	v_mul_f64 v[4:5], v[4:5], v[50:51]
	v_add_f64 v[12:13], v[26:27], v[8:9]
	v_fma_f64 v[4:5], v[6:7], v[48:49], v[4:5]
	ds_read_b128 v[52:55], v36 offset:80
	ds_read_b128 v[8:11], v38 offset:2560
	s_waitcnt lgkmcnt(0)
	v_mul_f64 v[6:7], v[52:53], v[10:11]
	v_add_f64 v[14:15], v[4:5], v[30:31]
	v_mul_f64 v[4:5], v[54:55], v[10:11]
	v_fma_f64 v[6:7], v[54:55], v[8:9], v[6:7]
	v_fma_f64 v[4:5], v[52:53], v[8:9], -v[4:5]
	v_add_f64 v[50:51], v[6:7], v[18:19]
	v_add_f64 v[48:49], v[16:17], v[4:5]
	ds_read_b128 v[4:7], v38 offset:2816
	s_waitcnt lgkmcnt(0)
	v_mul_f64 v[16:17], v[54:55], v[6:7]
	v_mul_f64 v[18:19], v[52:53], v[6:7]
	v_fma_f64 v[16:17], v[52:53], v[4:5], -v[16:17]
	v_fma_f64 v[18:19], v[54:55], v[4:5], v[18:19]
	ds_read_b128 v[52:55], v36 offset:8272
	s_waitcnt lgkmcnt(0)
	v_mul_f64 v[26:27], v[54:55], v[10:11]
	v_mul_f64 v[10:11], v[52:53], v[10:11]
	v_add_f64 v[16:17], v[32:33], v[16:17]
	v_add_f64 v[18:19], v[18:19], v[42:43]
	v_fma_f64 v[26:27], v[52:53], v[8:9], -v[26:27]
	v_fma_f64 v[10:11], v[54:55], v[8:9], v[10:11]
	v_add_f64 v[8:9], v[20:21], v[26:27]
	v_mul_f64 v[20:21], v[54:55], v[6:7]
	v_mul_f64 v[6:7], v[52:53], v[6:7]
	v_add_f64 v[10:11], v[10:11], v[22:23]
	v_fma_f64 v[20:21], v[52:53], v[4:5], -v[20:21]
	v_fma_f64 v[4:5], v[54:55], v[4:5], v[6:7]
	v_add_f64 v[26:27], v[12:13], v[20:21]
	v_add_f64 v[30:31], v[4:5], v[14:15]
	ds_read_b128 v[12:15], v36 offset:96
	ds_read_b128 v[20:23], v38 offset:3072
	s_waitcnt lgkmcnt(0)
	v_mul_f64 v[4:5], v[14:15], v[22:23]
	v_mul_f64 v[6:7], v[12:13], v[22:23]
	v_fma_f64 v[4:5], v[12:13], v[20:21], -v[4:5]
	v_fma_f64 v[6:7], v[14:15], v[20:21], v[6:7]
	v_add_f64 v[4:5], v[48:49], v[4:5]
	v_add_f64 v[6:7], v[6:7], v[50:51]
	ds_read_b128 v[48:51], v38 offset:3328
	s_waitcnt lgkmcnt(0)
	v_mul_f64 v[32:33], v[14:15], v[50:51]
	v_fma_f64 v[32:33], v[12:13], v[48:49], -v[32:33]
	v_mul_f64 v[12:13], v[12:13], v[50:51]
	v_add_f64 v[32:33], v[16:17], v[32:33]
	v_fma_f64 v[12:13], v[14:15], v[48:49], v[12:13]
	v_add_f64 v[42:43], v[12:13], v[18:19]
	ds_read_b128 v[12:15], v36 offset:8288
	s_waitcnt lgkmcnt(0)
	v_mul_f64 v[16:17], v[14:15], v[22:23]
	v_mul_f64 v[18:19], v[12:13], v[22:23]
	v_fma_f64 v[16:17], v[12:13], v[20:21], -v[16:17]
	v_fma_f64 v[18:19], v[14:15], v[20:21], v[18:19]
	v_add_f64 v[20:21], v[8:9], v[16:17]
	v_add_f64 v[22:23], v[18:19], v[10:11]
	v_mul_f64 v[8:9], v[14:15], v[50:51]
	v_mul_f64 v[10:11], v[12:13], v[50:51]
	v_fma_f64 v[8:9], v[12:13], v[48:49], -v[8:9]
	v_fma_f64 v[10:11], v[14:15], v[48:49], v[10:11]
	v_add_f64 v[12:13], v[26:27], v[8:9]
	v_add_f64 v[14:15], v[10:11], v[30:31]
	ds_read_b128 v[16:19], v36 offset:112
	ds_read_b128 v[8:11], v38 offset:3584
	ds_read_b128 v[52:55], v36 offset:8304
	s_waitcnt lgkmcnt(1)
	v_mul_f64 v[26:27], v[18:19], v[10:11]
	v_mul_f64 v[30:31], v[16:17], v[10:11]
	v_fma_f64 v[26:27], v[16:17], v[8:9], -v[26:27]
	v_fma_f64 v[30:31], v[18:19], v[8:9], v[30:31]
	v_add_f64 v[48:49], v[4:5], v[26:27]
	v_add_f64 v[50:51], v[30:31], v[6:7]
	ds_read_b128 v[4:7], v38 offset:3840
	s_waitcnt lgkmcnt(0)
	v_mul_f64 v[26:27], v[18:19], v[6:7]
	v_fma_f64 v[26:27], v[16:17], v[4:5], -v[26:27]
	v_mul_f64 v[16:17], v[16:17], v[6:7]
	v_fma_f64 v[18:19], v[18:19], v[4:5], v[16:17]
	v_add_f64 v[16:17], v[32:33], v[26:27]
	v_mul_f64 v[26:27], v[54:55], v[10:11]
	v_mul_f64 v[10:11], v[52:53], v[10:11]
	v_add_f64 v[18:19], v[18:19], v[42:43]
	v_fma_f64 v[26:27], v[52:53], v[8:9], -v[26:27]
	v_fma_f64 v[10:11], v[54:55], v[8:9], v[10:11]
	v_add_f64 v[8:9], v[20:21], v[26:27]
	v_mul_f64 v[20:21], v[54:55], v[6:7]
	v_mul_f64 v[6:7], v[52:53], v[6:7]
	v_add_f64 v[10:11], v[10:11], v[22:23]
	v_fma_f64 v[20:21], v[52:53], v[4:5], -v[20:21]
	v_fma_f64 v[4:5], v[54:55], v[4:5], v[6:7]
	v_add_f64 v[26:27], v[12:13], v[20:21]
	v_add_f64 v[30:31], v[4:5], v[14:15]
	ds_read_b128 v[12:15], v36 offset:128
	ds_read_b128 v[20:23], v38 offset:4096
	s_waitcnt lgkmcnt(0)
	v_mul_f64 v[4:5], v[14:15], v[22:23]
	v_mul_f64 v[6:7], v[12:13], v[22:23]
	v_fma_f64 v[4:5], v[12:13], v[20:21], -v[4:5]
	v_fma_f64 v[6:7], v[14:15], v[20:21], v[6:7]
	v_add_f64 v[4:5], v[48:49], v[4:5]
	v_add_f64 v[6:7], v[6:7], v[50:51]
	ds_read_b128 v[48:51], v38 offset:4352
	s_waitcnt lgkmcnt(0)
	v_mul_f64 v[32:33], v[14:15], v[50:51]
	v_fma_f64 v[32:33], v[12:13], v[48:49], -v[32:33]
	v_mul_f64 v[12:13], v[12:13], v[50:51]
	v_add_f64 v[32:33], v[16:17], v[32:33]
	v_fma_f64 v[12:13], v[14:15], v[48:49], v[12:13]
	v_add_f64 v[42:43], v[12:13], v[18:19]
	ds_read_b128 v[12:15], v36 offset:8320
	s_waitcnt lgkmcnt(0)
	v_mul_f64 v[16:17], v[14:15], v[22:23]
	v_mul_f64 v[18:19], v[12:13], v[22:23]
	v_fma_f64 v[16:17], v[12:13], v[20:21], -v[16:17]
	v_fma_f64 v[18:19], v[14:15], v[20:21], v[18:19]
	v_add_f64 v[20:21], v[8:9], v[16:17]
	v_add_f64 v[22:23], v[18:19], v[10:11]
	v_mul_f64 v[8:9], v[14:15], v[50:51]
	v_mul_f64 v[10:11], v[12:13], v[50:51]
	v_fma_f64 v[8:9], v[12:13], v[48:49], -v[8:9]
	v_fma_f64 v[10:11], v[14:15], v[48:49], v[10:11]
	v_add_f64 v[12:13], v[26:27], v[8:9]
	v_add_f64 v[14:15], v[10:11], v[30:31]
	ds_read_b128 v[16:19], v36 offset:144
	ds_read_b128 v[8:11], v38 offset:4608
	ds_read_b128 v[52:55], v36 offset:8336
	s_waitcnt lgkmcnt(1)
	v_mul_f64 v[26:27], v[18:19], v[10:11]
	v_mul_f64 v[30:31], v[16:17], v[10:11]
	v_fma_f64 v[26:27], v[16:17], v[8:9], -v[26:27]
	v_fma_f64 v[30:31], v[18:19], v[8:9], v[30:31]
	v_add_f64 v[48:49], v[4:5], v[26:27]
	v_add_f64 v[50:51], v[30:31], v[6:7]
	ds_read_b128 v[4:7], v38 offset:4864
	s_waitcnt lgkmcnt(0)
	v_mul_f64 v[26:27], v[18:19], v[6:7]
	v_fma_f64 v[26:27], v[16:17], v[4:5], -v[26:27]
	v_mul_f64 v[16:17], v[16:17], v[6:7]
	v_fma_f64 v[18:19], v[18:19], v[4:5], v[16:17]
	v_add_f64 v[16:17], v[32:33], v[26:27]
	v_mul_f64 v[26:27], v[54:55], v[10:11]
	v_mul_f64 v[10:11], v[52:53], v[10:11]
	;; [unrolled: 61-line block ×11, first 2 shown]
	v_add_f64 v[22:23], v[22:23], v[42:43]
	v_fma_f64 v[26:27], v[52:53], v[8:9], -v[26:27]
	v_fma_f64 v[8:9], v[54:55], v[8:9], v[10:11]
	v_add_f64 v[26:27], v[16:17], v[26:27]
	v_add_f64 v[30:31], v[8:9], v[18:19]
	v_mul_f64 v[8:9], v[54:55], v[6:7]
	v_mul_f64 v[6:7], v[52:53], v[6:7]
	v_fma_f64 v[8:9], v[52:53], v[4:5], -v[8:9]
	v_fma_f64 v[4:5], v[54:55], v[4:5], v[6:7]
	v_add_f64 v[32:33], v[12:13], v[8:9]
	v_add_f64 v[42:43], v[4:5], v[14:15]
	ds_read_b128 v[8:11], v36 offset:448
	ds_read_b128 v[12:15], v38 offset:14336
	;; [unrolled: 1-line block ×3, first 2 shown]
	s_waitcnt lgkmcnt(1)
	v_mul_f64 v[4:5], v[10:11], v[14:15]
	v_mul_f64 v[6:7], v[8:9], v[14:15]
	v_fma_f64 v[4:5], v[8:9], v[12:13], -v[4:5]
	v_fma_f64 v[6:7], v[10:11], v[12:13], v[6:7]
	v_add_f64 v[4:5], v[48:49], v[4:5]
	s_waitcnt lgkmcnt(0)
	v_mul_f64 v[48:49], v[10:11], v[18:19]
	v_add_f64 v[6:7], v[6:7], v[50:51]
	v_fma_f64 v[48:49], v[8:9], v[16:17], -v[48:49]
	v_mul_f64 v[8:9], v[8:9], v[18:19]
	v_add_f64 v[20:21], v[20:21], v[48:49]
	v_fma_f64 v[8:9], v[10:11], v[16:17], v[8:9]
	v_add_f64 v[22:23], v[8:9], v[22:23]
	ds_read_b128 v[8:11], v36 offset:8640
	s_waitcnt lgkmcnt(0)
	v_mul_f64 v[48:49], v[10:11], v[14:15]
	v_mul_f64 v[14:15], v[8:9], v[14:15]
	v_fma_f64 v[48:49], v[8:9], v[12:13], -v[48:49]
	v_fma_f64 v[12:13], v[10:11], v[12:13], v[14:15]
	v_add_f64 v[48:49], v[26:27], v[48:49]
	v_add_f64 v[50:51], v[12:13], v[30:31]
	v_mul_f64 v[12:13], v[10:11], v[18:19]
	v_fma_f64 v[12:13], v[8:9], v[16:17], -v[12:13]
	v_mul_f64 v[8:9], v[8:9], v[18:19]
	v_fma_f64 v[8:9], v[10:11], v[16:17], v[8:9]
	v_add_f64 v[16:17], v[32:33], v[12:13]
	v_add_f64 v[18:19], v[8:9], v[42:43]
	ds_read_b128 v[12:15], v36 offset:464
	ds_read_b128 v[8:11], v38 offset:14848
	s_waitcnt lgkmcnt(0)
	v_mul_f64 v[26:27], v[14:15], v[10:11]
	v_mul_f64 v[30:31], v[12:13], v[10:11]
	v_fma_f64 v[26:27], v[12:13], v[8:9], -v[26:27]
	v_fma_f64 v[30:31], v[14:15], v[8:9], v[30:31]
	v_add_f64 v[52:53], v[4:5], v[26:27]
	v_add_f64 v[54:55], v[30:31], v[6:7]
	ds_read_b128 v[4:7], v38 offset:15104
	s_waitcnt lgkmcnt(0)
	v_mul_f64 v[26:27], v[14:15], v[6:7]
	v_fma_f64 v[26:27], v[12:13], v[4:5], -v[26:27]
	v_mul_f64 v[12:13], v[12:13], v[6:7]
	v_add_f64 v[20:21], v[20:21], v[26:27]
	v_fma_f64 v[12:13], v[14:15], v[4:5], v[12:13]
	v_add_f64 v[22:23], v[12:13], v[22:23]
	ds_read_b128 v[12:15], v36 offset:8656
	s_waitcnt lgkmcnt(0)
	v_mul_f64 v[26:27], v[14:15], v[10:11]
	v_mul_f64 v[10:11], v[12:13], v[10:11]
	v_fma_f64 v[26:27], v[12:13], v[8:9], -v[26:27]
	v_fma_f64 v[10:11], v[14:15], v[8:9], v[10:11]
	v_add_f64 v[8:9], v[48:49], v[26:27]
	v_mul_f64 v[26:27], v[14:15], v[6:7]
	v_mul_f64 v[6:7], v[12:13], v[6:7]
	v_add_f64 v[10:11], v[10:11], v[50:51]
	v_fma_f64 v[26:27], v[12:13], v[4:5], -v[26:27]
	v_fma_f64 v[4:5], v[14:15], v[4:5], v[6:7]
	v_add_f64 v[26:27], v[16:17], v[26:27]
	v_add_f64 v[30:31], v[4:5], v[18:19]
	ds_read_b128 v[12:15], v36 offset:480
	ds_read_b128 v[16:19], v38 offset:15360
	;; [unrolled: 1-line block ×3, first 2 shown]
	s_waitcnt lgkmcnt(1)
	v_mul_f64 v[4:5], v[14:15], v[18:19]
	s_waitcnt lgkmcnt(0)
	v_mul_f64 v[32:33], v[14:15], v[50:51]
	v_mul_f64 v[6:7], v[12:13], v[18:19]
	v_fma_f64 v[4:5], v[12:13], v[16:17], -v[4:5]
	v_fma_f64 v[32:33], v[12:13], v[48:49], -v[32:33]
	v_mul_f64 v[12:13], v[12:13], v[50:51]
	v_fma_f64 v[6:7], v[14:15], v[16:17], v[6:7]
	v_add_f64 v[4:5], v[52:53], v[4:5]
	v_add_f64 v[32:33], v[20:21], v[32:33]
	v_fma_f64 v[12:13], v[14:15], v[48:49], v[12:13]
	v_add_f64 v[6:7], v[6:7], v[54:55]
	v_add_f64 v[42:43], v[12:13], v[22:23]
	ds_read_b128 v[12:15], v36 offset:8672
	s_waitcnt lgkmcnt(0)
	v_mul_f64 v[20:21], v[14:15], v[18:19]
	v_mul_f64 v[18:19], v[12:13], v[18:19]
	v_fma_f64 v[20:21], v[12:13], v[16:17], -v[20:21]
	v_fma_f64 v[16:17], v[14:15], v[16:17], v[18:19]
	v_add_f64 v[52:53], v[8:9], v[20:21]
	v_add_f64 v[54:55], v[16:17], v[10:11]
	v_mul_f64 v[8:9], v[14:15], v[50:51]
	v_mul_f64 v[10:11], v[12:13], v[50:51]
	v_fma_f64 v[8:9], v[12:13], v[48:49], -v[8:9]
	v_fma_f64 v[10:11], v[14:15], v[48:49], v[10:11]
	v_add_f64 v[20:21], v[26:27], v[8:9]
	v_add_f64 v[22:23], v[10:11], v[30:31]
	ds_read_b128 v[12:15], v36 offset:496
	ds_read_b128 v[8:11], v38 offset:15872
	s_waitcnt lgkmcnt(0)
	v_mul_f64 v[16:17], v[14:15], v[10:11]
	v_mul_f64 v[18:19], v[12:13], v[10:11]
	v_fma_f64 v[16:17], v[12:13], v[8:9], -v[16:17]
	v_fma_f64 v[18:19], v[14:15], v[8:9], v[18:19]
	v_add_f64 v[48:49], v[4:5], v[16:17]
	v_add_f64 v[50:51], v[18:19], v[6:7]
	ds_read_b128 v[4:7], v38 offset:16128
	s_waitcnt lgkmcnt(0)
	v_mul_f64 v[16:17], v[14:15], v[6:7]
	v_fma_f64 v[16:17], v[12:13], v[4:5], -v[16:17]
	v_mul_f64 v[12:13], v[12:13], v[6:7]
	v_add_f64 v[16:17], v[32:33], v[16:17]
	v_fma_f64 v[12:13], v[14:15], v[4:5], v[12:13]
	v_add_f64 v[18:19], v[12:13], v[42:43]
	ds_read_b128 v[12:15], v36 offset:8688
	s_waitcnt lgkmcnt(0)
	s_barrier
	v_mul_f64 v[26:27], v[14:15], v[10:11]
	v_mul_f64 v[10:11], v[12:13], v[10:11]
	v_fma_f64 v[26:27], v[12:13], v[8:9], -v[26:27]
	v_fma_f64 v[8:9], v[14:15], v[8:9], v[10:11]
	v_add_f64 v[52:53], v[52:53], v[26:27]
	v_add_f64 v[54:55], v[8:9], v[54:55]
	v_mul_f64 v[8:9], v[14:15], v[6:7]
	v_mul_f64 v[6:7], v[12:13], v[6:7]
	v_fma_f64 v[8:9], v[12:13], v[4:5], -v[8:9]
	v_fma_f64 v[4:5], v[14:15], v[4:5], v[6:7]
	v_add_f64 v[14:15], v[20:21], v[8:9]
	v_add_f64 v[12:13], v[4:5], v[22:23]
	s_cbranch_scc1 .LBB114_55
.LBB114_7:                              ;   Parent Loop BB114_4 Depth=1
                                        ; =>  This Inner Loop Header: Depth=2
	v_mov_b32_e32 v4, s23
	v_add_co_u32_e64 v8, s[10:11], s22, v1
	v_addc_co_u32_e64 v9, s[10:11], 0, v4, s[10:11]
	v_mov_b32_e32 v4, s21
	v_add_co_u32_e64 v6, s[10:11], s20, v37
	v_addc_co_u32_e64 v7, s[10:11], v34, v4, s[10:11]
	v_cmp_le_i64_e64 s[12:13], s[42:43], v[8:9]
	v_cmp_eq_u64_e64 s[16:17], s[22:23], v[28:29]
	v_cmp_gt_i64_e64 s[10:11], v[8:9], v[24:25]
	s_and_b64 s[38:39], s[40:41], s[16:17]
	s_or_b64 s[16:17], s[12:13], s[10:11]
	s_or_b64 s[16:17], s[16:17], s[38:39]
	s_nor_b64 s[16:17], s[0:1], s[16:17]
	s_and_saveexec_b64 s[18:19], s[16:17]
	s_xor_b64 s[16:17], exec, s[18:19]
	s_cbranch_execz .LBB114_9
; %bb.8:                                ;   in Loop: Header=BB114_7 Depth=2
	global_load_dwordx4 v[20:23], v[6:7], off offset:-256
	s_waitcnt vmcnt(0)
	ds_write2_b64 v39, v[20:21], v[22:23] offset1:1
.LBB114_9:                              ;   in Loop: Header=BB114_7 Depth=2
	s_or_saveexec_b64 s[16:17], s[16:17]
	s_xor_b64 s[26:27], s[38:39], -1
	s_xor_b64 exec, exec, s[16:17]
	s_cbranch_execz .LBB114_15
; %bb.10:                               ;   in Loop: Header=BB114_7 Depth=2
	s_and_saveexec_b64 s[18:19], s[26:27]
	s_xor_b64 s[18:19], exec, s[18:19]
; %bb.11:                               ;   in Loop: Header=BB114_7 Depth=2
	v_mov_b32_e32 v20, v2
	v_mov_b32_e32 v21, v2
	;; [unrolled: 1-line block ×4, first 2 shown]
	ds_write_b128 v39, v[20:23]
; %bb.12:                               ;   in Loop: Header=BB114_7 Depth=2
	s_andn2_saveexec_b64 s[18:19], s[18:19]
; %bb.13:                               ;   in Loop: Header=BB114_7 Depth=2
	v_mov_b32_e32 v4, v2
	v_mov_b32_e32 v5, v2
	ds_write_b128 v39, v[2:5]
; %bb.14:                               ;   in Loop: Header=BB114_7 Depth=2
	s_or_b64 exec, exec, s[18:19]
.LBB114_15:                             ;   in Loop: Header=BB114_7 Depth=2
	s_or_b64 exec, exec, s[16:17]
	buffer_load_dword v4, off, s[56:59], 0 offset:8 ; 4-byte Folded Reload
	buffer_load_dword v5, off, s[56:59], 0 offset:12 ; 4-byte Folded Reload
	s_waitcnt vmcnt(0)
	v_cmp_eq_u64_e64 s[16:17], s[22:23], v[4:5]
	buffer_load_dword v4, off, s[56:59], 0  ; 4-byte Folded Reload
	buffer_load_dword v5, off, s[56:59], 0 offset:4 ; 4-byte Folded Reload
	s_and_b64 s[16:17], s[40:41], s[16:17]
	s_waitcnt vmcnt(0)
	v_cmp_lt_i64_e64 s[18:19], v[4:5], v[8:9]
	s_or_b64 s[12:13], s[12:13], s[18:19]
	s_or_b64 s[12:13], s[12:13], s[16:17]
	s_nor_b64 s[12:13], s[2:3], s[12:13]
	s_and_saveexec_b64 s[18:19], s[12:13]
	s_xor_b64 s[18:19], exec, s[18:19]
	s_cbranch_execz .LBB114_17
; %bb.16:                               ;   in Loop: Header=BB114_7 Depth=2
	v_mov_b32_e32 v5, s21
	v_add_co_u32_e64 v4, s[12:13], s20, v35
	v_addc_co_u32_e64 v5, s[12:13], v40, v5, s[12:13]
	global_load_dwordx4 v[20:23], v[4:5], off
	v_add_u32_e32 v4, 0x100, v39
	s_waitcnt vmcnt(0)
	ds_write2_b64 v4, v[20:21], v[22:23] offset1:1
.LBB114_17:                             ;   in Loop: Header=BB114_7 Depth=2
	s_andn2_saveexec_b64 s[12:13], s[18:19]
	s_cbranch_execz .LBB114_23
; %bb.18:                               ;   in Loop: Header=BB114_7 Depth=2
	s_xor_b64 s[16:17], s[16:17], -1
	s_and_saveexec_b64 s[18:19], s[16:17]
	s_xor_b64 s[16:17], exec, s[18:19]
; %bb.19:                               ;   in Loop: Header=BB114_7 Depth=2
	v_mov_b32_e32 v20, v2
	v_mov_b32_e32 v21, v2
	;; [unrolled: 1-line block ×4, first 2 shown]
	ds_write_b128 v39, v[20:23] offset:256
; %bb.20:                               ;   in Loop: Header=BB114_7 Depth=2
	s_andn2_saveexec_b64 s[16:17], s[16:17]
; %bb.21:                               ;   in Loop: Header=BB114_7 Depth=2
	v_mov_b32_e32 v4, v2
	v_mov_b32_e32 v5, v2
	ds_write_b128 v39, v[2:5] offset:256
; %bb.22:                               ;   in Loop: Header=BB114_7 Depth=2
	s_or_b64 exec, exec, s[16:17]
.LBB114_23:                             ;   in Loop: Header=BB114_7 Depth=2
	s_or_b64 exec, exec, s[12:13]
	v_add_co_u32_e64 v4, s[12:13], 16, v8
	v_addc_co_u32_e64 v5, s[12:13], 0, v9, s[12:13]
	buffer_load_dword v8, off, s[56:59], 0 offset:16 ; 4-byte Folded Reload
	buffer_load_dword v9, off, s[56:59], 0 offset:20 ; 4-byte Folded Reload
	v_cmp_le_i64_e64 s[12:13], s[42:43], v[4:5]
	v_cmp_gt_i64_e64 s[18:19], v[4:5], v[24:25]
	s_waitcnt vmcnt(0)
	v_cmp_eq_u64_e64 s[16:17], s[22:23], v[8:9]
	s_and_b64 s[44:45], s[40:41], s[16:17]
	s_or_b64 s[16:17], s[12:13], s[18:19]
	s_or_b64 s[16:17], s[16:17], s[44:45]
	s_nor_b64 s[16:17], s[0:1], s[16:17]
	s_and_saveexec_b64 s[18:19], s[16:17]
	s_xor_b64 s[16:17], exec, s[18:19]
	s_cbranch_execz .LBB114_25
; %bb.24:                               ;   in Loop: Header=BB114_7 Depth=2
	global_load_dwordx4 v[4:7], v[6:7], off
	v_add_u32_e32 v8, 0x2000, v39
	s_waitcnt vmcnt(0)
	ds_write2_b64 v8, v[4:5], v[6:7] offset1:1
.LBB114_25:                             ;   in Loop: Header=BB114_7 Depth=2
	s_andn2_saveexec_b64 s[16:17], s[16:17]
	s_cbranch_execz .LBB114_31
; %bb.26:                               ;   in Loop: Header=BB114_7 Depth=2
	s_xor_b64 s[18:19], s[44:45], -1
	s_and_saveexec_b64 s[44:45], s[18:19]
	s_xor_b64 s[18:19], exec, s[44:45]
; %bb.27:                               ;   in Loop: Header=BB114_7 Depth=2
	v_mov_b32_e32 v4, v2
	v_mov_b32_e32 v5, v2
	;; [unrolled: 1-line block ×4, first 2 shown]
	ds_write_b128 v39, v[4:7] offset:8192
; %bb.28:                               ;   in Loop: Header=BB114_7 Depth=2
	s_andn2_saveexec_b64 s[18:19], s[18:19]
; %bb.29:                               ;   in Loop: Header=BB114_7 Depth=2
	v_mov_b32_e32 v4, v2
	v_mov_b32_e32 v5, v2
	ds_write_b128 v39, v[2:5] offset:8192
; %bb.30:                               ;   in Loop: Header=BB114_7 Depth=2
	s_or_b64 exec, exec, s[18:19]
.LBB114_31:                             ;   in Loop: Header=BB114_7 Depth=2
	s_or_b64 exec, exec, s[16:17]
	s_or_b64 s[10:11], s[12:13], s[10:11]
	s_or_b64 s[10:11], s[10:11], s[38:39]
	s_nor_b64 s[10:11], s[2:3], s[10:11]
	s_and_saveexec_b64 s[12:13], s[10:11]
	s_xor_b64 s[12:13], exec, s[12:13]
	s_cbranch_execz .LBB114_33
; %bb.32:                               ;   in Loop: Header=BB114_7 Depth=2
	v_mov_b32_e32 v5, s21
	v_add_co_u32_e64 v4, s[10:11], s20, v35
	v_addc_co_u32_e64 v5, s[10:11], v40, v5, s[10:11]
	global_load_dwordx4 v[4:7], v[4:5], off offset:256
	v_add_u32_e32 v8, 0x2100, v39
	s_waitcnt vmcnt(0)
	ds_write2_b64 v8, v[4:5], v[6:7] offset1:1
.LBB114_33:                             ;   in Loop: Header=BB114_7 Depth=2
	s_andn2_saveexec_b64 s[10:11], s[12:13]
	s_cbranch_execz .LBB114_39
; %bb.34:                               ;   in Loop: Header=BB114_7 Depth=2
	s_and_saveexec_b64 s[12:13], s[26:27]
	s_xor_b64 s[12:13], exec, s[12:13]
; %bb.35:                               ;   in Loop: Header=BB114_7 Depth=2
	v_mov_b32_e32 v4, v2
	v_mov_b32_e32 v5, v2
	;; [unrolled: 1-line block ×4, first 2 shown]
	ds_write_b128 v39, v[4:7] offset:8448
; %bb.36:                               ;   in Loop: Header=BB114_7 Depth=2
	s_andn2_saveexec_b64 s[12:13], s[12:13]
; %bb.37:                               ;   in Loop: Header=BB114_7 Depth=2
	v_mov_b32_e32 v4, v2
	v_mov_b32_e32 v5, v2
	ds_write_b128 v39, v[2:5] offset:8448
; %bb.38:                               ;   in Loop: Header=BB114_7 Depth=2
	s_or_b64 exec, exec, s[12:13]
.LBB114_39:                             ;   in Loop: Header=BB114_7 Depth=2
	s_or_b64 exec, exec, s[10:11]
	v_mov_b32_e32 v5, s23
	v_add_co_u32_e64 v4, s[10:11], s22, v0
	v_addc_co_u32_e64 v5, s[10:11], 0, v5, s[10:11]
	v_cmp_gt_i64_e64 s[10:11], s[42:43], v[4:5]
	s_and_b64 s[12:13], vcc, s[10:11]
	s_xor_b64 s[12:13], s[12:13], -1
	s_and_saveexec_b64 s[16:17], s[12:13]
	s_xor_b64 s[12:13], exec, s[16:17]
; %bb.40:                               ;   in Loop: Header=BB114_7 Depth=2
	v_mov_b32_e32 v6, v2
	v_mov_b32_e32 v7, v2
	;; [unrolled: 1-line block ×4, first 2 shown]
	ds_write_b128 v41, v[6:9]
; %bb.41:                               ;   in Loop: Header=BB114_7 Depth=2
	s_or_saveexec_b64 s[16:17], s[12:13]
	v_mov_b32_e32 v7, s21
	v_add_co_u32_e64 v6, s[12:13], s20, v44
	v_addc_co_u32_e64 v7, s[12:13], v45, v7, s[12:13]
	s_xor_b64 exec, exec, s[16:17]
	s_cbranch_execz .LBB114_43
; %bb.42:                               ;   in Loop: Header=BB114_7 Depth=2
	global_load_dwordx4 v[8:11], v[6:7], off offset:-256
	s_waitcnt vmcnt(0)
	ds_write2_b64 v41, v[8:9], v[10:11] offset1:1
.LBB114_43:                             ;   in Loop: Header=BB114_7 Depth=2
	s_or_b64 exec, exec, s[16:17]
	v_cmp_gt_i64_e64 s[12:13], s[50:51], v[4:5]
	s_and_b64 s[16:17], vcc, s[12:13]
	s_xor_b64 s[16:17], s[16:17], -1
	s_and_saveexec_b64 s[18:19], s[16:17]
	s_xor_b64 s[16:17], exec, s[18:19]
; %bb.44:                               ;   in Loop: Header=BB114_7 Depth=2
	v_mov_b32_e32 v4, v2
	v_mov_b32_e32 v5, v2
	;; [unrolled: 1-line block ×4, first 2 shown]
	ds_write_b128 v41, v[4:7] offset:256
                                        ; implicit-def: $vgpr6_vgpr7
; %bb.45:                               ;   in Loop: Header=BB114_7 Depth=2
	s_andn2_saveexec_b64 s[16:17], s[16:17]
	s_cbranch_execz .LBB114_47
; %bb.46:                               ;   in Loop: Header=BB114_7 Depth=2
	global_load_dwordx4 v[4:7], v[6:7], off
	v_add_u32_e32 v8, 0x100, v41
	s_waitcnt vmcnt(0)
	ds_write2_b64 v8, v[4:5], v[6:7] offset1:1
.LBB114_47:                             ;   in Loop: Header=BB114_7 Depth=2
	s_or_b64 exec, exec, s[16:17]
	s_and_b64 s[10:11], s[8:9], s[10:11]
	s_xor_b64 s[10:11], s[10:11], -1
	s_and_saveexec_b64 s[16:17], s[10:11]
	s_xor_b64 s[10:11], exec, s[16:17]
; %bb.48:                               ;   in Loop: Header=BB114_7 Depth=2
	v_mov_b32_e32 v4, v2
	v_mov_b32_e32 v5, v2
	;; [unrolled: 1-line block ×4, first 2 shown]
	ds_write_b128 v41, v[4:7] offset:8192
; %bb.49:                               ;   in Loop: Header=BB114_7 Depth=2
	s_or_saveexec_b64 s[16:17], s[10:11]
	v_mov_b32_e32 v5, s21
	v_add_co_u32_e64 v4, s[10:11], s20, v46
	v_addc_co_u32_e64 v5, s[10:11], v47, v5, s[10:11]
	s_xor_b64 exec, exec, s[16:17]
	s_cbranch_execz .LBB114_51
; %bb.50:                               ;   in Loop: Header=BB114_7 Depth=2
	global_load_dwordx4 v[6:9], v[4:5], off
	v_add_u32_e32 v10, 0x2000, v41
	s_waitcnt vmcnt(0)
	ds_write2_b64 v10, v[6:7], v[8:9] offset1:1
.LBB114_51:                             ;   in Loop: Header=BB114_7 Depth=2
	s_or_b64 exec, exec, s[16:17]
	s_and_b64 s[10:11], s[8:9], s[12:13]
	s_xor_b64 s[10:11], s[10:11], -1
	s_and_saveexec_b64 s[12:13], s[10:11]
	s_xor_b64 s[10:11], exec, s[12:13]
; %bb.52:                               ;   in Loop: Header=BB114_7 Depth=2
	v_mov_b32_e32 v4, v2
	v_mov_b32_e32 v5, v2
	;; [unrolled: 1-line block ×4, first 2 shown]
	ds_write_b128 v41, v[4:7] offset:8448
                                        ; implicit-def: $vgpr4_vgpr5
; %bb.53:                               ;   in Loop: Header=BB114_7 Depth=2
	s_andn2_saveexec_b64 s[10:11], s[10:11]
	s_cbranch_execz .LBB114_6
; %bb.54:                               ;   in Loop: Header=BB114_7 Depth=2
	global_load_dwordx4 v[4:7], v[4:5], off offset:256
	v_add_u32_e32 v8, 0x2100, v41
	s_waitcnt vmcnt(0)
	ds_write2_b64 v8, v[4:5], v[6:7] offset1:1
	s_branch .LBB114_6
.LBB114_55:                             ;   in Loop: Header=BB114_4 Depth=1
	buffer_load_dword v8, off, s[56:59], 0 offset:24 ; 4-byte Folded Reload
	buffer_load_dword v4, off, s[56:59], 0 offset:36 ; 4-byte Folded Reload
	s_waitcnt vmcnt(1)
	v_mul_lo_u32 v6, s49, v8
	s_waitcnt vmcnt(0)
	v_mul_lo_u32 v7, s48, v4
	v_mad_u64_u32 v[4:5], s[8:9], s48, v8, 0
	v_cmp_gt_i32_e32 vcc, s46, v8
	v_add3_u32 v5, v5, v7, v6
	v_lshlrev_b64 v[4:5], 4, v[4:5]
	v_mov_b32_e32 v6, s53
	v_add_co_u32_e64 v4, s[8:9], s52, v4
	v_addc_co_u32_e64 v5, s[8:9], v6, v5, s[8:9]
	s_and_b64 s[8:9], s[4:5], vcc
	s_and_saveexec_b64 s[10:11], s[8:9]
	s_cbranch_execz .LBB114_57
; %bb.56:                               ;   in Loop: Header=BB114_4 Depth=1
	v_lshlrev_b64 v[6:7], 4, v[24:25]
	v_mul_f64 v[20:21], s[30:31], v[50:51]
	v_add_co_u32_e64 v10, s[8:9], v4, v6
	v_addc_co_u32_e64 v11, s[8:9], v5, v7, s[8:9]
	global_load_dwordx4 v[6:9], v[10:11], off
	v_mul_f64 v[22:23], s[28:29], v[50:51]
	v_fma_f64 v[20:21], s[28:29], v[48:49], -v[20:21]
	v_fma_f64 v[22:23], s[30:31], v[48:49], v[22:23]
	s_waitcnt vmcnt(0)
	v_add_f64 v[6:7], v[6:7], v[20:21]
	v_add_f64 v[8:9], v[22:23], v[8:9]
	global_store_dwordx4 v[10:11], v[6:9], off
.LBB114_57:                             ;   in Loop: Header=BB114_4 Depth=1
	s_or_b64 exec, exec, s[10:11]
	s_and_b64 s[10:11], s[14:15], vcc
	s_and_saveexec_b64 s[8:9], s[10:11]
	s_cbranch_execz .LBB114_59
; %bb.58:                               ;   in Loop: Header=BB114_4 Depth=1
	buffer_load_dword v6, off, s[56:59], 0 offset:40 ; 4-byte Folded Reload
	buffer_load_dword v7, off, s[56:59], 0 offset:44 ; 4-byte Folded Reload
	v_mul_f64 v[10:11], s[30:31], v[18:19]
	v_mul_f64 v[18:19], s[28:29], v[18:19]
	v_fma_f64 v[10:11], s[28:29], v[16:17], -v[10:11]
	v_fma_f64 v[16:17], s[30:31], v[16:17], v[18:19]
	s_waitcnt vmcnt(1)
	v_add_co_u32_e32 v8, vcc, v4, v6
	s_waitcnt vmcnt(0)
	v_addc_co_u32_e32 v9, vcc, v5, v7, vcc
	global_load_dwordx4 v[4:7], v[8:9], off
	s_waitcnt vmcnt(0)
	v_add_f64 v[4:5], v[4:5], v[10:11]
	v_add_f64 v[6:7], v[16:17], v[6:7]
	global_store_dwordx4 v[8:9], v[4:7], off
.LBB114_59:                             ;   in Loop: Header=BB114_4 Depth=1
	s_or_b64 exec, exec, s[8:9]
	buffer_load_dword v4, off, s[56:59], 0 offset:24 ; 4-byte Folded Reload
	s_waitcnt vmcnt(0)
	v_add_u32_e32 v6, 16, v4
	v_ashrrev_i32_e32 v4, 31, v6
	v_mul_lo_u32 v7, s48, v4
	v_mul_lo_u32 v8, s49, v6
	v_mad_u64_u32 v[4:5], s[8:9], s48, v6, 0
	v_cmp_gt_i32_e32 vcc, s46, v6
	v_mov_b32_e32 v6, s53
	v_add3_u32 v5, v5, v7, v8
	v_lshlrev_b64 v[4:5], 4, v[4:5]
	v_add_co_u32_e64 v4, s[8:9], s52, v4
	v_addc_co_u32_e64 v5, s[8:9], v6, v5, s[8:9]
	s_and_b64 s[8:9], s[4:5], vcc
	s_mov_b64 s[10:11], exec
	buffer_load_dword v20, off, s[56:59], 0 offset:28 ; 4-byte Folded Reload
	buffer_load_dword v21, off, s[56:59], 0 offset:32 ; 4-byte Folded Reload
	s_and_b64 s[8:9], s[10:11], s[8:9]
	s_mov_b64 exec, s[8:9]
	s_cbranch_execz .LBB114_61
; %bb.60:                               ;   in Loop: Header=BB114_4 Depth=1
	v_lshlrev_b64 v[6:7], 4, v[24:25]
	v_mul_f64 v[16:17], s[30:31], v[54:55]
	v_add_co_u32_e64 v10, s[8:9], v4, v6
	v_addc_co_u32_e64 v11, s[8:9], v5, v7, s[8:9]
	global_load_dwordx4 v[6:9], v[10:11], off
	v_mul_f64 v[18:19], s[28:29], v[54:55]
	v_fma_f64 v[16:17], s[28:29], v[52:53], -v[16:17]
	v_fma_f64 v[18:19], s[30:31], v[52:53], v[18:19]
	s_waitcnt vmcnt(0)
	v_add_f64 v[6:7], v[6:7], v[16:17]
	v_add_f64 v[8:9], v[18:19], v[8:9]
	global_store_dwordx4 v[10:11], v[6:9], off
.LBB114_61:                             ;   in Loop: Header=BB114_4 Depth=1
	s_or_b64 exec, exec, s[10:11]
	s_and_b64 s[10:11], s[14:15], vcc
	s_and_saveexec_b64 s[8:9], s[10:11]
	s_cbranch_execz .LBB114_3
; %bb.62:                               ;   in Loop: Header=BB114_4 Depth=1
	buffer_load_dword v6, off, s[56:59], 0 offset:40 ; 4-byte Folded Reload
	buffer_load_dword v7, off, s[56:59], 0 offset:44 ; 4-byte Folded Reload
	v_mul_f64 v[10:11], s[30:31], v[12:13]
	v_mul_f64 v[12:13], s[28:29], v[12:13]
	v_fma_f64 v[10:11], s[28:29], v[14:15], -v[10:11]
	v_fma_f64 v[12:13], s[30:31], v[14:15], v[12:13]
	s_waitcnt vmcnt(1)
	v_add_co_u32_e32 v8, vcc, v4, v6
	s_waitcnt vmcnt(0)
	v_addc_co_u32_e32 v9, vcc, v5, v7, vcc
	global_load_dwordx4 v[4:7], v[8:9], off
	s_waitcnt vmcnt(0)
	v_add_f64 v[4:5], v[4:5], v[10:11]
	v_add_f64 v[6:7], v[12:13], v[6:7]
	global_store_dwordx4 v[8:9], v[4:7], off
	s_branch .LBB114_3
.LBB114_63:
	s_endpgm
	.section	.rodata,"a",@progbits
	.p2align	6, 0x0
	.amdhsa_kernel _ZL30rocblas_trmm_outofplace_kernelI19rocblas_complex_numIdELi32ELi2ELb1ELb1ELb1ELb0EPKS1_S2_S1_Ev17rocblas_diagonal_iiT6_lPT7_lllS7_lllPT8_llli
		.amdhsa_group_segment_fixed_size 32768
		.amdhsa_private_segment_fixed_size 68
		.amdhsa_kernarg_size 392
		.amdhsa_user_sgpr_count 6
		.amdhsa_user_sgpr_private_segment_buffer 1
		.amdhsa_user_sgpr_dispatch_ptr 0
		.amdhsa_user_sgpr_queue_ptr 0
		.amdhsa_user_sgpr_kernarg_segment_ptr 1
		.amdhsa_user_sgpr_dispatch_id 0
		.amdhsa_user_sgpr_flat_scratch_init 0
		.amdhsa_user_sgpr_private_segment_size 0
		.amdhsa_uses_dynamic_stack 0
		.amdhsa_system_sgpr_private_segment_wavefront_offset 1
		.amdhsa_system_sgpr_workgroup_id_x 1
		.amdhsa_system_sgpr_workgroup_id_y 1
		.amdhsa_system_sgpr_workgroup_id_z 1
		.amdhsa_system_sgpr_workgroup_info 0
		.amdhsa_system_vgpr_workitem_id 1
		.amdhsa_next_free_vgpr 64
		.amdhsa_next_free_sgpr 61
		.amdhsa_reserve_vcc 1
		.amdhsa_reserve_flat_scratch 0
		.amdhsa_float_round_mode_32 0
		.amdhsa_float_round_mode_16_64 0
		.amdhsa_float_denorm_mode_32 3
		.amdhsa_float_denorm_mode_16_64 3
		.amdhsa_dx10_clamp 1
		.amdhsa_ieee_mode 1
		.amdhsa_fp16_overflow 0
		.amdhsa_exception_fp_ieee_invalid_op 0
		.amdhsa_exception_fp_denorm_src 0
		.amdhsa_exception_fp_ieee_div_zero 0
		.amdhsa_exception_fp_ieee_overflow 0
		.amdhsa_exception_fp_ieee_underflow 0
		.amdhsa_exception_fp_ieee_inexact 0
		.amdhsa_exception_int_div_zero 0
	.end_amdhsa_kernel
	.section	.text._ZL30rocblas_trmm_outofplace_kernelI19rocblas_complex_numIdELi32ELi2ELb1ELb1ELb1ELb0EPKS1_S2_S1_Ev17rocblas_diagonal_iiT6_lPT7_lllS7_lllPT8_llli,"axG",@progbits,_ZL30rocblas_trmm_outofplace_kernelI19rocblas_complex_numIdELi32ELi2ELb1ELb1ELb1ELb0EPKS1_S2_S1_Ev17rocblas_diagonal_iiT6_lPT7_lllS7_lllPT8_llli,comdat
.Lfunc_end114:
	.size	_ZL30rocblas_trmm_outofplace_kernelI19rocblas_complex_numIdELi32ELi2ELb1ELb1ELb1ELb0EPKS1_S2_S1_Ev17rocblas_diagonal_iiT6_lPT7_lllS7_lllPT8_llli, .Lfunc_end114-_ZL30rocblas_trmm_outofplace_kernelI19rocblas_complex_numIdELi32ELi2ELb1ELb1ELb1ELb0EPKS1_S2_S1_Ev17rocblas_diagonal_iiT6_lPT7_lllS7_lllPT8_llli
                                        ; -- End function
	.set _ZL30rocblas_trmm_outofplace_kernelI19rocblas_complex_numIdELi32ELi2ELb1ELb1ELb1ELb0EPKS1_S2_S1_Ev17rocblas_diagonal_iiT6_lPT7_lllS7_lllPT8_llli.num_vgpr, 64
	.set _ZL30rocblas_trmm_outofplace_kernelI19rocblas_complex_numIdELi32ELi2ELb1ELb1ELb1ELb0EPKS1_S2_S1_Ev17rocblas_diagonal_iiT6_lPT7_lllS7_lllPT8_llli.num_agpr, 0
	.set _ZL30rocblas_trmm_outofplace_kernelI19rocblas_complex_numIdELi32ELi2ELb1ELb1ELb1ELb0EPKS1_S2_S1_Ev17rocblas_diagonal_iiT6_lPT7_lllS7_lllPT8_llli.numbered_sgpr, 60
	.set _ZL30rocblas_trmm_outofplace_kernelI19rocblas_complex_numIdELi32ELi2ELb1ELb1ELb1ELb0EPKS1_S2_S1_Ev17rocblas_diagonal_iiT6_lPT7_lllS7_lllPT8_llli.num_named_barrier, 0
	.set _ZL30rocblas_trmm_outofplace_kernelI19rocblas_complex_numIdELi32ELi2ELb1ELb1ELb1ELb0EPKS1_S2_S1_Ev17rocblas_diagonal_iiT6_lPT7_lllS7_lllPT8_llli.private_seg_size, 68
	.set _ZL30rocblas_trmm_outofplace_kernelI19rocblas_complex_numIdELi32ELi2ELb1ELb1ELb1ELb0EPKS1_S2_S1_Ev17rocblas_diagonal_iiT6_lPT7_lllS7_lllPT8_llli.uses_vcc, 1
	.set _ZL30rocblas_trmm_outofplace_kernelI19rocblas_complex_numIdELi32ELi2ELb1ELb1ELb1ELb0EPKS1_S2_S1_Ev17rocblas_diagonal_iiT6_lPT7_lllS7_lllPT8_llli.uses_flat_scratch, 0
	.set _ZL30rocblas_trmm_outofplace_kernelI19rocblas_complex_numIdELi32ELi2ELb1ELb1ELb1ELb0EPKS1_S2_S1_Ev17rocblas_diagonal_iiT6_lPT7_lllS7_lllPT8_llli.has_dyn_sized_stack, 0
	.set _ZL30rocblas_trmm_outofplace_kernelI19rocblas_complex_numIdELi32ELi2ELb1ELb1ELb1ELb0EPKS1_S2_S1_Ev17rocblas_diagonal_iiT6_lPT7_lllS7_lllPT8_llli.has_recursion, 0
	.set _ZL30rocblas_trmm_outofplace_kernelI19rocblas_complex_numIdELi32ELi2ELb1ELb1ELb1ELb0EPKS1_S2_S1_Ev17rocblas_diagonal_iiT6_lPT7_lllS7_lllPT8_llli.has_indirect_call, 0
	.section	.AMDGPU.csdata,"",@progbits
; Kernel info:
; codeLenInByte = 10520
; TotalNumSgprs: 64
; NumVgprs: 64
; ScratchSize: 68
; MemoryBound: 0
; FloatMode: 240
; IeeeMode: 1
; LDSByteSize: 32768 bytes/workgroup (compile time only)
; SGPRBlocks: 8
; VGPRBlocks: 15
; NumSGPRsForWavesPerEU: 65
; NumVGPRsForWavesPerEU: 64
; Occupancy: 4
; WaveLimiterHint : 0
; COMPUTE_PGM_RSRC2:SCRATCH_EN: 1
; COMPUTE_PGM_RSRC2:USER_SGPR: 6
; COMPUTE_PGM_RSRC2:TRAP_HANDLER: 0
; COMPUTE_PGM_RSRC2:TGID_X_EN: 1
; COMPUTE_PGM_RSRC2:TGID_Y_EN: 1
; COMPUTE_PGM_RSRC2:TGID_Z_EN: 1
; COMPUTE_PGM_RSRC2:TIDIG_COMP_CNT: 1
	.section	.text._ZL30rocblas_trmm_outofplace_kernelI19rocblas_complex_numIdELi32ELi2ELb1ELb1ELb1ELb0ES1_KS1_S1_Ev17rocblas_diagonal_iiT6_lPT7_lllS6_lllPT8_llli,"axG",@progbits,_ZL30rocblas_trmm_outofplace_kernelI19rocblas_complex_numIdELi32ELi2ELb1ELb1ELb1ELb0ES1_KS1_S1_Ev17rocblas_diagonal_iiT6_lPT7_lllS6_lllPT8_llli,comdat
	.globl	_ZL30rocblas_trmm_outofplace_kernelI19rocblas_complex_numIdELi32ELi2ELb1ELb1ELb1ELb0ES1_KS1_S1_Ev17rocblas_diagonal_iiT6_lPT7_lllS6_lllPT8_llli ; -- Begin function _ZL30rocblas_trmm_outofplace_kernelI19rocblas_complex_numIdELi32ELi2ELb1ELb1ELb1ELb0ES1_KS1_S1_Ev17rocblas_diagonal_iiT6_lPT7_lllS6_lllPT8_llli
	.p2align	8
	.type	_ZL30rocblas_trmm_outofplace_kernelI19rocblas_complex_numIdELi32ELi2ELb1ELb1ELb1ELb0ES1_KS1_S1_Ev17rocblas_diagonal_iiT6_lPT7_lllS6_lllPT8_llli,@function
_ZL30rocblas_trmm_outofplace_kernelI19rocblas_complex_numIdELi32ELi2ELb1ELb1ELb1ELb0ES1_KS1_S1_Ev17rocblas_diagonal_iiT6_lPT7_lllS6_lllPT8_llli: ; @_ZL30rocblas_trmm_outofplace_kernelI19rocblas_complex_numIdELi32ELi2ELb1ELb1ELb1ELb0ES1_KS1_S1_Ev17rocblas_diagonal_iiT6_lPT7_lllS6_lllPT8_llli
; %bb.0:
	s_load_dwordx4 s[44:47], s[4:5], 0x10
	s_mov_b64 s[58:59], s[2:3]
	s_mov_b64 s[56:57], s[0:1]
	s_add_u32 s56, s56, s9
	s_addc_u32 s57, s57, 0
	s_waitcnt lgkmcnt(0)
	v_cmp_eq_f64_e64 s[0:1], s[44:45], 0
	v_cmp_eq_f64_e64 s[2:3], s[46:47], 0
	s_and_b64 s[0:1], s[0:1], s[2:3]
	s_and_b64 vcc, exec, s[0:1]
	s_cbranch_vccnz .LBB115_63
; %bb.1:
	s_load_dwordx4 s[48:51], s[4:5], 0x0
	s_waitcnt lgkmcnt(0)
	s_add_i32 s0, s50, -1
	s_ashr_i32 s1, s0, 31
	s_lshr_b32 s1, s1, 27
	s_add_i32 s0, s0, s1
	s_ashr_i32 s33, s0, 5
	s_cmp_gt_i32 s7, s33
	s_cbranch_scc1 .LBB115_63
; %bb.2:
	s_load_dwordx8 s[36:43], s[4:5], 0x68
	s_load_dwordx16 s[16:31], s[4:5], 0x28
	v_lshlrev_b32_e32 v2, 9, v1
	v_lshlrev_b32_e32 v38, 4, v0
	v_add_u32_e32 v39, v38, v2
	s_waitcnt lgkmcnt(0)
	s_mul_i32 s1, s43, s8
	s_mul_hi_u32 s2, s42, s8
	s_mul_i32 s0, s42, s8
	s_add_i32 s1, s2, s1
	s_lshl_b64 s[0:1], s[0:1], 4
	s_add_u32 s2, s36, s0
	s_addc_u32 s3, s37, s1
	s_lshl_b64 s[0:1], s[38:39], 4
	s_add_u32 s51, s2, s0
	s_addc_u32 s52, s3, s1
	s_lshl_b32 s53, s6, 5
	v_add_u32_e32 v24, s53, v0
	v_ashrrev_i32_e32 v25, 31, v24
	v_add_u32_e32 v36, 0x4000, v2
	v_add_co_u32_e32 v2, vcc, 16, v24
	v_addc_co_u32_e32 v3, vcc, 0, v25, vcc
	s_load_dword s54, s[4:5], 0x94
	buffer_store_dword v2, off, s[56:59], 0 ; 4-byte Folded Spill
	s_nop 0
	buffer_store_dword v3, off, s[56:59], 0 offset:4 ; 4-byte Folded Spill
	s_cmp_gt_i32 s6, -1
	s_cselect_b64 s[34:35], -1, 0
	s_cmpk_eq_i32 s48, 0x84
	v_sub_co_u32_e32 v28, vcc, v24, v1
	s_cselect_b64 s[36:37], -1, 0
	s_ashr_i32 s39, s49, 31
	s_mov_b32 s38, s49
	s_ashr_i32 s6, s50, 31
	v_subbrev_co_u32_e32 v29, vcc, 0, v25, vcc
	s_add_u32 s42, s49, -16
	s_mul_i32 s9, s31, s8
	s_mul_hi_u32 s10, s30, s8
	s_addc_u32 s43, s39, -1
	s_add_i32 s11, s10, s9
	s_mul_i32 s10, s30, s8
	s_lshl_b64 s[10:11], s[10:11], 4
	s_lshl_b64 s[12:13], s[26:27], 4
	s_add_u32 s9, s10, s12
	s_addc_u32 s10, s11, s13
	s_add_u32 s12, s24, s9
	s_addc_u32 s9, s25, s10
	v_mul_lo_u32 v6, s20, v25
	v_mul_lo_u32 v7, s21, v24
	v_mov_b32_e32 v8, s9
	s_mul_i32 s9, s23, s8
	s_lshl_b64 s[24:25], s[28:29], 4
	s_waitcnt lgkmcnt(0)
	s_lshl_b32 s55, s54, 5
	s_movk_i32 s48, 0x100
	v_add_u32_e32 v4, 16, v24
	v_ashrrev_i32_e32 v5, 31, v4
	v_cmp_gt_i32_e64 s[14:15], s49, v4
	v_lshlrev_b64 v[4:5], 4, v[4:5]
	v_cmp_le_i32_e64 s[0:1], s49, v24
	v_cmp_gt_i32_e64 s[4:5], s49, v24
	v_add_u32_e32 v41, v36, v38
	v_lshl_add_u32 v20, s7, 5, v1
	v_cmp_le_i64_e64 s[2:3], s[38:39], v[2:3]
	v_add_co_u32_e32 v2, vcc, 16, v28
	v_addc_co_u32_e32 v3, vcc, 0, v29, vcc
	buffer_store_dword v2, off, s[56:59], 0 offset:8 ; 4-byte Folded Spill
	s_nop 0
	buffer_store_dword v3, off, s[56:59], 0 offset:12 ; 4-byte Folded Spill
	v_add_co_u32_e32 v2, vcc, -16, v28
	v_addc_co_u32_e32 v3, vcc, -1, v29, vcc
	buffer_store_dword v2, off, s[56:59], 0 offset:16 ; 4-byte Folded Spill
	s_nop 0
	buffer_store_dword v3, off, s[56:59], 0 offset:20 ; 4-byte Folded Spill
	v_mad_u64_u32 v[2:3], s[10:11], s20, v24, 0
	s_mul_hi_u32 s10, s22, s8
	s_add_i32 s9, s10, s9
	s_mul_i32 s8, s22, s8
	v_add3_u32 v3, v3, v6, v7
	s_lshl_b64 s[8:9], s[8:9], 4
	s_lshl_b64 s[10:11], s[18:19], 4
	v_lshlrev_b64 v[2:3], 4, v[2:3]
	s_add_u32 s8, s10, s8
	s_addc_u32 s9, s11, s9
	v_mov_b32_e32 v6, s9
	v_add_co_u32_e32 v7, vcc, s8, v2
	v_addc_co_u32_e32 v6, vcc, v6, v3, vcc
	v_lshlrev_b64 v[2:3], 4, v[24:25]
	v_add_co_u32_e32 v9, vcc, s48, v2
	v_addc_co_u32_e32 v10, vcc, 0, v3, vcc
	v_mov_b32_e32 v2, s8
	v_mov_b32_e32 v3, s9
	v_mad_u64_u32 v[2:3], s[8:9], s20, v9, v[2:3]
	v_mul_lo_u32 v10, s20, v10
	v_mul_lo_u32 v9, s21, v9
	v_add_co_u32_e32 v11, vcc, s12, v38
	v_addc_co_u32_e32 v12, vcc, 0, v8, vcc
	v_add3_u32 v3, v9, v3, v10
	v_add_co_u32_e32 v9, vcc, s48, v11
	buffer_store_dword v11, off, s[56:59], 0 offset:48 ; 4-byte Folded Spill
	s_nop 0
	buffer_store_dword v12, off, s[56:59], 0 offset:52 ; 4-byte Folded Spill
	v_lshlrev_b32_e32 v8, 4, v1
	v_addc_co_u32_e32 v10, vcc, 0, v12, vcc
	v_add_co_u32_e32 v7, vcc, v7, v8
	buffer_store_dword v9, off, s[56:59], 0 offset:56 ; 4-byte Folded Spill
	s_nop 0
	buffer_store_dword v10, off, s[56:59], 0 offset:60 ; 4-byte Folded Spill
	v_addc_co_u32_e32 v6, vcc, 0, v6, vcc
	v_mov_b32_e32 v9, s17
	v_add_co_u32_e32 v7, vcc, s16, v7
	v_addc_co_u32_e32 v6, vcc, v9, v6, vcc
	v_add_co_u32_e32 v37, vcc, s48, v7
	v_addc_co_u32_e32 v34, vcc, 0, v6, vcc
	;; [unrolled: 2-line block ×3, first 2 shown]
	v_mov_b32_e32 v6, s17
	v_add_co_u32_e32 v35, vcc, s16, v2
	v_addc_co_u32_e32 v40, vcc, v6, v3, vcc
	v_mov_b32_e32 v2, 0
	v_mov_b32_e32 v3, 0x3ff00000
	buffer_store_dword v4, off, s[56:59], 0 offset:40 ; 4-byte Folded Spill
	s_nop 0
	buffer_store_dword v5, off, s[56:59], 0 offset:44 ; 4-byte Folded Spill
	s_branch .LBB115_4
.LBB115_3:                              ;   in Loop: Header=BB115_4 Depth=1
	s_or_b64 exec, exec, s[8:9]
	s_add_i32 s7, s54, s7
	s_cmp_le_i32 s7, s33
	s_waitcnt vmcnt(1)
	v_add_u32_e32 v20, s55, v20
	s_cbranch_scc0 .LBB115_63
.LBB115_4:                              ; =>This Loop Header: Depth=1
                                        ;     Child Loop BB115_7 Depth 2
	v_lshl_add_u32 v4, s7, 5, v1
	v_mov_b32_e32 v48, 0
	v_mov_b32_e32 v50, 0
	;; [unrolled: 1-line block ×8, first 2 shown]
	buffer_store_dword v20, off, s[56:59], 0 offset:28 ; 4-byte Folded Spill
	s_waitcnt vmcnt(1)
	buffer_store_dword v21, off, s[56:59], 0 offset:32 ; 4-byte Folded Spill
	v_mov_b32_e32 v49, 0
	s_andn2_b64 vcc, exec, s[34:35]
	v_mov_b32_e32 v51, 0
	v_mov_b32_e32 v17, 0
	;; [unrolled: 1-line block ×7, first 2 shown]
	buffer_store_dword v4, off, s[56:59], 0 offset:24 ; 4-byte Folded Spill
	v_ashrrev_i32_e32 v4, 31, v4
	buffer_store_dword v4, off, s[56:59], 0 offset:36 ; 4-byte Folded Spill
	s_cbranch_vccnz .LBB115_55
; %bb.5:                                ;   in Loop: Header=BB115_4 Depth=1
	buffer_load_dword v4, off, s[56:59], 0 offset:28 ; 4-byte Folded Reload
	buffer_load_dword v5, off, s[56:59], 0 offset:32 ; 4-byte Folded Reload
	v_mov_b32_e32 v12, 0
	v_mov_b32_e32 v14, 0
	;; [unrolled: 1-line block ×8, first 2 shown]
	s_mov_b64 s[20:21], 0
	v_mov_b32_e32 v13, 0
	v_mov_b32_e32 v15, 0
	;; [unrolled: 1-line block ×8, first 2 shown]
	s_mov_b64 s[22:23], 0
	s_waitcnt vmcnt(1)
	v_mov_b32_e32 v8, v4
	buffer_load_dword v4, off, s[56:59], 0 offset:56 ; 4-byte Folded Reload
	buffer_load_dword v5, off, s[56:59], 0 offset:60 ; 4-byte Folded Reload
	v_ashrrev_i32_e32 v9, 31, v8
	v_mul_lo_u32 v7, s24, v9
	v_mul_lo_u32 v6, s25, v8
	s_waitcnt vmcnt(0)
	v_mad_u64_u32 v[44:45], s[8:9], s24, v8, v[4:5]
	v_mov_b32_e32 v4, v8
	buffer_store_dword v4, off, s[56:59], 0 offset:28 ; 4-byte Folded Spill
	s_nop 0
	buffer_store_dword v5, off, s[56:59], 0 offset:32 ; 4-byte Folded Spill
	v_lshlrev_b64 v[4:5], 4, v[8:9]
	buffer_load_dword v9, off, s[56:59], 0 offset:48 ; 4-byte Folded Reload
	buffer_load_dword v10, off, s[56:59], 0 offset:52 ; 4-byte Folded Reload
	v_add_co_u32_e32 v4, vcc, 0x100, v4
	v_mul_lo_u32 v8, s29, v4
	v_add3_u32 v45, v6, v45, v7
	v_addc_co_u32_e32 v5, vcc, 0, v5, vcc
	v_mul_lo_u32 v5, s28, v5
	buffer_load_dword v6, off, s[56:59], 0 offset:36 ; 4-byte Folded Reload
	s_waitcnt vmcnt(1)
	v_mad_u64_u32 v[46:47], s[8:9], s28, v4, v[9:10]
	buffer_load_dword v4, off, s[56:59], 0 offset:24 ; 4-byte Folded Reload
	v_add3_u32 v47, v8, v47, v5
	v_mov_b32_e32 v5, s6
	s_waitcnt vmcnt(0)
	v_sub_co_u32_e32 v4, vcc, s50, v4
	v_subb_co_u32_e32 v5, vcc, v5, v6, vcc
	v_cmp_lt_i64_e32 vcc, 0, v[4:5]
	v_cmp_lt_i64_e64 s[8:9], 16, v[4:5]
	s_branch .LBB115_7
.LBB115_6:                              ;   in Loop: Header=BB115_7 Depth=2
	s_or_b64 exec, exec, s[10:11]
	s_waitcnt lgkmcnt(0)
	s_barrier
	ds_read_b128 v[56:59], v36
	ds_read_b128 v[20:23], v36 offset:16
	ds_read_b128 v[8:11], v36 offset:32
	;; [unrolled: 1-line block ×3, first 2 shown]
	ds_read_b128 v[60:63], v38
	s_add_u32 s22, s22, 32
	s_addc_u32 s23, s23, 0
	s_sub_i32 s10, s22, 32
	s_add_u32 s20, s20, 0x200
	s_waitcnt lgkmcnt(0)
	v_mul_f64 v[42:43], v[58:59], v[62:63]
	v_mul_f64 v[26:27], v[56:57], v[62:63]
	s_addc_u32 s21, s21, 0
	s_cmp_ge_i32 s10, s53
	v_fma_f64 v[42:43], v[56:57], v[60:61], -v[42:43]
	v_fma_f64 v[26:27], v[58:59], v[60:61], v[26:27]
	v_add_f64 v[42:43], v[48:49], v[42:43]
	v_add_f64 v[26:27], v[26:27], v[50:51]
	ds_read_b128 v[48:51], v38 offset:256
	s_waitcnt lgkmcnt(0)
	v_mul_f64 v[30:31], v[58:59], v[50:51]
	v_fma_f64 v[30:31], v[56:57], v[48:49], -v[30:31]
	v_mul_f64 v[56:57], v[56:57], v[50:51]
	v_add_f64 v[30:31], v[16:17], v[30:31]
	v_fma_f64 v[56:57], v[58:59], v[48:49], v[56:57]
	v_add_f64 v[32:33], v[56:57], v[18:19]
	ds_read_b128 v[16:19], v36 offset:8192
	s_waitcnt lgkmcnt(0)
	v_mul_f64 v[56:57], v[18:19], v[62:63]
	v_mul_f64 v[58:59], v[16:17], v[62:63]
	v_fma_f64 v[56:57], v[16:17], v[60:61], -v[56:57]
	v_fma_f64 v[58:59], v[18:19], v[60:61], v[58:59]
	v_add_f64 v[60:61], v[52:53], v[56:57]
	v_mul_f64 v[52:53], v[18:19], v[50:51]
	v_add_f64 v[62:63], v[58:59], v[54:55]
	v_fma_f64 v[52:53], v[16:17], v[48:49], -v[52:53]
	v_mul_f64 v[16:17], v[16:17], v[50:51]
	v_add_f64 v[56:57], v[14:15], v[52:53]
	v_fma_f64 v[16:17], v[18:19], v[48:49], v[16:17]
	v_add_f64 v[58:59], v[16:17], v[12:13]
	ds_read_b128 v[16:19], v38 offset:512
	s_waitcnt lgkmcnt(0)
	v_mul_f64 v[12:13], v[22:23], v[18:19]
	v_mul_f64 v[14:15], v[20:21], v[18:19]
	v_fma_f64 v[12:13], v[20:21], v[16:17], -v[12:13]
	v_fma_f64 v[14:15], v[22:23], v[16:17], v[14:15]
	v_add_f64 v[52:53], v[42:43], v[12:13]
	v_add_f64 v[54:55], v[14:15], v[26:27]
	ds_read_b128 v[12:15], v38 offset:768
	s_waitcnt lgkmcnt(0)
	v_mul_f64 v[26:27], v[22:23], v[14:15]
	v_fma_f64 v[26:27], v[20:21], v[12:13], -v[26:27]
	v_mul_f64 v[20:21], v[20:21], v[14:15]
	v_add_f64 v[48:49], v[30:31], v[26:27]
	v_fma_f64 v[20:21], v[22:23], v[12:13], v[20:21]
	v_add_f64 v[50:51], v[20:21], v[32:33]
	ds_read_b128 v[20:23], v36 offset:8208
	s_waitcnt lgkmcnt(0)
	v_mul_f64 v[26:27], v[22:23], v[18:19]
	v_mul_f64 v[18:19], v[20:21], v[18:19]
	v_fma_f64 v[26:27], v[20:21], v[16:17], -v[26:27]
	v_fma_f64 v[18:19], v[22:23], v[16:17], v[18:19]
	v_add_f64 v[16:17], v[60:61], v[26:27]
	v_mul_f64 v[26:27], v[22:23], v[14:15]
	v_mul_f64 v[14:15], v[20:21], v[14:15]
	v_add_f64 v[18:19], v[18:19], v[62:63]
	v_fma_f64 v[26:27], v[20:21], v[12:13], -v[26:27]
	v_fma_f64 v[14:15], v[22:23], v[12:13], v[14:15]
	ds_read_b128 v[20:23], v38 offset:1024
	s_waitcnt lgkmcnt(0)
	v_mul_f64 v[30:31], v[8:9], v[22:23]
	v_add_f64 v[12:13], v[56:57], v[26:27]
	v_mul_f64 v[26:27], v[10:11], v[22:23]
	v_add_f64 v[14:15], v[14:15], v[58:59]
	v_fma_f64 v[30:31], v[10:11], v[20:21], v[30:31]
	v_fma_f64 v[26:27], v[8:9], v[20:21], -v[26:27]
	v_add_f64 v[30:31], v[30:31], v[54:55]
	v_add_f64 v[26:27], v[52:53], v[26:27]
	ds_read_b128 v[52:55], v38 offset:1280
	s_waitcnt lgkmcnt(0)
	v_mul_f64 v[32:33], v[10:11], v[54:55]
	v_fma_f64 v[32:33], v[8:9], v[52:53], -v[32:33]
	v_mul_f64 v[8:9], v[8:9], v[54:55]
	v_add_f64 v[32:33], v[48:49], v[32:33]
	v_fma_f64 v[8:9], v[10:11], v[52:53], v[8:9]
	v_add_f64 v[42:43], v[8:9], v[50:51]
	ds_read_b128 v[8:11], v36 offset:8224
	s_waitcnt lgkmcnt(0)
	v_mul_f64 v[48:49], v[10:11], v[22:23]
	v_mul_f64 v[22:23], v[8:9], v[22:23]
	v_fma_f64 v[48:49], v[8:9], v[20:21], -v[48:49]
	v_fma_f64 v[20:21], v[10:11], v[20:21], v[22:23]
	v_add_f64 v[48:49], v[16:17], v[48:49]
	v_mul_f64 v[16:17], v[10:11], v[54:55]
	v_add_f64 v[50:51], v[20:21], v[18:19]
	v_fma_f64 v[16:17], v[8:9], v[52:53], -v[16:17]
	v_mul_f64 v[8:9], v[8:9], v[54:55]
	v_add_f64 v[20:21], v[12:13], v[16:17]
	v_fma_f64 v[8:9], v[10:11], v[52:53], v[8:9]
	ds_read_b128 v[52:55], v36 offset:8240
	v_add_f64 v[22:23], v[8:9], v[14:15]
	ds_read_b128 v[12:15], v38 offset:1536
	s_waitcnt lgkmcnt(0)
	v_mul_f64 v[8:9], v[6:7], v[14:15]
	v_mul_f64 v[10:11], v[4:5], v[14:15]
	v_fma_f64 v[8:9], v[4:5], v[12:13], -v[8:9]
	v_fma_f64 v[10:11], v[6:7], v[12:13], v[10:11]
	v_add_f64 v[16:17], v[26:27], v[8:9]
	v_add_f64 v[18:19], v[10:11], v[30:31]
	ds_read_b128 v[8:11], v38 offset:1792
	s_waitcnt lgkmcnt(0)
	v_mul_f64 v[26:27], v[6:7], v[10:11]
	v_fma_f64 v[26:27], v[4:5], v[8:9], -v[26:27]
	v_mul_f64 v[4:5], v[4:5], v[10:11]
	v_fma_f64 v[6:7], v[6:7], v[8:9], v[4:5]
	v_add_f64 v[4:5], v[32:33], v[26:27]
	v_mul_f64 v[26:27], v[54:55], v[14:15]
	v_mul_f64 v[14:15], v[52:53], v[14:15]
	v_add_f64 v[6:7], v[6:7], v[42:43]
	v_fma_f64 v[26:27], v[52:53], v[12:13], -v[26:27]
	v_fma_f64 v[14:15], v[54:55], v[12:13], v[14:15]
	v_add_f64 v[12:13], v[48:49], v[26:27]
	v_mul_f64 v[26:27], v[54:55], v[10:11]
	v_mul_f64 v[10:11], v[52:53], v[10:11]
	v_add_f64 v[14:15], v[14:15], v[50:51]
	v_fma_f64 v[26:27], v[52:53], v[8:9], -v[26:27]
	v_fma_f64 v[8:9], v[54:55], v[8:9], v[10:11]
	v_add_f64 v[26:27], v[20:21], v[26:27]
	v_add_f64 v[30:31], v[8:9], v[22:23]
	ds_read_b128 v[8:11], v36 offset:64
	ds_read_b128 v[20:23], v38 offset:2048
	;; [unrolled: 1-line block ×3, first 2 shown]
	s_waitcnt lgkmcnt(1)
	v_mul_f64 v[32:33], v[10:11], v[22:23]
	v_mul_f64 v[42:43], v[8:9], v[22:23]
	v_fma_f64 v[32:33], v[8:9], v[20:21], -v[32:33]
	v_fma_f64 v[42:43], v[10:11], v[20:21], v[42:43]
	v_add_f64 v[16:17], v[16:17], v[32:33]
	s_waitcnt lgkmcnt(0)
	v_mul_f64 v[32:33], v[10:11], v[50:51]
	v_add_f64 v[18:19], v[42:43], v[18:19]
	v_fma_f64 v[32:33], v[8:9], v[48:49], -v[32:33]
	v_mul_f64 v[8:9], v[8:9], v[50:51]
	v_add_f64 v[32:33], v[4:5], v[32:33]
	v_fma_f64 v[8:9], v[10:11], v[48:49], v[8:9]
	v_add_f64 v[42:43], v[8:9], v[6:7]
	ds_read_b128 v[4:7], v36 offset:8256
	s_waitcnt lgkmcnt(0)
	v_mul_f64 v[8:9], v[6:7], v[22:23]
	v_mul_f64 v[10:11], v[4:5], v[22:23]
	v_fma_f64 v[8:9], v[4:5], v[20:21], -v[8:9]
	v_fma_f64 v[10:11], v[6:7], v[20:21], v[10:11]
	v_add_f64 v[20:21], v[12:13], v[8:9]
	v_mul_f64 v[8:9], v[6:7], v[50:51]
	v_add_f64 v[22:23], v[10:11], v[14:15]
	v_fma_f64 v[8:9], v[4:5], v[48:49], -v[8:9]
	v_mul_f64 v[4:5], v[4:5], v[50:51]
	v_add_f64 v[12:13], v[26:27], v[8:9]
	v_fma_f64 v[4:5], v[6:7], v[48:49], v[4:5]
	ds_read_b128 v[52:55], v36 offset:80
	ds_read_b128 v[8:11], v38 offset:2560
	s_waitcnt lgkmcnt(0)
	v_mul_f64 v[6:7], v[52:53], v[10:11]
	v_add_f64 v[14:15], v[4:5], v[30:31]
	v_mul_f64 v[4:5], v[54:55], v[10:11]
	v_fma_f64 v[6:7], v[54:55], v[8:9], v[6:7]
	v_fma_f64 v[4:5], v[52:53], v[8:9], -v[4:5]
	v_add_f64 v[50:51], v[6:7], v[18:19]
	v_add_f64 v[48:49], v[16:17], v[4:5]
	ds_read_b128 v[4:7], v38 offset:2816
	s_waitcnt lgkmcnt(0)
	v_mul_f64 v[16:17], v[54:55], v[6:7]
	v_mul_f64 v[18:19], v[52:53], v[6:7]
	v_fma_f64 v[16:17], v[52:53], v[4:5], -v[16:17]
	v_fma_f64 v[18:19], v[54:55], v[4:5], v[18:19]
	ds_read_b128 v[52:55], v36 offset:8272
	s_waitcnt lgkmcnt(0)
	v_mul_f64 v[26:27], v[54:55], v[10:11]
	v_mul_f64 v[10:11], v[52:53], v[10:11]
	v_add_f64 v[16:17], v[32:33], v[16:17]
	v_add_f64 v[18:19], v[18:19], v[42:43]
	v_fma_f64 v[26:27], v[52:53], v[8:9], -v[26:27]
	v_fma_f64 v[10:11], v[54:55], v[8:9], v[10:11]
	v_add_f64 v[8:9], v[20:21], v[26:27]
	v_mul_f64 v[20:21], v[54:55], v[6:7]
	v_mul_f64 v[6:7], v[52:53], v[6:7]
	v_add_f64 v[10:11], v[10:11], v[22:23]
	v_fma_f64 v[20:21], v[52:53], v[4:5], -v[20:21]
	v_fma_f64 v[4:5], v[54:55], v[4:5], v[6:7]
	v_add_f64 v[26:27], v[12:13], v[20:21]
	v_add_f64 v[30:31], v[4:5], v[14:15]
	ds_read_b128 v[12:15], v36 offset:96
	ds_read_b128 v[20:23], v38 offset:3072
	s_waitcnt lgkmcnt(0)
	v_mul_f64 v[4:5], v[14:15], v[22:23]
	v_mul_f64 v[6:7], v[12:13], v[22:23]
	v_fma_f64 v[4:5], v[12:13], v[20:21], -v[4:5]
	v_fma_f64 v[6:7], v[14:15], v[20:21], v[6:7]
	v_add_f64 v[4:5], v[48:49], v[4:5]
	v_add_f64 v[6:7], v[6:7], v[50:51]
	ds_read_b128 v[48:51], v38 offset:3328
	s_waitcnt lgkmcnt(0)
	v_mul_f64 v[32:33], v[14:15], v[50:51]
	v_fma_f64 v[32:33], v[12:13], v[48:49], -v[32:33]
	v_mul_f64 v[12:13], v[12:13], v[50:51]
	v_add_f64 v[32:33], v[16:17], v[32:33]
	v_fma_f64 v[12:13], v[14:15], v[48:49], v[12:13]
	v_add_f64 v[42:43], v[12:13], v[18:19]
	ds_read_b128 v[12:15], v36 offset:8288
	s_waitcnt lgkmcnt(0)
	v_mul_f64 v[16:17], v[14:15], v[22:23]
	v_mul_f64 v[18:19], v[12:13], v[22:23]
	v_fma_f64 v[16:17], v[12:13], v[20:21], -v[16:17]
	v_fma_f64 v[18:19], v[14:15], v[20:21], v[18:19]
	v_add_f64 v[20:21], v[8:9], v[16:17]
	v_add_f64 v[22:23], v[18:19], v[10:11]
	v_mul_f64 v[8:9], v[14:15], v[50:51]
	v_mul_f64 v[10:11], v[12:13], v[50:51]
	v_fma_f64 v[8:9], v[12:13], v[48:49], -v[8:9]
	v_fma_f64 v[10:11], v[14:15], v[48:49], v[10:11]
	v_add_f64 v[12:13], v[26:27], v[8:9]
	v_add_f64 v[14:15], v[10:11], v[30:31]
	ds_read_b128 v[16:19], v36 offset:112
	ds_read_b128 v[8:11], v38 offset:3584
	ds_read_b128 v[52:55], v36 offset:8304
	s_waitcnt lgkmcnt(1)
	v_mul_f64 v[26:27], v[18:19], v[10:11]
	v_mul_f64 v[30:31], v[16:17], v[10:11]
	v_fma_f64 v[26:27], v[16:17], v[8:9], -v[26:27]
	v_fma_f64 v[30:31], v[18:19], v[8:9], v[30:31]
	v_add_f64 v[48:49], v[4:5], v[26:27]
	v_add_f64 v[50:51], v[30:31], v[6:7]
	ds_read_b128 v[4:7], v38 offset:3840
	s_waitcnt lgkmcnt(0)
	v_mul_f64 v[26:27], v[18:19], v[6:7]
	v_fma_f64 v[26:27], v[16:17], v[4:5], -v[26:27]
	v_mul_f64 v[16:17], v[16:17], v[6:7]
	v_fma_f64 v[18:19], v[18:19], v[4:5], v[16:17]
	v_add_f64 v[16:17], v[32:33], v[26:27]
	v_mul_f64 v[26:27], v[54:55], v[10:11]
	v_mul_f64 v[10:11], v[52:53], v[10:11]
	v_add_f64 v[18:19], v[18:19], v[42:43]
	v_fma_f64 v[26:27], v[52:53], v[8:9], -v[26:27]
	v_fma_f64 v[10:11], v[54:55], v[8:9], v[10:11]
	v_add_f64 v[8:9], v[20:21], v[26:27]
	v_mul_f64 v[20:21], v[54:55], v[6:7]
	v_mul_f64 v[6:7], v[52:53], v[6:7]
	v_add_f64 v[10:11], v[10:11], v[22:23]
	v_fma_f64 v[20:21], v[52:53], v[4:5], -v[20:21]
	v_fma_f64 v[4:5], v[54:55], v[4:5], v[6:7]
	v_add_f64 v[26:27], v[12:13], v[20:21]
	v_add_f64 v[30:31], v[4:5], v[14:15]
	ds_read_b128 v[12:15], v36 offset:128
	ds_read_b128 v[20:23], v38 offset:4096
	s_waitcnt lgkmcnt(0)
	v_mul_f64 v[4:5], v[14:15], v[22:23]
	v_mul_f64 v[6:7], v[12:13], v[22:23]
	v_fma_f64 v[4:5], v[12:13], v[20:21], -v[4:5]
	v_fma_f64 v[6:7], v[14:15], v[20:21], v[6:7]
	v_add_f64 v[4:5], v[48:49], v[4:5]
	v_add_f64 v[6:7], v[6:7], v[50:51]
	ds_read_b128 v[48:51], v38 offset:4352
	s_waitcnt lgkmcnt(0)
	v_mul_f64 v[32:33], v[14:15], v[50:51]
	v_fma_f64 v[32:33], v[12:13], v[48:49], -v[32:33]
	v_mul_f64 v[12:13], v[12:13], v[50:51]
	v_add_f64 v[32:33], v[16:17], v[32:33]
	v_fma_f64 v[12:13], v[14:15], v[48:49], v[12:13]
	v_add_f64 v[42:43], v[12:13], v[18:19]
	ds_read_b128 v[12:15], v36 offset:8320
	s_waitcnt lgkmcnt(0)
	v_mul_f64 v[16:17], v[14:15], v[22:23]
	v_mul_f64 v[18:19], v[12:13], v[22:23]
	v_fma_f64 v[16:17], v[12:13], v[20:21], -v[16:17]
	v_fma_f64 v[18:19], v[14:15], v[20:21], v[18:19]
	v_add_f64 v[20:21], v[8:9], v[16:17]
	v_add_f64 v[22:23], v[18:19], v[10:11]
	v_mul_f64 v[8:9], v[14:15], v[50:51]
	v_mul_f64 v[10:11], v[12:13], v[50:51]
	v_fma_f64 v[8:9], v[12:13], v[48:49], -v[8:9]
	v_fma_f64 v[10:11], v[14:15], v[48:49], v[10:11]
	v_add_f64 v[12:13], v[26:27], v[8:9]
	v_add_f64 v[14:15], v[10:11], v[30:31]
	ds_read_b128 v[16:19], v36 offset:144
	ds_read_b128 v[8:11], v38 offset:4608
	ds_read_b128 v[52:55], v36 offset:8336
	s_waitcnt lgkmcnt(1)
	v_mul_f64 v[26:27], v[18:19], v[10:11]
	v_mul_f64 v[30:31], v[16:17], v[10:11]
	v_fma_f64 v[26:27], v[16:17], v[8:9], -v[26:27]
	v_fma_f64 v[30:31], v[18:19], v[8:9], v[30:31]
	v_add_f64 v[48:49], v[4:5], v[26:27]
	v_add_f64 v[50:51], v[30:31], v[6:7]
	ds_read_b128 v[4:7], v38 offset:4864
	s_waitcnt lgkmcnt(0)
	v_mul_f64 v[26:27], v[18:19], v[6:7]
	v_fma_f64 v[26:27], v[16:17], v[4:5], -v[26:27]
	v_mul_f64 v[16:17], v[16:17], v[6:7]
	v_fma_f64 v[18:19], v[18:19], v[4:5], v[16:17]
	v_add_f64 v[16:17], v[32:33], v[26:27]
	v_mul_f64 v[26:27], v[54:55], v[10:11]
	v_mul_f64 v[10:11], v[52:53], v[10:11]
	;; [unrolled: 61-line block ×11, first 2 shown]
	v_add_f64 v[22:23], v[22:23], v[42:43]
	v_fma_f64 v[26:27], v[52:53], v[8:9], -v[26:27]
	v_fma_f64 v[8:9], v[54:55], v[8:9], v[10:11]
	v_add_f64 v[26:27], v[16:17], v[26:27]
	v_add_f64 v[30:31], v[8:9], v[18:19]
	v_mul_f64 v[8:9], v[54:55], v[6:7]
	v_mul_f64 v[6:7], v[52:53], v[6:7]
	v_fma_f64 v[8:9], v[52:53], v[4:5], -v[8:9]
	v_fma_f64 v[4:5], v[54:55], v[4:5], v[6:7]
	v_add_f64 v[32:33], v[12:13], v[8:9]
	v_add_f64 v[42:43], v[4:5], v[14:15]
	ds_read_b128 v[8:11], v36 offset:448
	ds_read_b128 v[12:15], v38 offset:14336
	;; [unrolled: 1-line block ×3, first 2 shown]
	s_waitcnt lgkmcnt(1)
	v_mul_f64 v[4:5], v[10:11], v[14:15]
	v_mul_f64 v[6:7], v[8:9], v[14:15]
	v_fma_f64 v[4:5], v[8:9], v[12:13], -v[4:5]
	v_fma_f64 v[6:7], v[10:11], v[12:13], v[6:7]
	v_add_f64 v[4:5], v[48:49], v[4:5]
	s_waitcnt lgkmcnt(0)
	v_mul_f64 v[48:49], v[10:11], v[18:19]
	v_add_f64 v[6:7], v[6:7], v[50:51]
	v_fma_f64 v[48:49], v[8:9], v[16:17], -v[48:49]
	v_mul_f64 v[8:9], v[8:9], v[18:19]
	v_add_f64 v[20:21], v[20:21], v[48:49]
	v_fma_f64 v[8:9], v[10:11], v[16:17], v[8:9]
	v_add_f64 v[22:23], v[8:9], v[22:23]
	ds_read_b128 v[8:11], v36 offset:8640
	s_waitcnt lgkmcnt(0)
	v_mul_f64 v[48:49], v[10:11], v[14:15]
	v_mul_f64 v[14:15], v[8:9], v[14:15]
	v_fma_f64 v[48:49], v[8:9], v[12:13], -v[48:49]
	v_fma_f64 v[12:13], v[10:11], v[12:13], v[14:15]
	v_add_f64 v[48:49], v[26:27], v[48:49]
	v_add_f64 v[50:51], v[12:13], v[30:31]
	v_mul_f64 v[12:13], v[10:11], v[18:19]
	v_fma_f64 v[12:13], v[8:9], v[16:17], -v[12:13]
	v_mul_f64 v[8:9], v[8:9], v[18:19]
	v_fma_f64 v[8:9], v[10:11], v[16:17], v[8:9]
	v_add_f64 v[16:17], v[32:33], v[12:13]
	v_add_f64 v[18:19], v[8:9], v[42:43]
	ds_read_b128 v[12:15], v36 offset:464
	ds_read_b128 v[8:11], v38 offset:14848
	s_waitcnt lgkmcnt(0)
	v_mul_f64 v[26:27], v[14:15], v[10:11]
	v_mul_f64 v[30:31], v[12:13], v[10:11]
	v_fma_f64 v[26:27], v[12:13], v[8:9], -v[26:27]
	v_fma_f64 v[30:31], v[14:15], v[8:9], v[30:31]
	v_add_f64 v[52:53], v[4:5], v[26:27]
	v_add_f64 v[54:55], v[30:31], v[6:7]
	ds_read_b128 v[4:7], v38 offset:15104
	s_waitcnt lgkmcnt(0)
	v_mul_f64 v[26:27], v[14:15], v[6:7]
	v_fma_f64 v[26:27], v[12:13], v[4:5], -v[26:27]
	v_mul_f64 v[12:13], v[12:13], v[6:7]
	v_add_f64 v[20:21], v[20:21], v[26:27]
	v_fma_f64 v[12:13], v[14:15], v[4:5], v[12:13]
	v_add_f64 v[22:23], v[12:13], v[22:23]
	ds_read_b128 v[12:15], v36 offset:8656
	s_waitcnt lgkmcnt(0)
	v_mul_f64 v[26:27], v[14:15], v[10:11]
	v_mul_f64 v[10:11], v[12:13], v[10:11]
	v_fma_f64 v[26:27], v[12:13], v[8:9], -v[26:27]
	v_fma_f64 v[10:11], v[14:15], v[8:9], v[10:11]
	v_add_f64 v[8:9], v[48:49], v[26:27]
	v_mul_f64 v[26:27], v[14:15], v[6:7]
	v_mul_f64 v[6:7], v[12:13], v[6:7]
	v_add_f64 v[10:11], v[10:11], v[50:51]
	v_fma_f64 v[26:27], v[12:13], v[4:5], -v[26:27]
	v_fma_f64 v[4:5], v[14:15], v[4:5], v[6:7]
	v_add_f64 v[26:27], v[16:17], v[26:27]
	v_add_f64 v[30:31], v[4:5], v[18:19]
	ds_read_b128 v[12:15], v36 offset:480
	ds_read_b128 v[16:19], v38 offset:15360
	;; [unrolled: 1-line block ×3, first 2 shown]
	s_waitcnt lgkmcnt(1)
	v_mul_f64 v[4:5], v[14:15], v[18:19]
	s_waitcnt lgkmcnt(0)
	v_mul_f64 v[32:33], v[14:15], v[50:51]
	v_mul_f64 v[6:7], v[12:13], v[18:19]
	v_fma_f64 v[4:5], v[12:13], v[16:17], -v[4:5]
	v_fma_f64 v[32:33], v[12:13], v[48:49], -v[32:33]
	v_mul_f64 v[12:13], v[12:13], v[50:51]
	v_fma_f64 v[6:7], v[14:15], v[16:17], v[6:7]
	v_add_f64 v[4:5], v[52:53], v[4:5]
	v_add_f64 v[32:33], v[20:21], v[32:33]
	v_fma_f64 v[12:13], v[14:15], v[48:49], v[12:13]
	v_add_f64 v[6:7], v[6:7], v[54:55]
	v_add_f64 v[42:43], v[12:13], v[22:23]
	ds_read_b128 v[12:15], v36 offset:8672
	s_waitcnt lgkmcnt(0)
	v_mul_f64 v[20:21], v[14:15], v[18:19]
	v_mul_f64 v[18:19], v[12:13], v[18:19]
	v_fma_f64 v[20:21], v[12:13], v[16:17], -v[20:21]
	v_fma_f64 v[16:17], v[14:15], v[16:17], v[18:19]
	v_add_f64 v[52:53], v[8:9], v[20:21]
	v_add_f64 v[54:55], v[16:17], v[10:11]
	v_mul_f64 v[8:9], v[14:15], v[50:51]
	v_mul_f64 v[10:11], v[12:13], v[50:51]
	v_fma_f64 v[8:9], v[12:13], v[48:49], -v[8:9]
	v_fma_f64 v[10:11], v[14:15], v[48:49], v[10:11]
	v_add_f64 v[20:21], v[26:27], v[8:9]
	v_add_f64 v[22:23], v[10:11], v[30:31]
	ds_read_b128 v[12:15], v36 offset:496
	ds_read_b128 v[8:11], v38 offset:15872
	s_waitcnt lgkmcnt(0)
	v_mul_f64 v[16:17], v[14:15], v[10:11]
	v_mul_f64 v[18:19], v[12:13], v[10:11]
	v_fma_f64 v[16:17], v[12:13], v[8:9], -v[16:17]
	v_fma_f64 v[18:19], v[14:15], v[8:9], v[18:19]
	v_add_f64 v[48:49], v[4:5], v[16:17]
	v_add_f64 v[50:51], v[18:19], v[6:7]
	ds_read_b128 v[4:7], v38 offset:16128
	s_waitcnt lgkmcnt(0)
	v_mul_f64 v[16:17], v[14:15], v[6:7]
	v_fma_f64 v[16:17], v[12:13], v[4:5], -v[16:17]
	v_mul_f64 v[12:13], v[12:13], v[6:7]
	v_add_f64 v[16:17], v[32:33], v[16:17]
	v_fma_f64 v[12:13], v[14:15], v[4:5], v[12:13]
	v_add_f64 v[18:19], v[12:13], v[42:43]
	ds_read_b128 v[12:15], v36 offset:8688
	s_waitcnt lgkmcnt(0)
	s_barrier
	v_mul_f64 v[26:27], v[14:15], v[10:11]
	v_mul_f64 v[10:11], v[12:13], v[10:11]
	v_fma_f64 v[26:27], v[12:13], v[8:9], -v[26:27]
	v_fma_f64 v[8:9], v[14:15], v[8:9], v[10:11]
	v_add_f64 v[52:53], v[52:53], v[26:27]
	v_add_f64 v[54:55], v[8:9], v[54:55]
	v_mul_f64 v[8:9], v[14:15], v[6:7]
	v_mul_f64 v[6:7], v[12:13], v[6:7]
	v_fma_f64 v[8:9], v[12:13], v[4:5], -v[8:9]
	v_fma_f64 v[4:5], v[14:15], v[4:5], v[6:7]
	v_add_f64 v[14:15], v[20:21], v[8:9]
	v_add_f64 v[12:13], v[4:5], v[22:23]
	s_cbranch_scc1 .LBB115_55
.LBB115_7:                              ;   Parent Loop BB115_4 Depth=1
                                        ; =>  This Inner Loop Header: Depth=2
	v_mov_b32_e32 v4, s23
	v_add_co_u32_e64 v8, s[10:11], s22, v1
	v_addc_co_u32_e64 v9, s[10:11], 0, v4, s[10:11]
	v_mov_b32_e32 v4, s21
	v_add_co_u32_e64 v6, s[10:11], s20, v37
	v_addc_co_u32_e64 v7, s[10:11], v34, v4, s[10:11]
	v_cmp_le_i64_e64 s[12:13], s[38:39], v[8:9]
	v_cmp_eq_u64_e64 s[16:17], s[22:23], v[28:29]
	v_cmp_gt_i64_e64 s[10:11], v[8:9], v[24:25]
	s_and_b64 s[30:31], s[36:37], s[16:17]
	s_or_b64 s[16:17], s[12:13], s[10:11]
	s_or_b64 s[16:17], s[16:17], s[30:31]
	s_nor_b64 s[16:17], s[0:1], s[16:17]
	s_and_saveexec_b64 s[18:19], s[16:17]
	s_xor_b64 s[16:17], exec, s[18:19]
	s_cbranch_execz .LBB115_9
; %bb.8:                                ;   in Loop: Header=BB115_7 Depth=2
	global_load_dwordx4 v[20:23], v[6:7], off offset:-256
	s_waitcnt vmcnt(0)
	ds_write2_b64 v39, v[20:21], v[22:23] offset1:1
.LBB115_9:                              ;   in Loop: Header=BB115_7 Depth=2
	s_or_saveexec_b64 s[16:17], s[16:17]
	s_xor_b64 s[26:27], s[30:31], -1
	s_xor_b64 exec, exec, s[16:17]
	s_cbranch_execz .LBB115_15
; %bb.10:                               ;   in Loop: Header=BB115_7 Depth=2
	s_and_saveexec_b64 s[18:19], s[26:27]
	s_xor_b64 s[18:19], exec, s[18:19]
; %bb.11:                               ;   in Loop: Header=BB115_7 Depth=2
	v_mov_b32_e32 v20, v2
	v_mov_b32_e32 v21, v2
	;; [unrolled: 1-line block ×4, first 2 shown]
	ds_write_b128 v39, v[20:23]
; %bb.12:                               ;   in Loop: Header=BB115_7 Depth=2
	s_andn2_saveexec_b64 s[18:19], s[18:19]
; %bb.13:                               ;   in Loop: Header=BB115_7 Depth=2
	v_mov_b32_e32 v4, v2
	v_mov_b32_e32 v5, v2
	ds_write_b128 v39, v[2:5]
; %bb.14:                               ;   in Loop: Header=BB115_7 Depth=2
	s_or_b64 exec, exec, s[18:19]
.LBB115_15:                             ;   in Loop: Header=BB115_7 Depth=2
	s_or_b64 exec, exec, s[16:17]
	buffer_load_dword v4, off, s[56:59], 0 offset:8 ; 4-byte Folded Reload
	buffer_load_dword v5, off, s[56:59], 0 offset:12 ; 4-byte Folded Reload
	s_waitcnt vmcnt(0)
	v_cmp_eq_u64_e64 s[16:17], s[22:23], v[4:5]
	buffer_load_dword v4, off, s[56:59], 0  ; 4-byte Folded Reload
	buffer_load_dword v5, off, s[56:59], 0 offset:4 ; 4-byte Folded Reload
	s_and_b64 s[16:17], s[36:37], s[16:17]
	s_waitcnt vmcnt(0)
	v_cmp_lt_i64_e64 s[18:19], v[4:5], v[8:9]
	s_or_b64 s[12:13], s[12:13], s[18:19]
	s_or_b64 s[12:13], s[12:13], s[16:17]
	s_nor_b64 s[12:13], s[2:3], s[12:13]
	s_and_saveexec_b64 s[18:19], s[12:13]
	s_xor_b64 s[18:19], exec, s[18:19]
	s_cbranch_execz .LBB115_17
; %bb.16:                               ;   in Loop: Header=BB115_7 Depth=2
	v_mov_b32_e32 v5, s21
	v_add_co_u32_e64 v4, s[12:13], s20, v35
	v_addc_co_u32_e64 v5, s[12:13], v40, v5, s[12:13]
	global_load_dwordx4 v[20:23], v[4:5], off
	v_add_u32_e32 v4, 0x100, v39
	s_waitcnt vmcnt(0)
	ds_write2_b64 v4, v[20:21], v[22:23] offset1:1
.LBB115_17:                             ;   in Loop: Header=BB115_7 Depth=2
	s_andn2_saveexec_b64 s[12:13], s[18:19]
	s_cbranch_execz .LBB115_23
; %bb.18:                               ;   in Loop: Header=BB115_7 Depth=2
	s_xor_b64 s[16:17], s[16:17], -1
	s_and_saveexec_b64 s[18:19], s[16:17]
	s_xor_b64 s[16:17], exec, s[18:19]
; %bb.19:                               ;   in Loop: Header=BB115_7 Depth=2
	v_mov_b32_e32 v20, v2
	v_mov_b32_e32 v21, v2
	;; [unrolled: 1-line block ×4, first 2 shown]
	ds_write_b128 v39, v[20:23] offset:256
; %bb.20:                               ;   in Loop: Header=BB115_7 Depth=2
	s_andn2_saveexec_b64 s[16:17], s[16:17]
; %bb.21:                               ;   in Loop: Header=BB115_7 Depth=2
	v_mov_b32_e32 v4, v2
	v_mov_b32_e32 v5, v2
	ds_write_b128 v39, v[2:5] offset:256
; %bb.22:                               ;   in Loop: Header=BB115_7 Depth=2
	s_or_b64 exec, exec, s[16:17]
.LBB115_23:                             ;   in Loop: Header=BB115_7 Depth=2
	s_or_b64 exec, exec, s[12:13]
	v_add_co_u32_e64 v4, s[12:13], 16, v8
	v_addc_co_u32_e64 v5, s[12:13], 0, v9, s[12:13]
	buffer_load_dword v8, off, s[56:59], 0 offset:16 ; 4-byte Folded Reload
	buffer_load_dword v9, off, s[56:59], 0 offset:20 ; 4-byte Folded Reload
	v_cmp_le_i64_e64 s[12:13], s[38:39], v[4:5]
	v_cmp_gt_i64_e64 s[18:19], v[4:5], v[24:25]
	s_waitcnt vmcnt(0)
	v_cmp_eq_u64_e64 s[16:17], s[22:23], v[8:9]
	s_and_b64 s[48:49], s[36:37], s[16:17]
	s_or_b64 s[16:17], s[12:13], s[18:19]
	s_or_b64 s[16:17], s[16:17], s[48:49]
	s_nor_b64 s[16:17], s[0:1], s[16:17]
	s_and_saveexec_b64 s[18:19], s[16:17]
	s_xor_b64 s[16:17], exec, s[18:19]
	s_cbranch_execz .LBB115_25
; %bb.24:                               ;   in Loop: Header=BB115_7 Depth=2
	global_load_dwordx4 v[4:7], v[6:7], off
	v_add_u32_e32 v8, 0x2000, v39
	s_waitcnt vmcnt(0)
	ds_write2_b64 v8, v[4:5], v[6:7] offset1:1
.LBB115_25:                             ;   in Loop: Header=BB115_7 Depth=2
	s_andn2_saveexec_b64 s[16:17], s[16:17]
	s_cbranch_execz .LBB115_31
; %bb.26:                               ;   in Loop: Header=BB115_7 Depth=2
	s_xor_b64 s[18:19], s[48:49], -1
	s_and_saveexec_b64 s[48:49], s[18:19]
	s_xor_b64 s[18:19], exec, s[48:49]
; %bb.27:                               ;   in Loop: Header=BB115_7 Depth=2
	v_mov_b32_e32 v4, v2
	v_mov_b32_e32 v5, v2
	;; [unrolled: 1-line block ×4, first 2 shown]
	ds_write_b128 v39, v[4:7] offset:8192
; %bb.28:                               ;   in Loop: Header=BB115_7 Depth=2
	s_andn2_saveexec_b64 s[18:19], s[18:19]
; %bb.29:                               ;   in Loop: Header=BB115_7 Depth=2
	v_mov_b32_e32 v4, v2
	v_mov_b32_e32 v5, v2
	ds_write_b128 v39, v[2:5] offset:8192
; %bb.30:                               ;   in Loop: Header=BB115_7 Depth=2
	s_or_b64 exec, exec, s[18:19]
.LBB115_31:                             ;   in Loop: Header=BB115_7 Depth=2
	s_or_b64 exec, exec, s[16:17]
	s_or_b64 s[10:11], s[12:13], s[10:11]
	s_or_b64 s[10:11], s[10:11], s[30:31]
	s_nor_b64 s[10:11], s[2:3], s[10:11]
	s_and_saveexec_b64 s[12:13], s[10:11]
	s_xor_b64 s[12:13], exec, s[12:13]
	s_cbranch_execz .LBB115_33
; %bb.32:                               ;   in Loop: Header=BB115_7 Depth=2
	v_mov_b32_e32 v5, s21
	v_add_co_u32_e64 v4, s[10:11], s20, v35
	v_addc_co_u32_e64 v5, s[10:11], v40, v5, s[10:11]
	global_load_dwordx4 v[4:7], v[4:5], off offset:256
	v_add_u32_e32 v8, 0x2100, v39
	s_waitcnt vmcnt(0)
	ds_write2_b64 v8, v[4:5], v[6:7] offset1:1
.LBB115_33:                             ;   in Loop: Header=BB115_7 Depth=2
	s_andn2_saveexec_b64 s[10:11], s[12:13]
	s_cbranch_execz .LBB115_39
; %bb.34:                               ;   in Loop: Header=BB115_7 Depth=2
	s_and_saveexec_b64 s[12:13], s[26:27]
	s_xor_b64 s[12:13], exec, s[12:13]
; %bb.35:                               ;   in Loop: Header=BB115_7 Depth=2
	v_mov_b32_e32 v4, v2
	v_mov_b32_e32 v5, v2
	;; [unrolled: 1-line block ×4, first 2 shown]
	ds_write_b128 v39, v[4:7] offset:8448
; %bb.36:                               ;   in Loop: Header=BB115_7 Depth=2
	s_andn2_saveexec_b64 s[12:13], s[12:13]
; %bb.37:                               ;   in Loop: Header=BB115_7 Depth=2
	v_mov_b32_e32 v4, v2
	v_mov_b32_e32 v5, v2
	ds_write_b128 v39, v[2:5] offset:8448
; %bb.38:                               ;   in Loop: Header=BB115_7 Depth=2
	s_or_b64 exec, exec, s[12:13]
.LBB115_39:                             ;   in Loop: Header=BB115_7 Depth=2
	s_or_b64 exec, exec, s[10:11]
	v_mov_b32_e32 v5, s23
	v_add_co_u32_e64 v4, s[10:11], s22, v0
	v_addc_co_u32_e64 v5, s[10:11], 0, v5, s[10:11]
	v_cmp_gt_i64_e64 s[10:11], s[38:39], v[4:5]
	s_and_b64 s[12:13], vcc, s[10:11]
	s_xor_b64 s[12:13], s[12:13], -1
	s_and_saveexec_b64 s[16:17], s[12:13]
	s_xor_b64 s[12:13], exec, s[16:17]
; %bb.40:                               ;   in Loop: Header=BB115_7 Depth=2
	v_mov_b32_e32 v6, v2
	v_mov_b32_e32 v7, v2
	v_mov_b32_e32 v8, v2
	v_mov_b32_e32 v9, v2
	ds_write_b128 v41, v[6:9]
; %bb.41:                               ;   in Loop: Header=BB115_7 Depth=2
	s_or_saveexec_b64 s[16:17], s[12:13]
	v_mov_b32_e32 v7, s21
	v_add_co_u32_e64 v6, s[12:13], s20, v44
	v_addc_co_u32_e64 v7, s[12:13], v45, v7, s[12:13]
	s_xor_b64 exec, exec, s[16:17]
	s_cbranch_execz .LBB115_43
; %bb.42:                               ;   in Loop: Header=BB115_7 Depth=2
	global_load_dwordx4 v[8:11], v[6:7], off offset:-256
	s_waitcnt vmcnt(0)
	ds_write2_b64 v41, v[8:9], v[10:11] offset1:1
.LBB115_43:                             ;   in Loop: Header=BB115_7 Depth=2
	s_or_b64 exec, exec, s[16:17]
	v_cmp_gt_i64_e64 s[12:13], s[42:43], v[4:5]
	s_and_b64 s[16:17], vcc, s[12:13]
	s_xor_b64 s[16:17], s[16:17], -1
	s_and_saveexec_b64 s[18:19], s[16:17]
	s_xor_b64 s[16:17], exec, s[18:19]
; %bb.44:                               ;   in Loop: Header=BB115_7 Depth=2
	v_mov_b32_e32 v4, v2
	v_mov_b32_e32 v5, v2
	;; [unrolled: 1-line block ×4, first 2 shown]
	ds_write_b128 v41, v[4:7] offset:256
                                        ; implicit-def: $vgpr6_vgpr7
; %bb.45:                               ;   in Loop: Header=BB115_7 Depth=2
	s_andn2_saveexec_b64 s[16:17], s[16:17]
	s_cbranch_execz .LBB115_47
; %bb.46:                               ;   in Loop: Header=BB115_7 Depth=2
	global_load_dwordx4 v[4:7], v[6:7], off
	v_add_u32_e32 v8, 0x100, v41
	s_waitcnt vmcnt(0)
	ds_write2_b64 v8, v[4:5], v[6:7] offset1:1
.LBB115_47:                             ;   in Loop: Header=BB115_7 Depth=2
	s_or_b64 exec, exec, s[16:17]
	s_and_b64 s[10:11], s[8:9], s[10:11]
	s_xor_b64 s[10:11], s[10:11], -1
	s_and_saveexec_b64 s[16:17], s[10:11]
	s_xor_b64 s[10:11], exec, s[16:17]
; %bb.48:                               ;   in Loop: Header=BB115_7 Depth=2
	v_mov_b32_e32 v4, v2
	v_mov_b32_e32 v5, v2
	;; [unrolled: 1-line block ×4, first 2 shown]
	ds_write_b128 v41, v[4:7] offset:8192
; %bb.49:                               ;   in Loop: Header=BB115_7 Depth=2
	s_or_saveexec_b64 s[16:17], s[10:11]
	v_mov_b32_e32 v5, s21
	v_add_co_u32_e64 v4, s[10:11], s20, v46
	v_addc_co_u32_e64 v5, s[10:11], v47, v5, s[10:11]
	s_xor_b64 exec, exec, s[16:17]
	s_cbranch_execz .LBB115_51
; %bb.50:                               ;   in Loop: Header=BB115_7 Depth=2
	global_load_dwordx4 v[6:9], v[4:5], off
	v_add_u32_e32 v10, 0x2000, v41
	s_waitcnt vmcnt(0)
	ds_write2_b64 v10, v[6:7], v[8:9] offset1:1
.LBB115_51:                             ;   in Loop: Header=BB115_7 Depth=2
	s_or_b64 exec, exec, s[16:17]
	s_and_b64 s[10:11], s[8:9], s[12:13]
	s_xor_b64 s[10:11], s[10:11], -1
	s_and_saveexec_b64 s[12:13], s[10:11]
	s_xor_b64 s[10:11], exec, s[12:13]
; %bb.52:                               ;   in Loop: Header=BB115_7 Depth=2
	v_mov_b32_e32 v4, v2
	v_mov_b32_e32 v5, v2
	;; [unrolled: 1-line block ×4, first 2 shown]
	ds_write_b128 v41, v[4:7] offset:8448
                                        ; implicit-def: $vgpr4_vgpr5
; %bb.53:                               ;   in Loop: Header=BB115_7 Depth=2
	s_andn2_saveexec_b64 s[10:11], s[10:11]
	s_cbranch_execz .LBB115_6
; %bb.54:                               ;   in Loop: Header=BB115_7 Depth=2
	global_load_dwordx4 v[4:7], v[4:5], off offset:256
	v_add_u32_e32 v8, 0x2100, v41
	s_waitcnt vmcnt(0)
	ds_write2_b64 v8, v[4:5], v[6:7] offset1:1
	s_branch .LBB115_6
.LBB115_55:                             ;   in Loop: Header=BB115_4 Depth=1
	buffer_load_dword v8, off, s[56:59], 0 offset:24 ; 4-byte Folded Reload
	buffer_load_dword v4, off, s[56:59], 0 offset:36 ; 4-byte Folded Reload
	s_waitcnt vmcnt(1)
	v_mul_lo_u32 v6, s41, v8
	s_waitcnt vmcnt(0)
	v_mul_lo_u32 v7, s40, v4
	v_mad_u64_u32 v[4:5], s[8:9], s40, v8, 0
	v_cmp_gt_i32_e32 vcc, s50, v8
	v_add3_u32 v5, v5, v7, v6
	v_lshlrev_b64 v[4:5], 4, v[4:5]
	v_mov_b32_e32 v6, s52
	v_add_co_u32_e64 v4, s[8:9], s51, v4
	v_addc_co_u32_e64 v5, s[8:9], v6, v5, s[8:9]
	s_and_b64 s[8:9], s[4:5], vcc
	s_and_saveexec_b64 s[10:11], s[8:9]
	s_cbranch_execz .LBB115_57
; %bb.56:                               ;   in Loop: Header=BB115_4 Depth=1
	v_lshlrev_b64 v[6:7], 4, v[24:25]
	v_mul_f64 v[20:21], s[46:47], v[50:51]
	v_add_co_u32_e64 v10, s[8:9], v4, v6
	v_addc_co_u32_e64 v11, s[8:9], v5, v7, s[8:9]
	global_load_dwordx4 v[6:9], v[10:11], off
	v_mul_f64 v[22:23], s[44:45], v[50:51]
	v_fma_f64 v[20:21], s[44:45], v[48:49], -v[20:21]
	v_fma_f64 v[22:23], s[46:47], v[48:49], v[22:23]
	s_waitcnt vmcnt(0)
	v_add_f64 v[6:7], v[6:7], v[20:21]
	v_add_f64 v[8:9], v[22:23], v[8:9]
	global_store_dwordx4 v[10:11], v[6:9], off
.LBB115_57:                             ;   in Loop: Header=BB115_4 Depth=1
	s_or_b64 exec, exec, s[10:11]
	s_and_b64 s[10:11], s[14:15], vcc
	s_and_saveexec_b64 s[8:9], s[10:11]
	s_cbranch_execz .LBB115_59
; %bb.58:                               ;   in Loop: Header=BB115_4 Depth=1
	buffer_load_dword v6, off, s[56:59], 0 offset:40 ; 4-byte Folded Reload
	buffer_load_dword v7, off, s[56:59], 0 offset:44 ; 4-byte Folded Reload
	v_mul_f64 v[10:11], s[46:47], v[18:19]
	v_mul_f64 v[18:19], s[44:45], v[18:19]
	v_fma_f64 v[10:11], s[44:45], v[16:17], -v[10:11]
	v_fma_f64 v[16:17], s[46:47], v[16:17], v[18:19]
	s_waitcnt vmcnt(1)
	v_add_co_u32_e32 v8, vcc, v4, v6
	s_waitcnt vmcnt(0)
	v_addc_co_u32_e32 v9, vcc, v5, v7, vcc
	global_load_dwordx4 v[4:7], v[8:9], off
	s_waitcnt vmcnt(0)
	v_add_f64 v[4:5], v[4:5], v[10:11]
	v_add_f64 v[6:7], v[16:17], v[6:7]
	global_store_dwordx4 v[8:9], v[4:7], off
.LBB115_59:                             ;   in Loop: Header=BB115_4 Depth=1
	s_or_b64 exec, exec, s[8:9]
	buffer_load_dword v4, off, s[56:59], 0 offset:24 ; 4-byte Folded Reload
	s_waitcnt vmcnt(0)
	v_add_u32_e32 v6, 16, v4
	v_ashrrev_i32_e32 v4, 31, v6
	v_mul_lo_u32 v7, s40, v4
	v_mul_lo_u32 v8, s41, v6
	v_mad_u64_u32 v[4:5], s[8:9], s40, v6, 0
	v_cmp_gt_i32_e32 vcc, s50, v6
	v_mov_b32_e32 v6, s52
	v_add3_u32 v5, v5, v7, v8
	v_lshlrev_b64 v[4:5], 4, v[4:5]
	v_add_co_u32_e64 v4, s[8:9], s51, v4
	v_addc_co_u32_e64 v5, s[8:9], v6, v5, s[8:9]
	s_and_b64 s[8:9], s[4:5], vcc
	s_mov_b64 s[10:11], exec
	buffer_load_dword v20, off, s[56:59], 0 offset:28 ; 4-byte Folded Reload
	buffer_load_dword v21, off, s[56:59], 0 offset:32 ; 4-byte Folded Reload
	s_and_b64 s[8:9], s[10:11], s[8:9]
	s_mov_b64 exec, s[8:9]
	s_cbranch_execz .LBB115_61
; %bb.60:                               ;   in Loop: Header=BB115_4 Depth=1
	v_lshlrev_b64 v[6:7], 4, v[24:25]
	v_mul_f64 v[16:17], s[46:47], v[54:55]
	v_add_co_u32_e64 v10, s[8:9], v4, v6
	v_addc_co_u32_e64 v11, s[8:9], v5, v7, s[8:9]
	global_load_dwordx4 v[6:9], v[10:11], off
	v_mul_f64 v[18:19], s[44:45], v[54:55]
	v_fma_f64 v[16:17], s[44:45], v[52:53], -v[16:17]
	v_fma_f64 v[18:19], s[46:47], v[52:53], v[18:19]
	s_waitcnt vmcnt(0)
	v_add_f64 v[6:7], v[6:7], v[16:17]
	v_add_f64 v[8:9], v[18:19], v[8:9]
	global_store_dwordx4 v[10:11], v[6:9], off
.LBB115_61:                             ;   in Loop: Header=BB115_4 Depth=1
	s_or_b64 exec, exec, s[10:11]
	s_and_b64 s[10:11], s[14:15], vcc
	s_and_saveexec_b64 s[8:9], s[10:11]
	s_cbranch_execz .LBB115_3
; %bb.62:                               ;   in Loop: Header=BB115_4 Depth=1
	buffer_load_dword v6, off, s[56:59], 0 offset:40 ; 4-byte Folded Reload
	buffer_load_dword v7, off, s[56:59], 0 offset:44 ; 4-byte Folded Reload
	v_mul_f64 v[10:11], s[46:47], v[12:13]
	v_mul_f64 v[12:13], s[44:45], v[12:13]
	v_fma_f64 v[10:11], s[44:45], v[14:15], -v[10:11]
	v_fma_f64 v[12:13], s[46:47], v[14:15], v[12:13]
	s_waitcnt vmcnt(1)
	v_add_co_u32_e32 v8, vcc, v4, v6
	s_waitcnt vmcnt(0)
	v_addc_co_u32_e32 v9, vcc, v5, v7, vcc
	global_load_dwordx4 v[4:7], v[8:9], off
	s_waitcnt vmcnt(0)
	v_add_f64 v[4:5], v[4:5], v[10:11]
	v_add_f64 v[6:7], v[12:13], v[6:7]
	global_store_dwordx4 v[8:9], v[4:7], off
	s_branch .LBB115_3
.LBB115_63:
	s_endpgm
	.section	.rodata,"a",@progbits
	.p2align	6, 0x0
	.amdhsa_kernel _ZL30rocblas_trmm_outofplace_kernelI19rocblas_complex_numIdELi32ELi2ELb1ELb1ELb1ELb0ES1_KS1_S1_Ev17rocblas_diagonal_iiT6_lPT7_lllS6_lllPT8_llli
		.amdhsa_group_segment_fixed_size 32768
		.amdhsa_private_segment_fixed_size 68
		.amdhsa_kernarg_size 400
		.amdhsa_user_sgpr_count 6
		.amdhsa_user_sgpr_private_segment_buffer 1
		.amdhsa_user_sgpr_dispatch_ptr 0
		.amdhsa_user_sgpr_queue_ptr 0
		.amdhsa_user_sgpr_kernarg_segment_ptr 1
		.amdhsa_user_sgpr_dispatch_id 0
		.amdhsa_user_sgpr_flat_scratch_init 0
		.amdhsa_user_sgpr_private_segment_size 0
		.amdhsa_uses_dynamic_stack 0
		.amdhsa_system_sgpr_private_segment_wavefront_offset 1
		.amdhsa_system_sgpr_workgroup_id_x 1
		.amdhsa_system_sgpr_workgroup_id_y 1
		.amdhsa_system_sgpr_workgroup_id_z 1
		.amdhsa_system_sgpr_workgroup_info 0
		.amdhsa_system_vgpr_workitem_id 1
		.amdhsa_next_free_vgpr 64
		.amdhsa_next_free_sgpr 61
		.amdhsa_reserve_vcc 1
		.amdhsa_reserve_flat_scratch 0
		.amdhsa_float_round_mode_32 0
		.amdhsa_float_round_mode_16_64 0
		.amdhsa_float_denorm_mode_32 3
		.amdhsa_float_denorm_mode_16_64 3
		.amdhsa_dx10_clamp 1
		.amdhsa_ieee_mode 1
		.amdhsa_fp16_overflow 0
		.amdhsa_exception_fp_ieee_invalid_op 0
		.amdhsa_exception_fp_denorm_src 0
		.amdhsa_exception_fp_ieee_div_zero 0
		.amdhsa_exception_fp_ieee_overflow 0
		.amdhsa_exception_fp_ieee_underflow 0
		.amdhsa_exception_fp_ieee_inexact 0
		.amdhsa_exception_int_div_zero 0
	.end_amdhsa_kernel
	.section	.text._ZL30rocblas_trmm_outofplace_kernelI19rocblas_complex_numIdELi32ELi2ELb1ELb1ELb1ELb0ES1_KS1_S1_Ev17rocblas_diagonal_iiT6_lPT7_lllS6_lllPT8_llli,"axG",@progbits,_ZL30rocblas_trmm_outofplace_kernelI19rocblas_complex_numIdELi32ELi2ELb1ELb1ELb1ELb0ES1_KS1_S1_Ev17rocblas_diagonal_iiT6_lPT7_lllS6_lllPT8_llli,comdat
.Lfunc_end115:
	.size	_ZL30rocblas_trmm_outofplace_kernelI19rocblas_complex_numIdELi32ELi2ELb1ELb1ELb1ELb0ES1_KS1_S1_Ev17rocblas_diagonal_iiT6_lPT7_lllS6_lllPT8_llli, .Lfunc_end115-_ZL30rocblas_trmm_outofplace_kernelI19rocblas_complex_numIdELi32ELi2ELb1ELb1ELb1ELb0ES1_KS1_S1_Ev17rocblas_diagonal_iiT6_lPT7_lllS6_lllPT8_llli
                                        ; -- End function
	.set _ZL30rocblas_trmm_outofplace_kernelI19rocblas_complex_numIdELi32ELi2ELb1ELb1ELb1ELb0ES1_KS1_S1_Ev17rocblas_diagonal_iiT6_lPT7_lllS6_lllPT8_llli.num_vgpr, 64
	.set _ZL30rocblas_trmm_outofplace_kernelI19rocblas_complex_numIdELi32ELi2ELb1ELb1ELb1ELb0ES1_KS1_S1_Ev17rocblas_diagonal_iiT6_lPT7_lllS6_lllPT8_llli.num_agpr, 0
	.set _ZL30rocblas_trmm_outofplace_kernelI19rocblas_complex_numIdELi32ELi2ELb1ELb1ELb1ELb0ES1_KS1_S1_Ev17rocblas_diagonal_iiT6_lPT7_lllS6_lllPT8_llli.numbered_sgpr, 60
	.set _ZL30rocblas_trmm_outofplace_kernelI19rocblas_complex_numIdELi32ELi2ELb1ELb1ELb1ELb0ES1_KS1_S1_Ev17rocblas_diagonal_iiT6_lPT7_lllS6_lllPT8_llli.num_named_barrier, 0
	.set _ZL30rocblas_trmm_outofplace_kernelI19rocblas_complex_numIdELi32ELi2ELb1ELb1ELb1ELb0ES1_KS1_S1_Ev17rocblas_diagonal_iiT6_lPT7_lllS6_lllPT8_llli.private_seg_size, 68
	.set _ZL30rocblas_trmm_outofplace_kernelI19rocblas_complex_numIdELi32ELi2ELb1ELb1ELb1ELb0ES1_KS1_S1_Ev17rocblas_diagonal_iiT6_lPT7_lllS6_lllPT8_llli.uses_vcc, 1
	.set _ZL30rocblas_trmm_outofplace_kernelI19rocblas_complex_numIdELi32ELi2ELb1ELb1ELb1ELb0ES1_KS1_S1_Ev17rocblas_diagonal_iiT6_lPT7_lllS6_lllPT8_llli.uses_flat_scratch, 0
	.set _ZL30rocblas_trmm_outofplace_kernelI19rocblas_complex_numIdELi32ELi2ELb1ELb1ELb1ELb0ES1_KS1_S1_Ev17rocblas_diagonal_iiT6_lPT7_lllS6_lllPT8_llli.has_dyn_sized_stack, 0
	.set _ZL30rocblas_trmm_outofplace_kernelI19rocblas_complex_numIdELi32ELi2ELb1ELb1ELb1ELb0ES1_KS1_S1_Ev17rocblas_diagonal_iiT6_lPT7_lllS6_lllPT8_llli.has_recursion, 0
	.set _ZL30rocblas_trmm_outofplace_kernelI19rocblas_complex_numIdELi32ELi2ELb1ELb1ELb1ELb0ES1_KS1_S1_Ev17rocblas_diagonal_iiT6_lPT7_lllS6_lllPT8_llli.has_indirect_call, 0
	.section	.AMDGPU.csdata,"",@progbits
; Kernel info:
; codeLenInByte = 10484
; TotalNumSgprs: 64
; NumVgprs: 64
; ScratchSize: 68
; MemoryBound: 0
; FloatMode: 240
; IeeeMode: 1
; LDSByteSize: 32768 bytes/workgroup (compile time only)
; SGPRBlocks: 8
; VGPRBlocks: 15
; NumSGPRsForWavesPerEU: 65
; NumVGPRsForWavesPerEU: 64
; Occupancy: 4
; WaveLimiterHint : 0
; COMPUTE_PGM_RSRC2:SCRATCH_EN: 1
; COMPUTE_PGM_RSRC2:USER_SGPR: 6
; COMPUTE_PGM_RSRC2:TRAP_HANDLER: 0
; COMPUTE_PGM_RSRC2:TGID_X_EN: 1
; COMPUTE_PGM_RSRC2:TGID_Y_EN: 1
; COMPUTE_PGM_RSRC2:TGID_Z_EN: 1
; COMPUTE_PGM_RSRC2:TIDIG_COMP_CNT: 1
	.section	.text._ZL30rocblas_trmm_outofplace_kernelI19rocblas_complex_numIdELi32ELi2ELb1ELb0ELb1ELb1EPKS1_S2_S1_Ev17rocblas_diagonal_iiT6_lPT7_lllS7_lllPT8_llli,"axG",@progbits,_ZL30rocblas_trmm_outofplace_kernelI19rocblas_complex_numIdELi32ELi2ELb1ELb0ELb1ELb1EPKS1_S2_S1_Ev17rocblas_diagonal_iiT6_lPT7_lllS7_lllPT8_llli,comdat
	.globl	_ZL30rocblas_trmm_outofplace_kernelI19rocblas_complex_numIdELi32ELi2ELb1ELb0ELb1ELb1EPKS1_S2_S1_Ev17rocblas_diagonal_iiT6_lPT7_lllS7_lllPT8_llli ; -- Begin function _ZL30rocblas_trmm_outofplace_kernelI19rocblas_complex_numIdELi32ELi2ELb1ELb0ELb1ELb1EPKS1_S2_S1_Ev17rocblas_diagonal_iiT6_lPT7_lllS7_lllPT8_llli
	.p2align	8
	.type	_ZL30rocblas_trmm_outofplace_kernelI19rocblas_complex_numIdELi32ELi2ELb1ELb0ELb1ELb1EPKS1_S2_S1_Ev17rocblas_diagonal_iiT6_lPT7_lllS7_lllPT8_llli,@function
_ZL30rocblas_trmm_outofplace_kernelI19rocblas_complex_numIdELi32ELi2ELb1ELb0ELb1ELb1EPKS1_S2_S1_Ev17rocblas_diagonal_iiT6_lPT7_lllS7_lllPT8_llli: ; @_ZL30rocblas_trmm_outofplace_kernelI19rocblas_complex_numIdELi32ELi2ELb1ELb0ELb1ELb1EPKS1_S2_S1_Ev17rocblas_diagonal_iiT6_lPT7_lllS7_lllPT8_llli
; %bb.0:
	s_load_dwordx16 s[12:27], s[4:5], 0x10
	s_mov_b64 s[58:59], s[2:3]
	s_mov_b64 s[56:57], s[0:1]
	s_add_u32 s56, s56, s9
	s_addc_u32 s57, s57, 0
	s_waitcnt lgkmcnt(0)
	s_mul_i32 s0, s15, s8
	s_mul_hi_u32 s1, s14, s8
	s_add_i32 s1, s1, s0
	s_mul_i32 s0, s14, s8
	s_lshl_b64 s[0:1], s[0:1], 4
	s_add_u32 s0, s12, s0
	s_addc_u32 s1, s13, s1
	s_load_dwordx4 s[28:31], s[0:1], 0x0
	buffer_store_dword v1, off, s[56:59], 0 offset:40 ; 4-byte Folded Spill
	s_waitcnt lgkmcnt(0)
	v_cmp_eq_f64_e64 s[0:1], s[28:29], 0
	v_cmp_eq_f64_e64 s[2:3], s[30:31], 0
	s_and_b64 s[0:1], s[0:1], s[2:3]
	s_and_b64 vcc, exec, s[0:1]
	s_cbranch_vccnz .LBB116_64
; %bb.1:
	s_load_dwordx4 s[44:47], s[4:5], 0x0
	s_waitcnt lgkmcnt(0)
	s_add_i32 s0, s46, -1
	s_ashr_i32 s1, s0, 31
	s_lshr_b32 s1, s1, 27
	s_add_i32 s0, s0, s1
	s_ashr_i32 s33, s0, 5
	s_cmp_gt_i32 s7, s33
	s_cbranch_scc1 .LBB116_64
; %bb.2:
	s_load_dwordx8 s[36:43], s[4:5], 0x50
	s_load_dwordx4 s[48:51], s[4:5], 0x70
	buffer_load_dword v7, off, s[56:59], 0 offset:40 ; 4-byte Folded Reload
	s_mul_i32 s0, s23, s8
	s_mul_hi_u32 s1, s22, s8
	s_add_i32 s1, s1, s0
	s_mul_i32 s0, s22, s8
	s_lshl_b64 s[10:11], s[0:1], 4
	s_add_u32 s0, s16, s10
	s_addc_u32 s1, s17, s11
	s_lshl_b64 s[12:13], s[18:19], 4
	s_add_u32 s2, s0, s12
	s_addc_u32 s3, s1, s13
	s_waitcnt lgkmcnt(0)
	s_mul_i32 s0, s51, s8
	s_mul_hi_u32 s1, s50, s8
	s_add_i32 s1, s1, s0
	s_mul_i32 s0, s50, s8
	s_lshl_b64 s[0:1], s[0:1], 4
	s_load_dword s47, s[4:5], 0x8c
	s_add_u32 s4, s40, s0
	s_addc_u32 s5, s41, s1
	s_lshl_b64 s[0:1], s[42:43], 4
	s_add_u32 s52, s4, s0
	s_addc_u32 s53, s5, s1
	s_lshl_b32 s4, s6, 5
	v_add_u32_e32 v24, s4, v0
	v_ashrrev_i32_e32 v25, 31, v24
	v_mul_lo_u32 v3, s20, v25
	v_mul_lo_u32 v4, s21, v24
	v_mad_u64_u32 v[1:2], s[0:1], s20, v24, 0
	v_lshlrev_b32_e32 v0, 4, v0
	s_sub_i32 s6, s45, s4
	v_add3_u32 v2, v2, v3, v4
	v_lshlrev_b64 v[1:2], 4, v[1:2]
	v_mov_b32_e32 v3, s3
	v_add_co_u32_e32 v4, vcc, s2, v1
	v_addc_co_u32_e32 v3, vcc, v3, v2, vcc
	s_cmp_gt_i32 s6, 0
	s_cselect_b64 s[22:23], -1, 0
	s_cmpk_eq_i32 s44, 0x84
	s_cselect_b64 s[34:35], -1, 0
	s_ashr_i32 s41, s45, 31
	s_ashr_i32 s54, s46, 31
	s_add_u32 s42, s45, -16
	s_mul_i32 s9, s39, s8
	s_mul_hi_u32 s18, s38, s8
	s_addc_u32 s43, s41, -1
	s_add_i32 s9, s18, s9
	s_mul_i32 s8, s38, s8
	s_lshl_b64 s[8:9], s[8:9], 4
	s_lshl_b64 s[18:19], s[26:27], 4
	s_mov_b32 s40, s45
	s_add_u32 s8, s8, s18
	s_addc_u32 s9, s9, s19
	v_lshlrev_b64 v[5:6], 4, v[24:25]
	s_add_u32 s8, s24, s8
	s_addc_u32 s9, s25, s9
	s_movk_i32 s44, 0x100
	s_lshl_b64 s[24:25], s[36:37], 4
	s_waitcnt lgkmcnt(0)
	s_lshl_b32 s55, s47, 5
	v_cmp_le_i32_e64 s[0:1], s45, v24
	s_waitcnt vmcnt(0)
	v_add_u32_e32 v26, s4, v7
	v_ashrrev_i32_e32 v27, 31, v26
	v_lshlrev_b64 v[1:2], 4, v[26:27]
	v_cmp_gt_i32_e64 s[4:5], s45, v24
	v_add_co_u32_e32 v4, vcc, v4, v1
	v_addc_co_u32_e32 v3, vcc, v3, v2, vcc
	buffer_store_dword v3, off, s[56:59], 0 offset:4 ; 4-byte Folded Spill
	v_lshlrev_b32_e32 v3, 9, v7
	v_add_u32_e32 v30, v0, v3
	v_add_u32_e32 v31, 0x4000, v3
	v_add_co_u32_e32 v3, vcc, 16, v24
	buffer_store_dword v4, off, s[56:59], 0 ; 4-byte Folded Spill
	v_addc_co_u32_e32 v4, vcc, 0, v25, vcc
	buffer_store_dword v3, off, s[56:59], 0 offset:8 ; 4-byte Folded Spill
	s_nop 0
	buffer_store_dword v4, off, s[56:59], 0 offset:12 ; 4-byte Folded Spill
	v_sub_co_u32_e32 v10, vcc, v24, v26
	v_subb_co_u32_e32 v11, vcc, v25, v27, vcc
	v_mov_b32_e32 v33, v11
	v_mov_b32_e32 v32, v10
	v_add_u32_e32 v42, v31, v0
	v_lshl_add_u32 v20, s7, 5, v7
	v_cmp_le_i64_e64 s[2:3], s[40:41], v[3:4]
	v_add_u32_e32 v3, 16, v24
	v_ashrrev_i32_e32 v4, 31, v3
	v_cmp_gt_i32_e64 s[14:15], s45, v3
	buffer_store_dword v3, off, s[56:59], 0 offset:44 ; 4-byte Folded Spill
	s_nop 0
	buffer_store_dword v4, off, s[56:59], 0 offset:48 ; 4-byte Folded Spill
	v_mov_b32_e32 v3, s9
	v_add_co_u32_e32 v4, vcc, s8, v5
	v_addc_co_u32_e32 v3, vcc, v3, v6, vcc
	v_add_co_u32_e32 v8, vcc, s44, v4
	v_addc_co_u32_e32 v9, vcc, 0, v3, vcc
	s_add_u32 s8, s12, s10
	v_add_co_u32_e32 v5, vcc, s44, v5
	s_addc_u32 s9, s13, s11
	v_mov_b32_e32 v3, s8
	buffer_store_dword v8, off, s[56:59], 0 offset:52 ; 4-byte Folded Spill
	s_nop 0
	buffer_store_dword v9, off, s[56:59], 0 offset:56 ; 4-byte Folded Spill
	v_addc_co_u32_e32 v6, vcc, 0, v6, vcc
	v_mov_b32_e32 v4, s9
	v_mad_u64_u32 v[3:4], s[8:9], s20, v5, v[3:4]
	v_mul_lo_u32 v6, s20, v6
	v_mul_lo_u32 v5, s21, v5
	v_add_co_u32_e32 v8, vcc, 16, v10
	v_addc_co_u32_e32 v9, vcc, 0, v11, vcc
	v_add_co_u32_e32 v40, vcc, -16, v10
	v_addc_co_u32_e32 v41, vcc, -1, v11, vcc
	v_add3_u32 v4, v5, v4, v6
	v_add_co_u32_e32 v1, vcc, v3, v1
	v_addc_co_u32_e32 v2, vcc, v4, v2, vcc
	v_mov_b32_e32 v3, s17
	v_add_co_u32_e32 v43, vcc, s16, v1
	v_addc_co_u32_e32 v1, vcc, v3, v2, vcc
	v_mov_b32_e32 v2, 0
	v_mov_b32_e32 v3, 0x3ff00000
	buffer_store_dword v8, off, s[56:59], 0 offset:16 ; 4-byte Folded Spill
	s_nop 0
	buffer_store_dword v9, off, s[56:59], 0 offset:20 ; 4-byte Folded Spill
	buffer_store_dword v1, off, s[56:59], 0 offset:24 ; 4-byte Folded Spill
	s_branch .LBB116_4
.LBB116_3:                              ;   in Loop: Header=BB116_4 Depth=1
	s_or_b64 exec, exec, s[8:9]
	s_add_i32 s7, s47, s7
	s_cmp_le_i32 s7, s33
	s_waitcnt vmcnt(1)
	v_add_u32_e32 v20, s55, v20
	s_cbranch_scc0 .LBB116_64
.LBB116_4:                              ; =>This Loop Header: Depth=1
                                        ;     Child Loop BB116_7 Depth 2
	buffer_load_dword v1, off, s[56:59], 0 offset:40 ; 4-byte Folded Reload
	s_andn2_b64 vcc, exec, s[22:23]
	s_waitcnt vmcnt(0)
	v_lshl_add_u32 v11, s7, 5, v1
	v_ashrrev_i32_e32 v1, 31, v11
	buffer_store_dword v11, off, s[56:59], 0 offset:28 ; 4-byte Folded Spill
	s_cbranch_vccnz .LBB116_55
; %bb.5:                                ;   in Loop: Header=BB116_4 Depth=1
	buffer_load_dword v9, off, s[56:59], 0 offset:52 ; 4-byte Folded Reload
	buffer_load_dword v10, off, s[56:59], 0 offset:56 ; 4-byte Folded Reload
	v_mov_b32_e32 v4, v20
	v_ashrrev_i32_e32 v21, 31, v20
	buffer_store_dword v4, off, s[56:59], 0 offset:32 ; 4-byte Folded Spill
	s_nop 0
	buffer_store_dword v5, off, s[56:59], 0 offset:36 ; 4-byte Folded Spill
	v_lshlrev_b64 v[4:5], 4, v[20:21]
	v_mul_lo_u32 v6, s25, v20
	v_add_co_u32_e32 v4, vcc, 0x100, v4
	v_addc_co_u32_e32 v5, vcc, 0, v5, vcc
	v_mul_lo_u32 v5, s36, v5
	v_mul_lo_u32 v8, s37, v4
	;; [unrolled: 1-line block ×3, first 2 shown]
	v_mov_b32_e32 v12, 0
	v_mov_b32_e32 v14, 0
	;; [unrolled: 1-line block ×8, first 2 shown]
	s_mov_b64 s[20:21], 0
	v_mov_b32_e32 v13, 0
	v_mov_b32_e32 v15, 0
	;; [unrolled: 1-line block ×8, first 2 shown]
	s_mov_b64 s[26:27], 0
	s_waitcnt vmcnt(2)
	v_mad_u64_u32 v[46:47], s[8:9], s36, v4, v[9:10]
	v_mad_u64_u32 v[44:45], s[8:9], s24, v20, v[9:10]
	v_add3_u32 v47, v8, v47, v5
	v_mov_b32_e32 v5, s54
	v_sub_co_u32_e32 v4, vcc, s46, v11
	v_subb_co_u32_e32 v5, vcc, v5, v1, vcc
	v_cmp_lt_i64_e32 vcc, 0, v[4:5]
	v_cmp_lt_i64_e64 s[8:9], 16, v[4:5]
	v_add3_u32 v45, v6, v45, v7
	s_branch .LBB116_7
.LBB116_6:                              ;   in Loop: Header=BB116_7 Depth=2
	s_or_b64 exec, exec, s[10:11]
	s_waitcnt lgkmcnt(0)
	s_barrier
	ds_read_b128 v[56:59], v31
	ds_read_b128 v[20:23], v31 offset:16
	ds_read_b128 v[8:11], v31 offset:32
	;; [unrolled: 1-line block ×3, first 2 shown]
	ds_read_b128 v[60:63], v0
	s_add_u32 s26, s26, 32
	s_addc_u32 s27, s27, 0
	s_add_u32 s20, s20, 0x200
	s_addc_u32 s21, s21, 0
	s_waitcnt lgkmcnt(0)
	v_mul_f64 v[34:35], v[58:59], v[62:63]
	v_mul_f64 v[28:29], v[56:57], v[62:63]
	s_cmp_ge_i32 s26, s6
	v_fma_f64 v[34:35], v[56:57], v[60:61], -v[34:35]
	v_fma_f64 v[28:29], v[58:59], v[60:61], v[28:29]
	v_add_f64 v[34:35], v[48:49], v[34:35]
	v_add_f64 v[28:29], v[28:29], v[50:51]
	ds_read_b128 v[48:51], v0 offset:256
	s_waitcnt lgkmcnt(0)
	v_mul_f64 v[36:37], v[58:59], v[50:51]
	v_fma_f64 v[36:37], v[56:57], v[48:49], -v[36:37]
	v_mul_f64 v[56:57], v[56:57], v[50:51]
	v_add_f64 v[36:37], v[16:17], v[36:37]
	v_fma_f64 v[56:57], v[58:59], v[48:49], v[56:57]
	v_add_f64 v[38:39], v[56:57], v[18:19]
	ds_read_b128 v[16:19], v31 offset:8192
	s_waitcnt lgkmcnt(0)
	v_mul_f64 v[56:57], v[18:19], v[62:63]
	v_mul_f64 v[58:59], v[16:17], v[62:63]
	v_fma_f64 v[56:57], v[16:17], v[60:61], -v[56:57]
	v_fma_f64 v[58:59], v[18:19], v[60:61], v[58:59]
	v_add_f64 v[60:61], v[52:53], v[56:57]
	v_mul_f64 v[52:53], v[18:19], v[50:51]
	v_add_f64 v[62:63], v[58:59], v[54:55]
	v_fma_f64 v[52:53], v[16:17], v[48:49], -v[52:53]
	v_mul_f64 v[16:17], v[16:17], v[50:51]
	v_add_f64 v[56:57], v[14:15], v[52:53]
	v_fma_f64 v[16:17], v[18:19], v[48:49], v[16:17]
	v_add_f64 v[58:59], v[16:17], v[12:13]
	ds_read_b128 v[16:19], v0 offset:512
	s_waitcnt lgkmcnt(0)
	v_mul_f64 v[12:13], v[22:23], v[18:19]
	v_mul_f64 v[14:15], v[20:21], v[18:19]
	v_fma_f64 v[12:13], v[20:21], v[16:17], -v[12:13]
	v_fma_f64 v[14:15], v[22:23], v[16:17], v[14:15]
	v_add_f64 v[52:53], v[34:35], v[12:13]
	v_add_f64 v[54:55], v[14:15], v[28:29]
	ds_read_b128 v[12:15], v0 offset:768
	s_waitcnt lgkmcnt(0)
	v_mul_f64 v[28:29], v[22:23], v[14:15]
	v_fma_f64 v[28:29], v[20:21], v[12:13], -v[28:29]
	v_mul_f64 v[20:21], v[20:21], v[14:15]
	v_add_f64 v[48:49], v[36:37], v[28:29]
	v_fma_f64 v[20:21], v[22:23], v[12:13], v[20:21]
	v_add_f64 v[50:51], v[20:21], v[38:39]
	ds_read_b128 v[20:23], v31 offset:8208
	s_waitcnt lgkmcnt(0)
	v_mul_f64 v[28:29], v[22:23], v[18:19]
	v_mul_f64 v[18:19], v[20:21], v[18:19]
	v_fma_f64 v[28:29], v[20:21], v[16:17], -v[28:29]
	v_fma_f64 v[18:19], v[22:23], v[16:17], v[18:19]
	v_add_f64 v[16:17], v[60:61], v[28:29]
	v_mul_f64 v[28:29], v[22:23], v[14:15]
	v_mul_f64 v[14:15], v[20:21], v[14:15]
	v_add_f64 v[18:19], v[18:19], v[62:63]
	v_fma_f64 v[28:29], v[20:21], v[12:13], -v[28:29]
	v_fma_f64 v[14:15], v[22:23], v[12:13], v[14:15]
	ds_read_b128 v[20:23], v0 offset:1024
	s_waitcnt lgkmcnt(0)
	v_mul_f64 v[34:35], v[8:9], v[22:23]
	v_add_f64 v[12:13], v[56:57], v[28:29]
	v_mul_f64 v[28:29], v[10:11], v[22:23]
	v_add_f64 v[14:15], v[14:15], v[58:59]
	v_fma_f64 v[34:35], v[10:11], v[20:21], v[34:35]
	v_fma_f64 v[28:29], v[8:9], v[20:21], -v[28:29]
	v_add_f64 v[34:35], v[34:35], v[54:55]
	v_add_f64 v[28:29], v[52:53], v[28:29]
	ds_read_b128 v[52:55], v0 offset:1280
	s_waitcnt lgkmcnt(0)
	v_mul_f64 v[36:37], v[10:11], v[54:55]
	v_fma_f64 v[36:37], v[8:9], v[52:53], -v[36:37]
	v_mul_f64 v[8:9], v[8:9], v[54:55]
	v_add_f64 v[36:37], v[48:49], v[36:37]
	v_fma_f64 v[8:9], v[10:11], v[52:53], v[8:9]
	v_add_f64 v[38:39], v[8:9], v[50:51]
	ds_read_b128 v[8:11], v31 offset:8224
	s_waitcnt lgkmcnt(0)
	v_mul_f64 v[48:49], v[10:11], v[22:23]
	v_mul_f64 v[22:23], v[8:9], v[22:23]
	v_fma_f64 v[48:49], v[8:9], v[20:21], -v[48:49]
	v_fma_f64 v[20:21], v[10:11], v[20:21], v[22:23]
	v_add_f64 v[48:49], v[16:17], v[48:49]
	v_mul_f64 v[16:17], v[10:11], v[54:55]
	v_add_f64 v[50:51], v[20:21], v[18:19]
	v_fma_f64 v[16:17], v[8:9], v[52:53], -v[16:17]
	v_mul_f64 v[8:9], v[8:9], v[54:55]
	v_add_f64 v[20:21], v[12:13], v[16:17]
	v_fma_f64 v[8:9], v[10:11], v[52:53], v[8:9]
	ds_read_b128 v[52:55], v31 offset:8240
	v_add_f64 v[22:23], v[8:9], v[14:15]
	ds_read_b128 v[12:15], v0 offset:1536
	s_waitcnt lgkmcnt(0)
	v_mul_f64 v[8:9], v[6:7], v[14:15]
	v_mul_f64 v[10:11], v[4:5], v[14:15]
	v_fma_f64 v[8:9], v[4:5], v[12:13], -v[8:9]
	v_fma_f64 v[10:11], v[6:7], v[12:13], v[10:11]
	v_add_f64 v[16:17], v[28:29], v[8:9]
	v_add_f64 v[18:19], v[10:11], v[34:35]
	ds_read_b128 v[8:11], v0 offset:1792
	s_waitcnt lgkmcnt(0)
	v_mul_f64 v[28:29], v[6:7], v[10:11]
	v_fma_f64 v[28:29], v[4:5], v[8:9], -v[28:29]
	v_mul_f64 v[4:5], v[4:5], v[10:11]
	v_fma_f64 v[6:7], v[6:7], v[8:9], v[4:5]
	v_add_f64 v[4:5], v[36:37], v[28:29]
	v_mul_f64 v[28:29], v[54:55], v[14:15]
	v_mul_f64 v[14:15], v[52:53], v[14:15]
	v_add_f64 v[6:7], v[6:7], v[38:39]
	v_fma_f64 v[28:29], v[52:53], v[12:13], -v[28:29]
	v_fma_f64 v[14:15], v[54:55], v[12:13], v[14:15]
	v_add_f64 v[12:13], v[48:49], v[28:29]
	v_mul_f64 v[28:29], v[54:55], v[10:11]
	v_mul_f64 v[10:11], v[52:53], v[10:11]
	v_add_f64 v[14:15], v[14:15], v[50:51]
	v_fma_f64 v[28:29], v[52:53], v[8:9], -v[28:29]
	v_fma_f64 v[8:9], v[54:55], v[8:9], v[10:11]
	v_add_f64 v[28:29], v[20:21], v[28:29]
	v_add_f64 v[34:35], v[8:9], v[22:23]
	ds_read_b128 v[8:11], v31 offset:64
	ds_read_b128 v[20:23], v0 offset:2048
	;; [unrolled: 1-line block ×3, first 2 shown]
	s_waitcnt lgkmcnt(1)
	v_mul_f64 v[36:37], v[10:11], v[22:23]
	v_mul_f64 v[38:39], v[8:9], v[22:23]
	v_fma_f64 v[36:37], v[8:9], v[20:21], -v[36:37]
	v_fma_f64 v[38:39], v[10:11], v[20:21], v[38:39]
	v_add_f64 v[16:17], v[16:17], v[36:37]
	s_waitcnt lgkmcnt(0)
	v_mul_f64 v[36:37], v[10:11], v[50:51]
	v_add_f64 v[18:19], v[38:39], v[18:19]
	v_fma_f64 v[36:37], v[8:9], v[48:49], -v[36:37]
	v_mul_f64 v[8:9], v[8:9], v[50:51]
	v_add_f64 v[36:37], v[4:5], v[36:37]
	v_fma_f64 v[8:9], v[10:11], v[48:49], v[8:9]
	v_add_f64 v[38:39], v[8:9], v[6:7]
	ds_read_b128 v[4:7], v31 offset:8256
	s_waitcnt lgkmcnt(0)
	v_mul_f64 v[8:9], v[6:7], v[22:23]
	v_mul_f64 v[10:11], v[4:5], v[22:23]
	v_fma_f64 v[8:9], v[4:5], v[20:21], -v[8:9]
	v_fma_f64 v[10:11], v[6:7], v[20:21], v[10:11]
	v_add_f64 v[20:21], v[12:13], v[8:9]
	v_mul_f64 v[8:9], v[6:7], v[50:51]
	v_add_f64 v[22:23], v[10:11], v[14:15]
	v_fma_f64 v[8:9], v[4:5], v[48:49], -v[8:9]
	v_mul_f64 v[4:5], v[4:5], v[50:51]
	v_add_f64 v[12:13], v[28:29], v[8:9]
	v_fma_f64 v[4:5], v[6:7], v[48:49], v[4:5]
	ds_read_b128 v[52:55], v31 offset:80
	ds_read_b128 v[8:11], v0 offset:2560
	s_waitcnt lgkmcnt(0)
	v_mul_f64 v[6:7], v[52:53], v[10:11]
	v_add_f64 v[14:15], v[4:5], v[34:35]
	v_mul_f64 v[4:5], v[54:55], v[10:11]
	v_fma_f64 v[6:7], v[54:55], v[8:9], v[6:7]
	v_fma_f64 v[4:5], v[52:53], v[8:9], -v[4:5]
	v_add_f64 v[50:51], v[6:7], v[18:19]
	v_add_f64 v[48:49], v[16:17], v[4:5]
	ds_read_b128 v[4:7], v0 offset:2816
	s_waitcnt lgkmcnt(0)
	v_mul_f64 v[16:17], v[54:55], v[6:7]
	v_mul_f64 v[18:19], v[52:53], v[6:7]
	v_fma_f64 v[16:17], v[52:53], v[4:5], -v[16:17]
	v_fma_f64 v[18:19], v[54:55], v[4:5], v[18:19]
	ds_read_b128 v[52:55], v31 offset:8272
	s_waitcnt lgkmcnt(0)
	v_mul_f64 v[28:29], v[54:55], v[10:11]
	v_mul_f64 v[10:11], v[52:53], v[10:11]
	v_add_f64 v[16:17], v[36:37], v[16:17]
	v_add_f64 v[18:19], v[18:19], v[38:39]
	v_fma_f64 v[28:29], v[52:53], v[8:9], -v[28:29]
	v_fma_f64 v[10:11], v[54:55], v[8:9], v[10:11]
	v_add_f64 v[8:9], v[20:21], v[28:29]
	v_mul_f64 v[20:21], v[54:55], v[6:7]
	v_mul_f64 v[6:7], v[52:53], v[6:7]
	v_add_f64 v[10:11], v[10:11], v[22:23]
	v_fma_f64 v[20:21], v[52:53], v[4:5], -v[20:21]
	v_fma_f64 v[4:5], v[54:55], v[4:5], v[6:7]
	v_add_f64 v[28:29], v[12:13], v[20:21]
	v_add_f64 v[34:35], v[4:5], v[14:15]
	ds_read_b128 v[12:15], v31 offset:96
	ds_read_b128 v[20:23], v0 offset:3072
	s_waitcnt lgkmcnt(0)
	v_mul_f64 v[4:5], v[14:15], v[22:23]
	v_mul_f64 v[6:7], v[12:13], v[22:23]
	v_fma_f64 v[4:5], v[12:13], v[20:21], -v[4:5]
	v_fma_f64 v[6:7], v[14:15], v[20:21], v[6:7]
	v_add_f64 v[4:5], v[48:49], v[4:5]
	v_add_f64 v[6:7], v[6:7], v[50:51]
	ds_read_b128 v[48:51], v0 offset:3328
	s_waitcnt lgkmcnt(0)
	v_mul_f64 v[36:37], v[14:15], v[50:51]
	v_fma_f64 v[36:37], v[12:13], v[48:49], -v[36:37]
	v_mul_f64 v[12:13], v[12:13], v[50:51]
	v_add_f64 v[36:37], v[16:17], v[36:37]
	v_fma_f64 v[12:13], v[14:15], v[48:49], v[12:13]
	v_add_f64 v[38:39], v[12:13], v[18:19]
	ds_read_b128 v[12:15], v31 offset:8288
	s_waitcnt lgkmcnt(0)
	v_mul_f64 v[16:17], v[14:15], v[22:23]
	v_mul_f64 v[18:19], v[12:13], v[22:23]
	v_fma_f64 v[16:17], v[12:13], v[20:21], -v[16:17]
	v_fma_f64 v[18:19], v[14:15], v[20:21], v[18:19]
	v_add_f64 v[20:21], v[8:9], v[16:17]
	v_add_f64 v[22:23], v[18:19], v[10:11]
	v_mul_f64 v[8:9], v[14:15], v[50:51]
	v_mul_f64 v[10:11], v[12:13], v[50:51]
	v_fma_f64 v[8:9], v[12:13], v[48:49], -v[8:9]
	v_fma_f64 v[10:11], v[14:15], v[48:49], v[10:11]
	v_add_f64 v[12:13], v[28:29], v[8:9]
	v_add_f64 v[14:15], v[10:11], v[34:35]
	ds_read_b128 v[16:19], v31 offset:112
	ds_read_b128 v[8:11], v0 offset:3584
	ds_read_b128 v[52:55], v31 offset:8304
	s_waitcnt lgkmcnt(1)
	v_mul_f64 v[28:29], v[18:19], v[10:11]
	v_mul_f64 v[34:35], v[16:17], v[10:11]
	v_fma_f64 v[28:29], v[16:17], v[8:9], -v[28:29]
	v_fma_f64 v[34:35], v[18:19], v[8:9], v[34:35]
	v_add_f64 v[48:49], v[4:5], v[28:29]
	v_add_f64 v[50:51], v[34:35], v[6:7]
	ds_read_b128 v[4:7], v0 offset:3840
	s_waitcnt lgkmcnt(0)
	v_mul_f64 v[28:29], v[18:19], v[6:7]
	v_fma_f64 v[28:29], v[16:17], v[4:5], -v[28:29]
	v_mul_f64 v[16:17], v[16:17], v[6:7]
	v_fma_f64 v[18:19], v[18:19], v[4:5], v[16:17]
	v_add_f64 v[16:17], v[36:37], v[28:29]
	v_mul_f64 v[28:29], v[54:55], v[10:11]
	v_mul_f64 v[10:11], v[52:53], v[10:11]
	v_add_f64 v[18:19], v[18:19], v[38:39]
	v_fma_f64 v[28:29], v[52:53], v[8:9], -v[28:29]
	v_fma_f64 v[10:11], v[54:55], v[8:9], v[10:11]
	v_add_f64 v[8:9], v[20:21], v[28:29]
	v_mul_f64 v[20:21], v[54:55], v[6:7]
	v_mul_f64 v[6:7], v[52:53], v[6:7]
	v_add_f64 v[10:11], v[10:11], v[22:23]
	v_fma_f64 v[20:21], v[52:53], v[4:5], -v[20:21]
	v_fma_f64 v[4:5], v[54:55], v[4:5], v[6:7]
	v_add_f64 v[28:29], v[12:13], v[20:21]
	v_add_f64 v[34:35], v[4:5], v[14:15]
	ds_read_b128 v[12:15], v31 offset:128
	ds_read_b128 v[20:23], v0 offset:4096
	s_waitcnt lgkmcnt(0)
	v_mul_f64 v[4:5], v[14:15], v[22:23]
	v_mul_f64 v[6:7], v[12:13], v[22:23]
	v_fma_f64 v[4:5], v[12:13], v[20:21], -v[4:5]
	v_fma_f64 v[6:7], v[14:15], v[20:21], v[6:7]
	v_add_f64 v[4:5], v[48:49], v[4:5]
	v_add_f64 v[6:7], v[6:7], v[50:51]
	ds_read_b128 v[48:51], v0 offset:4352
	s_waitcnt lgkmcnt(0)
	v_mul_f64 v[36:37], v[14:15], v[50:51]
	v_fma_f64 v[36:37], v[12:13], v[48:49], -v[36:37]
	v_mul_f64 v[12:13], v[12:13], v[50:51]
	v_add_f64 v[36:37], v[16:17], v[36:37]
	v_fma_f64 v[12:13], v[14:15], v[48:49], v[12:13]
	v_add_f64 v[38:39], v[12:13], v[18:19]
	ds_read_b128 v[12:15], v31 offset:8320
	s_waitcnt lgkmcnt(0)
	v_mul_f64 v[16:17], v[14:15], v[22:23]
	v_mul_f64 v[18:19], v[12:13], v[22:23]
	v_fma_f64 v[16:17], v[12:13], v[20:21], -v[16:17]
	v_fma_f64 v[18:19], v[14:15], v[20:21], v[18:19]
	v_add_f64 v[20:21], v[8:9], v[16:17]
	v_add_f64 v[22:23], v[18:19], v[10:11]
	v_mul_f64 v[8:9], v[14:15], v[50:51]
	v_mul_f64 v[10:11], v[12:13], v[50:51]
	v_fma_f64 v[8:9], v[12:13], v[48:49], -v[8:9]
	v_fma_f64 v[10:11], v[14:15], v[48:49], v[10:11]
	v_add_f64 v[12:13], v[28:29], v[8:9]
	v_add_f64 v[14:15], v[10:11], v[34:35]
	ds_read_b128 v[16:19], v31 offset:144
	ds_read_b128 v[8:11], v0 offset:4608
	ds_read_b128 v[52:55], v31 offset:8336
	s_waitcnt lgkmcnt(1)
	v_mul_f64 v[28:29], v[18:19], v[10:11]
	v_mul_f64 v[34:35], v[16:17], v[10:11]
	v_fma_f64 v[28:29], v[16:17], v[8:9], -v[28:29]
	v_fma_f64 v[34:35], v[18:19], v[8:9], v[34:35]
	v_add_f64 v[48:49], v[4:5], v[28:29]
	v_add_f64 v[50:51], v[34:35], v[6:7]
	ds_read_b128 v[4:7], v0 offset:4864
	s_waitcnt lgkmcnt(0)
	v_mul_f64 v[28:29], v[18:19], v[6:7]
	v_fma_f64 v[28:29], v[16:17], v[4:5], -v[28:29]
	v_mul_f64 v[16:17], v[16:17], v[6:7]
	v_fma_f64 v[18:19], v[18:19], v[4:5], v[16:17]
	v_add_f64 v[16:17], v[36:37], v[28:29]
	v_mul_f64 v[28:29], v[54:55], v[10:11]
	v_mul_f64 v[10:11], v[52:53], v[10:11]
	;; [unrolled: 61-line block ×11, first 2 shown]
	v_add_f64 v[22:23], v[22:23], v[38:39]
	v_fma_f64 v[28:29], v[52:53], v[8:9], -v[28:29]
	v_fma_f64 v[8:9], v[54:55], v[8:9], v[10:11]
	v_add_f64 v[28:29], v[16:17], v[28:29]
	v_add_f64 v[34:35], v[8:9], v[18:19]
	v_mul_f64 v[8:9], v[54:55], v[6:7]
	v_mul_f64 v[6:7], v[52:53], v[6:7]
	v_fma_f64 v[8:9], v[52:53], v[4:5], -v[8:9]
	v_fma_f64 v[4:5], v[54:55], v[4:5], v[6:7]
	v_add_f64 v[36:37], v[12:13], v[8:9]
	v_add_f64 v[38:39], v[4:5], v[14:15]
	ds_read_b128 v[8:11], v31 offset:448
	ds_read_b128 v[12:15], v0 offset:14336
	;; [unrolled: 1-line block ×3, first 2 shown]
	s_waitcnt lgkmcnt(1)
	v_mul_f64 v[4:5], v[10:11], v[14:15]
	v_mul_f64 v[6:7], v[8:9], v[14:15]
	v_fma_f64 v[4:5], v[8:9], v[12:13], -v[4:5]
	v_fma_f64 v[6:7], v[10:11], v[12:13], v[6:7]
	v_add_f64 v[4:5], v[48:49], v[4:5]
	s_waitcnt lgkmcnt(0)
	v_mul_f64 v[48:49], v[10:11], v[18:19]
	v_add_f64 v[6:7], v[6:7], v[50:51]
	v_fma_f64 v[48:49], v[8:9], v[16:17], -v[48:49]
	v_mul_f64 v[8:9], v[8:9], v[18:19]
	v_add_f64 v[20:21], v[20:21], v[48:49]
	v_fma_f64 v[8:9], v[10:11], v[16:17], v[8:9]
	v_add_f64 v[22:23], v[8:9], v[22:23]
	ds_read_b128 v[8:11], v31 offset:8640
	s_waitcnt lgkmcnt(0)
	v_mul_f64 v[48:49], v[10:11], v[14:15]
	v_mul_f64 v[14:15], v[8:9], v[14:15]
	v_fma_f64 v[48:49], v[8:9], v[12:13], -v[48:49]
	v_fma_f64 v[12:13], v[10:11], v[12:13], v[14:15]
	v_add_f64 v[48:49], v[28:29], v[48:49]
	v_add_f64 v[50:51], v[12:13], v[34:35]
	v_mul_f64 v[12:13], v[10:11], v[18:19]
	v_fma_f64 v[12:13], v[8:9], v[16:17], -v[12:13]
	v_mul_f64 v[8:9], v[8:9], v[18:19]
	v_fma_f64 v[8:9], v[10:11], v[16:17], v[8:9]
	v_add_f64 v[16:17], v[36:37], v[12:13]
	v_add_f64 v[18:19], v[8:9], v[38:39]
	ds_read_b128 v[12:15], v31 offset:464
	ds_read_b128 v[8:11], v0 offset:14848
	s_waitcnt lgkmcnt(0)
	v_mul_f64 v[28:29], v[14:15], v[10:11]
	v_mul_f64 v[34:35], v[12:13], v[10:11]
	v_fma_f64 v[28:29], v[12:13], v[8:9], -v[28:29]
	v_fma_f64 v[34:35], v[14:15], v[8:9], v[34:35]
	v_add_f64 v[52:53], v[4:5], v[28:29]
	v_add_f64 v[54:55], v[34:35], v[6:7]
	ds_read_b128 v[4:7], v0 offset:15104
	s_waitcnt lgkmcnt(0)
	v_mul_f64 v[28:29], v[14:15], v[6:7]
	v_fma_f64 v[28:29], v[12:13], v[4:5], -v[28:29]
	v_mul_f64 v[12:13], v[12:13], v[6:7]
	v_add_f64 v[20:21], v[20:21], v[28:29]
	v_fma_f64 v[12:13], v[14:15], v[4:5], v[12:13]
	v_add_f64 v[22:23], v[12:13], v[22:23]
	ds_read_b128 v[12:15], v31 offset:8656
	s_waitcnt lgkmcnt(0)
	v_mul_f64 v[28:29], v[14:15], v[10:11]
	v_mul_f64 v[10:11], v[12:13], v[10:11]
	v_fma_f64 v[28:29], v[12:13], v[8:9], -v[28:29]
	v_fma_f64 v[10:11], v[14:15], v[8:9], v[10:11]
	v_add_f64 v[8:9], v[48:49], v[28:29]
	v_mul_f64 v[28:29], v[14:15], v[6:7]
	v_mul_f64 v[6:7], v[12:13], v[6:7]
	v_add_f64 v[10:11], v[10:11], v[50:51]
	v_fma_f64 v[28:29], v[12:13], v[4:5], -v[28:29]
	v_fma_f64 v[4:5], v[14:15], v[4:5], v[6:7]
	v_add_f64 v[28:29], v[16:17], v[28:29]
	v_add_f64 v[34:35], v[4:5], v[18:19]
	ds_read_b128 v[12:15], v31 offset:480
	ds_read_b128 v[16:19], v0 offset:15360
	;; [unrolled: 1-line block ×3, first 2 shown]
	s_waitcnt lgkmcnt(1)
	v_mul_f64 v[4:5], v[14:15], v[18:19]
	s_waitcnt lgkmcnt(0)
	v_mul_f64 v[36:37], v[14:15], v[50:51]
	v_mul_f64 v[6:7], v[12:13], v[18:19]
	v_fma_f64 v[4:5], v[12:13], v[16:17], -v[4:5]
	v_fma_f64 v[36:37], v[12:13], v[48:49], -v[36:37]
	v_mul_f64 v[12:13], v[12:13], v[50:51]
	v_fma_f64 v[6:7], v[14:15], v[16:17], v[6:7]
	v_add_f64 v[4:5], v[52:53], v[4:5]
	v_add_f64 v[36:37], v[20:21], v[36:37]
	v_fma_f64 v[12:13], v[14:15], v[48:49], v[12:13]
	v_add_f64 v[6:7], v[6:7], v[54:55]
	v_add_f64 v[38:39], v[12:13], v[22:23]
	ds_read_b128 v[12:15], v31 offset:8672
	s_waitcnt lgkmcnt(0)
	v_mul_f64 v[20:21], v[14:15], v[18:19]
	v_mul_f64 v[18:19], v[12:13], v[18:19]
	v_fma_f64 v[20:21], v[12:13], v[16:17], -v[20:21]
	v_fma_f64 v[16:17], v[14:15], v[16:17], v[18:19]
	v_add_f64 v[52:53], v[8:9], v[20:21]
	v_add_f64 v[54:55], v[16:17], v[10:11]
	v_mul_f64 v[8:9], v[14:15], v[50:51]
	v_mul_f64 v[10:11], v[12:13], v[50:51]
	v_fma_f64 v[8:9], v[12:13], v[48:49], -v[8:9]
	v_fma_f64 v[10:11], v[14:15], v[48:49], v[10:11]
	v_add_f64 v[20:21], v[28:29], v[8:9]
	v_add_f64 v[22:23], v[10:11], v[34:35]
	ds_read_b128 v[12:15], v31 offset:496
	ds_read_b128 v[8:11], v0 offset:15872
	s_waitcnt lgkmcnt(0)
	v_mul_f64 v[16:17], v[14:15], v[10:11]
	v_mul_f64 v[18:19], v[12:13], v[10:11]
	v_fma_f64 v[16:17], v[12:13], v[8:9], -v[16:17]
	v_fma_f64 v[18:19], v[14:15], v[8:9], v[18:19]
	v_add_f64 v[48:49], v[4:5], v[16:17]
	v_add_f64 v[50:51], v[18:19], v[6:7]
	ds_read_b128 v[4:7], v0 offset:16128
	s_waitcnt lgkmcnt(0)
	v_mul_f64 v[16:17], v[14:15], v[6:7]
	v_fma_f64 v[16:17], v[12:13], v[4:5], -v[16:17]
	v_mul_f64 v[12:13], v[12:13], v[6:7]
	v_add_f64 v[16:17], v[36:37], v[16:17]
	v_fma_f64 v[12:13], v[14:15], v[4:5], v[12:13]
	v_add_f64 v[18:19], v[12:13], v[38:39]
	ds_read_b128 v[12:15], v31 offset:8688
	s_waitcnt lgkmcnt(0)
	s_barrier
	v_mul_f64 v[28:29], v[14:15], v[10:11]
	v_mul_f64 v[10:11], v[12:13], v[10:11]
	v_fma_f64 v[28:29], v[12:13], v[8:9], -v[28:29]
	v_fma_f64 v[8:9], v[14:15], v[8:9], v[10:11]
	v_add_f64 v[52:53], v[52:53], v[28:29]
	v_add_f64 v[54:55], v[8:9], v[54:55]
	v_mul_f64 v[8:9], v[14:15], v[6:7]
	v_mul_f64 v[6:7], v[12:13], v[6:7]
	v_fma_f64 v[8:9], v[12:13], v[4:5], -v[8:9]
	v_fma_f64 v[4:5], v[14:15], v[4:5], v[6:7]
	v_add_f64 v[14:15], v[20:21], v[8:9]
	v_add_f64 v[12:13], v[4:5], v[22:23]
	s_cbranch_scc1 .LBB116_56
.LBB116_7:                              ;   Parent Loop BB116_4 Depth=1
                                        ; =>  This Inner Loop Header: Depth=2
	buffer_load_dword v5, off, s[56:59], 0  ; 4-byte Folded Reload
	v_mov_b32_e32 v4, s27
	v_add_co_u32_e64 v8, s[10:11], s26, v26
	v_addc_co_u32_e64 v9, s[10:11], v27, v4, s[10:11]
	v_mov_b32_e32 v4, s21
	v_cmp_le_i64_e64 s[12:13], s[40:41], v[8:9]
	v_cmp_eq_u64_e64 s[16:17], s[26:27], v[32:33]
	s_and_b64 s[44:45], s[34:35], s[16:17]
	s_waitcnt vmcnt(0)
	v_add_co_u32_e64 v6, s[10:11], s20, v5
	buffer_load_dword v5, off, s[56:59], 0 offset:4 ; 4-byte Folded Reload
	s_waitcnt vmcnt(0)
	v_addc_co_u32_e64 v7, s[10:11], v5, v4, s[10:11]
	v_cmp_lt_i64_e64 s[10:11], v[8:9], v[24:25]
	s_or_b64 s[16:17], s[12:13], s[10:11]
	s_or_b64 s[16:17], s[16:17], s[44:45]
	s_nor_b64 s[16:17], s[0:1], s[16:17]
	s_and_saveexec_b64 s[18:19], s[16:17]
	s_xor_b64 s[16:17], exec, s[18:19]
	s_cbranch_execz .LBB116_9
; %bb.8:                                ;   in Loop: Header=BB116_7 Depth=2
	global_load_dwordx4 v[20:23], v[6:7], off
	s_waitcnt vmcnt(0)
	v_xor_b32_e32 v23, 0x80000000, v23
	ds_write_b128 v30, v[20:23]
.LBB116_9:                              ;   in Loop: Header=BB116_7 Depth=2
	s_or_saveexec_b64 s[16:17], s[16:17]
	s_xor_b64 s[38:39], s[44:45], -1
	s_xor_b64 exec, exec, s[16:17]
	s_cbranch_execz .LBB116_15
; %bb.10:                               ;   in Loop: Header=BB116_7 Depth=2
	s_and_saveexec_b64 s[18:19], s[38:39]
	s_xor_b64 s[18:19], exec, s[18:19]
; %bb.11:                               ;   in Loop: Header=BB116_7 Depth=2
	v_mov_b32_e32 v20, v2
	v_mov_b32_e32 v21, v2
	v_mov_b32_e32 v22, v2
	v_mov_b32_e32 v23, v2
	ds_write_b128 v30, v[20:23]
; %bb.12:                               ;   in Loop: Header=BB116_7 Depth=2
	s_andn2_saveexec_b64 s[18:19], s[18:19]
; %bb.13:                               ;   in Loop: Header=BB116_7 Depth=2
	v_mov_b32_e32 v4, v2
	v_mov_b32_e32 v5, v2
	ds_write_b128 v30, v[2:5]
; %bb.14:                               ;   in Loop: Header=BB116_7 Depth=2
	s_or_b64 exec, exec, s[18:19]
.LBB116_15:                             ;   in Loop: Header=BB116_7 Depth=2
	s_or_b64 exec, exec, s[16:17]
	buffer_load_dword v4, off, s[56:59], 0 offset:16 ; 4-byte Folded Reload
	buffer_load_dword v5, off, s[56:59], 0 offset:20 ; 4-byte Folded Reload
	s_waitcnt vmcnt(0)
	v_cmp_eq_u64_e64 s[16:17], s[26:27], v[4:5]
	buffer_load_dword v4, off, s[56:59], 0 offset:8 ; 4-byte Folded Reload
	buffer_load_dword v5, off, s[56:59], 0 offset:12 ; 4-byte Folded Reload
	s_and_b64 s[16:17], s[34:35], s[16:17]
	s_waitcnt vmcnt(0)
	v_cmp_gt_i64_e64 s[18:19], v[4:5], v[8:9]
	s_or_b64 s[12:13], s[12:13], s[18:19]
	s_or_b64 s[12:13], s[12:13], s[16:17]
	s_nor_b64 s[12:13], s[2:3], s[12:13]
	s_and_saveexec_b64 s[18:19], s[12:13]
	s_xor_b64 s[18:19], exec, s[18:19]
	s_cbranch_execz .LBB116_17
; %bb.16:                               ;   in Loop: Header=BB116_7 Depth=2
	buffer_load_dword v10, off, s[56:59], 0 offset:24 ; 4-byte Folded Reload
	v_mov_b32_e32 v5, s21
	v_add_co_u32_e64 v4, s[12:13], s20, v43
	s_waitcnt vmcnt(0)
	v_addc_co_u32_e64 v5, s[12:13], v10, v5, s[12:13]
	global_load_dwordx4 v[20:23], v[4:5], off
	s_waitcnt vmcnt(0)
	v_xor_b32_e32 v23, 0x80000000, v23
	ds_write_b128 v30, v[20:23] offset:256
.LBB116_17:                             ;   in Loop: Header=BB116_7 Depth=2
	s_andn2_saveexec_b64 s[12:13], s[18:19]
	s_cbranch_execz .LBB116_23
; %bb.18:                               ;   in Loop: Header=BB116_7 Depth=2
	s_xor_b64 s[16:17], s[16:17], -1
	s_and_saveexec_b64 s[18:19], s[16:17]
	s_xor_b64 s[16:17], exec, s[18:19]
; %bb.19:                               ;   in Loop: Header=BB116_7 Depth=2
	v_mov_b32_e32 v20, v2
	v_mov_b32_e32 v21, v2
	;; [unrolled: 1-line block ×4, first 2 shown]
	ds_write_b128 v30, v[20:23] offset:256
; %bb.20:                               ;   in Loop: Header=BB116_7 Depth=2
	s_andn2_saveexec_b64 s[16:17], s[16:17]
; %bb.21:                               ;   in Loop: Header=BB116_7 Depth=2
	v_mov_b32_e32 v4, v2
	v_mov_b32_e32 v5, v2
	ds_write_b128 v30, v[2:5] offset:256
; %bb.22:                               ;   in Loop: Header=BB116_7 Depth=2
	s_or_b64 exec, exec, s[16:17]
.LBB116_23:                             ;   in Loop: Header=BB116_7 Depth=2
	s_or_b64 exec, exec, s[12:13]
	v_add_co_u32_e64 v4, s[12:13], 16, v8
	v_addc_co_u32_e64 v5, s[12:13], 0, v9, s[12:13]
	v_cmp_le_i64_e64 s[12:13], s[40:41], v[4:5]
	v_cmp_eq_u64_e64 s[16:17], s[26:27], v[40:41]
	v_cmp_lt_i64_e64 s[18:19], v[4:5], v[24:25]
	s_and_b64 s[50:51], s[34:35], s[16:17]
	s_or_b64 s[16:17], s[12:13], s[18:19]
	s_or_b64 s[16:17], s[16:17], s[50:51]
	s_nor_b64 s[16:17], s[0:1], s[16:17]
	s_and_saveexec_b64 s[18:19], s[16:17]
	s_xor_b64 s[16:17], exec, s[18:19]
	s_cbranch_execz .LBB116_25
; %bb.24:                               ;   in Loop: Header=BB116_7 Depth=2
	global_load_dwordx4 v[4:7], v[6:7], off offset:256
	s_waitcnt vmcnt(0)
	v_xor_b32_e32 v7, 0x80000000, v7
	ds_write_b128 v30, v[4:7] offset:8192
.LBB116_25:                             ;   in Loop: Header=BB116_7 Depth=2
	s_andn2_saveexec_b64 s[16:17], s[16:17]
	s_cbranch_execz .LBB116_31
; %bb.26:                               ;   in Loop: Header=BB116_7 Depth=2
	s_xor_b64 s[18:19], s[50:51], -1
	s_and_saveexec_b64 s[50:51], s[18:19]
	s_xor_b64 s[18:19], exec, s[50:51]
; %bb.27:                               ;   in Loop: Header=BB116_7 Depth=2
	v_mov_b32_e32 v4, v2
	v_mov_b32_e32 v5, v2
	;; [unrolled: 1-line block ×4, first 2 shown]
	ds_write_b128 v30, v[4:7] offset:8192
; %bb.28:                               ;   in Loop: Header=BB116_7 Depth=2
	s_andn2_saveexec_b64 s[18:19], s[18:19]
; %bb.29:                               ;   in Loop: Header=BB116_7 Depth=2
	v_mov_b32_e32 v4, v2
	v_mov_b32_e32 v5, v2
	ds_write_b128 v30, v[2:5] offset:8192
; %bb.30:                               ;   in Loop: Header=BB116_7 Depth=2
	s_or_b64 exec, exec, s[18:19]
.LBB116_31:                             ;   in Loop: Header=BB116_7 Depth=2
	s_or_b64 exec, exec, s[16:17]
	s_or_b64 s[10:11], s[12:13], s[10:11]
	s_or_b64 s[10:11], s[10:11], s[44:45]
	s_nor_b64 s[10:11], s[2:3], s[10:11]
	s_and_saveexec_b64 s[12:13], s[10:11]
	s_xor_b64 s[12:13], exec, s[12:13]
	s_cbranch_execz .LBB116_33
; %bb.32:                               ;   in Loop: Header=BB116_7 Depth=2
	buffer_load_dword v6, off, s[56:59], 0 offset:24 ; 4-byte Folded Reload
	v_mov_b32_e32 v5, s21
	v_add_co_u32_e64 v4, s[10:11], s20, v43
	s_waitcnt vmcnt(0)
	v_addc_co_u32_e64 v5, s[10:11], v6, v5, s[10:11]
	global_load_dwordx4 v[4:7], v[4:5], off offset:256
	s_waitcnt vmcnt(0)
	v_xor_b32_e32 v7, 0x80000000, v7
	ds_write_b128 v30, v[4:7] offset:8448
.LBB116_33:                             ;   in Loop: Header=BB116_7 Depth=2
	s_andn2_saveexec_b64 s[10:11], s[12:13]
	s_cbranch_execz .LBB116_39
; %bb.34:                               ;   in Loop: Header=BB116_7 Depth=2
	s_and_saveexec_b64 s[12:13], s[38:39]
	s_xor_b64 s[12:13], exec, s[12:13]
; %bb.35:                               ;   in Loop: Header=BB116_7 Depth=2
	v_mov_b32_e32 v4, v2
	v_mov_b32_e32 v5, v2
	;; [unrolled: 1-line block ×4, first 2 shown]
	ds_write_b128 v30, v[4:7] offset:8448
; %bb.36:                               ;   in Loop: Header=BB116_7 Depth=2
	s_andn2_saveexec_b64 s[12:13], s[12:13]
; %bb.37:                               ;   in Loop: Header=BB116_7 Depth=2
	v_mov_b32_e32 v4, v2
	v_mov_b32_e32 v5, v2
	ds_write_b128 v30, v[2:5] offset:8448
; %bb.38:                               ;   in Loop: Header=BB116_7 Depth=2
	s_or_b64 exec, exec, s[12:13]
.LBB116_39:                             ;   in Loop: Header=BB116_7 Depth=2
	s_or_b64 exec, exec, s[10:11]
	v_mov_b32_e32 v5, s27
	v_add_co_u32_e64 v4, s[10:11], s26, v24
	v_addc_co_u32_e64 v5, s[10:11], v25, v5, s[10:11]
	v_cmp_gt_i64_e64 s[10:11], s[40:41], v[4:5]
	s_and_b64 s[12:13], vcc, s[10:11]
	s_xor_b64 s[12:13], s[12:13], -1
	s_and_saveexec_b64 s[16:17], s[12:13]
	s_xor_b64 s[12:13], exec, s[16:17]
; %bb.40:                               ;   in Loop: Header=BB116_7 Depth=2
	v_mov_b32_e32 v6, v2
	v_mov_b32_e32 v7, v2
	;; [unrolled: 1-line block ×4, first 2 shown]
	ds_write_b128 v42, v[6:9]
; %bb.41:                               ;   in Loop: Header=BB116_7 Depth=2
	s_or_saveexec_b64 s[16:17], s[12:13]
	v_mov_b32_e32 v7, s21
	v_add_co_u32_e64 v6, s[12:13], s20, v44
	v_addc_co_u32_e64 v7, s[12:13], v45, v7, s[12:13]
	s_xor_b64 exec, exec, s[16:17]
	s_cbranch_execz .LBB116_43
; %bb.42:                               ;   in Loop: Header=BB116_7 Depth=2
	global_load_dwordx4 v[8:11], v[6:7], off offset:-256
	s_waitcnt vmcnt(0)
	ds_write2_b64 v42, v[8:9], v[10:11] offset1:1
.LBB116_43:                             ;   in Loop: Header=BB116_7 Depth=2
	s_or_b64 exec, exec, s[16:17]
	v_cmp_gt_i64_e64 s[12:13], s[42:43], v[4:5]
	s_and_b64 s[16:17], vcc, s[12:13]
	s_xor_b64 s[16:17], s[16:17], -1
	s_and_saveexec_b64 s[18:19], s[16:17]
	s_xor_b64 s[16:17], exec, s[18:19]
; %bb.44:                               ;   in Loop: Header=BB116_7 Depth=2
	v_mov_b32_e32 v4, v2
	v_mov_b32_e32 v5, v2
	;; [unrolled: 1-line block ×4, first 2 shown]
	ds_write_b128 v42, v[4:7] offset:256
                                        ; implicit-def: $vgpr6_vgpr7
; %bb.45:                               ;   in Loop: Header=BB116_7 Depth=2
	s_andn2_saveexec_b64 s[16:17], s[16:17]
	s_cbranch_execz .LBB116_47
; %bb.46:                               ;   in Loop: Header=BB116_7 Depth=2
	global_load_dwordx4 v[4:7], v[6:7], off
	v_add_u32_e32 v8, 0x100, v42
	s_waitcnt vmcnt(0)
	ds_write2_b64 v8, v[4:5], v[6:7] offset1:1
.LBB116_47:                             ;   in Loop: Header=BB116_7 Depth=2
	s_or_b64 exec, exec, s[16:17]
	s_and_b64 s[10:11], s[8:9], s[10:11]
	s_xor_b64 s[10:11], s[10:11], -1
	s_and_saveexec_b64 s[16:17], s[10:11]
	s_xor_b64 s[10:11], exec, s[16:17]
; %bb.48:                               ;   in Loop: Header=BB116_7 Depth=2
	v_mov_b32_e32 v4, v2
	v_mov_b32_e32 v5, v2
	;; [unrolled: 1-line block ×4, first 2 shown]
	ds_write_b128 v42, v[4:7] offset:8192
; %bb.49:                               ;   in Loop: Header=BB116_7 Depth=2
	s_or_saveexec_b64 s[16:17], s[10:11]
	v_mov_b32_e32 v5, s21
	v_add_co_u32_e64 v4, s[10:11], s20, v46
	v_addc_co_u32_e64 v5, s[10:11], v47, v5, s[10:11]
	s_xor_b64 exec, exec, s[16:17]
	s_cbranch_execz .LBB116_51
; %bb.50:                               ;   in Loop: Header=BB116_7 Depth=2
	global_load_dwordx4 v[6:9], v[4:5], off offset:-256
	v_add_u32_e32 v10, 0x2000, v42
	s_waitcnt vmcnt(0)
	ds_write2_b64 v10, v[6:7], v[8:9] offset1:1
.LBB116_51:                             ;   in Loop: Header=BB116_7 Depth=2
	s_or_b64 exec, exec, s[16:17]
	s_and_b64 s[10:11], s[8:9], s[12:13]
	s_xor_b64 s[10:11], s[10:11], -1
	s_and_saveexec_b64 s[12:13], s[10:11]
	s_xor_b64 s[10:11], exec, s[12:13]
; %bb.52:                               ;   in Loop: Header=BB116_7 Depth=2
	v_mov_b32_e32 v4, v2
	v_mov_b32_e32 v5, v2
	;; [unrolled: 1-line block ×4, first 2 shown]
	ds_write_b128 v42, v[4:7] offset:8448
                                        ; implicit-def: $vgpr4_vgpr5
; %bb.53:                               ;   in Loop: Header=BB116_7 Depth=2
	s_andn2_saveexec_b64 s[10:11], s[10:11]
	s_cbranch_execz .LBB116_6
; %bb.54:                               ;   in Loop: Header=BB116_7 Depth=2
	global_load_dwordx4 v[4:7], v[4:5], off
	v_add_u32_e32 v8, 0x2100, v42
	s_waitcnt vmcnt(0)
	ds_write2_b64 v8, v[4:5], v[6:7] offset1:1
	s_branch .LBB116_6
.LBB116_55:                             ;   in Loop: Header=BB116_4 Depth=1
	v_mov_b32_e32 v48, 0
	v_mov_b32_e32 v50, 0
	;; [unrolled: 1-line block ×16, first 2 shown]
	buffer_store_dword v20, off, s[56:59], 0 offset:32 ; 4-byte Folded Spill
	s_nop 0
	buffer_store_dword v21, off, s[56:59], 0 offset:36 ; 4-byte Folded Spill
.LBB116_56:                             ;   in Loop: Header=BB116_4 Depth=1
	buffer_load_dword v7, off, s[56:59], 0 offset:28 ; 4-byte Folded Reload
	v_mul_lo_u32 v1, s48, v1
	s_waitcnt vmcnt(0)
	v_mul_lo_u32 v6, s49, v7
	v_mad_u64_u32 v[4:5], s[8:9], s48, v7, 0
	v_cmp_gt_i32_e32 vcc, s46, v7
	v_add3_u32 v5, v5, v1, v6
	v_lshlrev_b64 v[4:5], 4, v[4:5]
	v_mov_b32_e32 v6, s53
	v_add_co_u32_e64 v1, s[8:9], s52, v4
	v_addc_co_u32_e64 v4, s[8:9], v6, v5, s[8:9]
	s_and_b64 s[8:9], s[4:5], vcc
	s_and_saveexec_b64 s[10:11], s[8:9]
	s_cbranch_execz .LBB116_58
; %bb.57:                               ;   in Loop: Header=BB116_4 Depth=1
	v_lshlrev_b64 v[5:6], 4, v[24:25]
	v_mul_f64 v[20:21], s[30:31], v[50:51]
	v_add_co_u32_e64 v9, s[8:9], v1, v5
	v_addc_co_u32_e64 v10, s[8:9], v4, v6, s[8:9]
	global_load_dwordx4 v[5:8], v[9:10], off
	v_mul_f64 v[22:23], s[28:29], v[50:51]
	v_fma_f64 v[20:21], s[28:29], v[48:49], -v[20:21]
	v_fma_f64 v[22:23], s[30:31], v[48:49], v[22:23]
	s_waitcnt vmcnt(0)
	v_add_f64 v[5:6], v[5:6], v[20:21]
	v_add_f64 v[7:8], v[22:23], v[7:8]
	global_store_dwordx4 v[9:10], v[5:8], off
.LBB116_58:                             ;   in Loop: Header=BB116_4 Depth=1
	s_or_b64 exec, exec, s[10:11]
	s_and_b64 s[10:11], s[14:15], vcc
	s_and_saveexec_b64 s[8:9], s[10:11]
	s_cbranch_execz .LBB116_60
; %bb.59:                               ;   in Loop: Header=BB116_4 Depth=1
	buffer_load_dword v5, off, s[56:59], 0 offset:44 ; 4-byte Folded Reload
	buffer_load_dword v6, off, s[56:59], 0 offset:48 ; 4-byte Folded Reload
	v_mul_f64 v[10:11], s[30:31], v[18:19]
	v_mul_f64 v[18:19], s[28:29], v[18:19]
	v_fma_f64 v[10:11], s[28:29], v[16:17], -v[10:11]
	v_fma_f64 v[16:17], s[30:31], v[16:17], v[18:19]
	s_waitcnt vmcnt(0)
	v_lshlrev_b64 v[5:6], 4, v[5:6]
	v_add_co_u32_e32 v8, vcc, v1, v5
	v_addc_co_u32_e32 v9, vcc, v4, v6, vcc
	global_load_dwordx4 v[4:7], v[8:9], off
	s_waitcnt vmcnt(0)
	v_add_f64 v[4:5], v[4:5], v[10:11]
	v_add_f64 v[6:7], v[16:17], v[6:7]
	global_store_dwordx4 v[8:9], v[4:7], off
.LBB116_60:                             ;   in Loop: Header=BB116_4 Depth=1
	s_or_b64 exec, exec, s[8:9]
	buffer_load_dword v1, off, s[56:59], 0 offset:28 ; 4-byte Folded Reload
	s_waitcnt vmcnt(0)
	v_add_u32_e32 v1, 16, v1
	v_ashrrev_i32_e32 v4, 31, v1
	v_mul_lo_u32 v6, s48, v4
	v_mul_lo_u32 v7, s49, v1
	v_mad_u64_u32 v[4:5], s[8:9], s48, v1, 0
	v_cmp_gt_i32_e32 vcc, s46, v1
	v_add3_u32 v5, v5, v6, v7
	v_lshlrev_b64 v[4:5], 4, v[4:5]
	v_mov_b32_e32 v6, s53
	v_add_co_u32_e64 v1, s[8:9], s52, v4
	v_addc_co_u32_e64 v4, s[8:9], v6, v5, s[8:9]
	s_and_b64 s[8:9], s[4:5], vcc
	s_mov_b64 s[10:11], exec
	buffer_load_dword v20, off, s[56:59], 0 offset:32 ; 4-byte Folded Reload
	buffer_load_dword v21, off, s[56:59], 0 offset:36 ; 4-byte Folded Reload
	s_and_b64 s[8:9], s[10:11], s[8:9]
	s_mov_b64 exec, s[8:9]
	s_cbranch_execz .LBB116_62
; %bb.61:                               ;   in Loop: Header=BB116_4 Depth=1
	v_lshlrev_b64 v[5:6], 4, v[24:25]
	v_mul_f64 v[16:17], s[30:31], v[54:55]
	v_add_co_u32_e64 v9, s[8:9], v1, v5
	v_addc_co_u32_e64 v10, s[8:9], v4, v6, s[8:9]
	global_load_dwordx4 v[5:8], v[9:10], off
	v_mul_f64 v[18:19], s[28:29], v[54:55]
	v_fma_f64 v[16:17], s[28:29], v[52:53], -v[16:17]
	v_fma_f64 v[18:19], s[30:31], v[52:53], v[18:19]
	s_waitcnt vmcnt(0)
	v_add_f64 v[5:6], v[5:6], v[16:17]
	v_add_f64 v[7:8], v[18:19], v[7:8]
	global_store_dwordx4 v[9:10], v[5:8], off
.LBB116_62:                             ;   in Loop: Header=BB116_4 Depth=1
	s_or_b64 exec, exec, s[10:11]
	s_and_b64 s[10:11], s[14:15], vcc
	s_and_saveexec_b64 s[8:9], s[10:11]
	s_cbranch_execz .LBB116_3
; %bb.63:                               ;   in Loop: Header=BB116_4 Depth=1
	buffer_load_dword v5, off, s[56:59], 0 offset:44 ; 4-byte Folded Reload
	buffer_load_dword v6, off, s[56:59], 0 offset:48 ; 4-byte Folded Reload
	v_mul_f64 v[10:11], s[30:31], v[12:13]
	v_mul_f64 v[12:13], s[28:29], v[12:13]
	v_fma_f64 v[10:11], s[28:29], v[14:15], -v[10:11]
	v_fma_f64 v[12:13], s[30:31], v[14:15], v[12:13]
	s_waitcnt vmcnt(0)
	v_lshlrev_b64 v[5:6], 4, v[5:6]
	v_add_co_u32_e32 v8, vcc, v1, v5
	v_addc_co_u32_e32 v9, vcc, v4, v6, vcc
	global_load_dwordx4 v[4:7], v[8:9], off
	s_waitcnt vmcnt(0)
	v_add_f64 v[4:5], v[4:5], v[10:11]
	v_add_f64 v[6:7], v[12:13], v[6:7]
	global_store_dwordx4 v[8:9], v[4:7], off
	s_branch .LBB116_3
.LBB116_64:
	s_endpgm
	.section	.rodata,"a",@progbits
	.p2align	6, 0x0
	.amdhsa_kernel _ZL30rocblas_trmm_outofplace_kernelI19rocblas_complex_numIdELi32ELi2ELb1ELb0ELb1ELb1EPKS1_S2_S1_Ev17rocblas_diagonal_iiT6_lPT7_lllS7_lllPT8_llli
		.amdhsa_group_segment_fixed_size 32768
		.amdhsa_private_segment_fixed_size 64
		.amdhsa_kernarg_size 392
		.amdhsa_user_sgpr_count 6
		.amdhsa_user_sgpr_private_segment_buffer 1
		.amdhsa_user_sgpr_dispatch_ptr 0
		.amdhsa_user_sgpr_queue_ptr 0
		.amdhsa_user_sgpr_kernarg_segment_ptr 1
		.amdhsa_user_sgpr_dispatch_id 0
		.amdhsa_user_sgpr_flat_scratch_init 0
		.amdhsa_user_sgpr_private_segment_size 0
		.amdhsa_uses_dynamic_stack 0
		.amdhsa_system_sgpr_private_segment_wavefront_offset 1
		.amdhsa_system_sgpr_workgroup_id_x 1
		.amdhsa_system_sgpr_workgroup_id_y 1
		.amdhsa_system_sgpr_workgroup_id_z 1
		.amdhsa_system_sgpr_workgroup_info 0
		.amdhsa_system_vgpr_workitem_id 1
		.amdhsa_next_free_vgpr 64
		.amdhsa_next_free_sgpr 61
		.amdhsa_reserve_vcc 1
		.amdhsa_reserve_flat_scratch 0
		.amdhsa_float_round_mode_32 0
		.amdhsa_float_round_mode_16_64 0
		.amdhsa_float_denorm_mode_32 3
		.amdhsa_float_denorm_mode_16_64 3
		.amdhsa_dx10_clamp 1
		.amdhsa_ieee_mode 1
		.amdhsa_fp16_overflow 0
		.amdhsa_exception_fp_ieee_invalid_op 0
		.amdhsa_exception_fp_denorm_src 0
		.amdhsa_exception_fp_ieee_div_zero 0
		.amdhsa_exception_fp_ieee_overflow 0
		.amdhsa_exception_fp_ieee_underflow 0
		.amdhsa_exception_fp_ieee_inexact 0
		.amdhsa_exception_int_div_zero 0
	.end_amdhsa_kernel
	.section	.text._ZL30rocblas_trmm_outofplace_kernelI19rocblas_complex_numIdELi32ELi2ELb1ELb0ELb1ELb1EPKS1_S2_S1_Ev17rocblas_diagonal_iiT6_lPT7_lllS7_lllPT8_llli,"axG",@progbits,_ZL30rocblas_trmm_outofplace_kernelI19rocblas_complex_numIdELi32ELi2ELb1ELb0ELb1ELb1EPKS1_S2_S1_Ev17rocblas_diagonal_iiT6_lPT7_lllS7_lllPT8_llli,comdat
.Lfunc_end116:
	.size	_ZL30rocblas_trmm_outofplace_kernelI19rocblas_complex_numIdELi32ELi2ELb1ELb0ELb1ELb1EPKS1_S2_S1_Ev17rocblas_diagonal_iiT6_lPT7_lllS7_lllPT8_llli, .Lfunc_end116-_ZL30rocblas_trmm_outofplace_kernelI19rocblas_complex_numIdELi32ELi2ELb1ELb0ELb1ELb1EPKS1_S2_S1_Ev17rocblas_diagonal_iiT6_lPT7_lllS7_lllPT8_llli
                                        ; -- End function
	.set _ZL30rocblas_trmm_outofplace_kernelI19rocblas_complex_numIdELi32ELi2ELb1ELb0ELb1ELb1EPKS1_S2_S1_Ev17rocblas_diagonal_iiT6_lPT7_lllS7_lllPT8_llli.num_vgpr, 64
	.set _ZL30rocblas_trmm_outofplace_kernelI19rocblas_complex_numIdELi32ELi2ELb1ELb0ELb1ELb1EPKS1_S2_S1_Ev17rocblas_diagonal_iiT6_lPT7_lllS7_lllPT8_llli.num_agpr, 0
	.set _ZL30rocblas_trmm_outofplace_kernelI19rocblas_complex_numIdELi32ELi2ELb1ELb0ELb1ELb1EPKS1_S2_S1_Ev17rocblas_diagonal_iiT6_lPT7_lllS7_lllPT8_llli.numbered_sgpr, 60
	.set _ZL30rocblas_trmm_outofplace_kernelI19rocblas_complex_numIdELi32ELi2ELb1ELb0ELb1ELb1EPKS1_S2_S1_Ev17rocblas_diagonal_iiT6_lPT7_lllS7_lllPT8_llli.num_named_barrier, 0
	.set _ZL30rocblas_trmm_outofplace_kernelI19rocblas_complex_numIdELi32ELi2ELb1ELb0ELb1ELb1EPKS1_S2_S1_Ev17rocblas_diagonal_iiT6_lPT7_lllS7_lllPT8_llli.private_seg_size, 64
	.set _ZL30rocblas_trmm_outofplace_kernelI19rocblas_complex_numIdELi32ELi2ELb1ELb0ELb1ELb1EPKS1_S2_S1_Ev17rocblas_diagonal_iiT6_lPT7_lllS7_lllPT8_llli.uses_vcc, 1
	.set _ZL30rocblas_trmm_outofplace_kernelI19rocblas_complex_numIdELi32ELi2ELb1ELb0ELb1ELb1EPKS1_S2_S1_Ev17rocblas_diagonal_iiT6_lPT7_lllS7_lllPT8_llli.uses_flat_scratch, 0
	.set _ZL30rocblas_trmm_outofplace_kernelI19rocblas_complex_numIdELi32ELi2ELb1ELb0ELb1ELb1EPKS1_S2_S1_Ev17rocblas_diagonal_iiT6_lPT7_lllS7_lllPT8_llli.has_dyn_sized_stack, 0
	.set _ZL30rocblas_trmm_outofplace_kernelI19rocblas_complex_numIdELi32ELi2ELb1ELb0ELb1ELb1EPKS1_S2_S1_Ev17rocblas_diagonal_iiT6_lPT7_lllS7_lllPT8_llli.has_recursion, 0
	.set _ZL30rocblas_trmm_outofplace_kernelI19rocblas_complex_numIdELi32ELi2ELb1ELb0ELb1ELb1EPKS1_S2_S1_Ev17rocblas_diagonal_iiT6_lPT7_lllS7_lllPT8_llli.has_indirect_call, 0
	.section	.AMDGPU.csdata,"",@progbits
; Kernel info:
; codeLenInByte = 10508
; TotalNumSgprs: 64
; NumVgprs: 64
; ScratchSize: 64
; MemoryBound: 0
; FloatMode: 240
; IeeeMode: 1
; LDSByteSize: 32768 bytes/workgroup (compile time only)
; SGPRBlocks: 8
; VGPRBlocks: 15
; NumSGPRsForWavesPerEU: 65
; NumVGPRsForWavesPerEU: 64
; Occupancy: 4
; WaveLimiterHint : 0
; COMPUTE_PGM_RSRC2:SCRATCH_EN: 1
; COMPUTE_PGM_RSRC2:USER_SGPR: 6
; COMPUTE_PGM_RSRC2:TRAP_HANDLER: 0
; COMPUTE_PGM_RSRC2:TGID_X_EN: 1
; COMPUTE_PGM_RSRC2:TGID_Y_EN: 1
; COMPUTE_PGM_RSRC2:TGID_Z_EN: 1
; COMPUTE_PGM_RSRC2:TIDIG_COMP_CNT: 1
	.section	.text._ZL30rocblas_trmm_outofplace_kernelI19rocblas_complex_numIdELi32ELi2ELb1ELb0ELb1ELb1ES1_KS1_S1_Ev17rocblas_diagonal_iiT6_lPT7_lllS6_lllPT8_llli,"axG",@progbits,_ZL30rocblas_trmm_outofplace_kernelI19rocblas_complex_numIdELi32ELi2ELb1ELb0ELb1ELb1ES1_KS1_S1_Ev17rocblas_diagonal_iiT6_lPT7_lllS6_lllPT8_llli,comdat
	.globl	_ZL30rocblas_trmm_outofplace_kernelI19rocblas_complex_numIdELi32ELi2ELb1ELb0ELb1ELb1ES1_KS1_S1_Ev17rocblas_diagonal_iiT6_lPT7_lllS6_lllPT8_llli ; -- Begin function _ZL30rocblas_trmm_outofplace_kernelI19rocblas_complex_numIdELi32ELi2ELb1ELb0ELb1ELb1ES1_KS1_S1_Ev17rocblas_diagonal_iiT6_lPT7_lllS6_lllPT8_llli
	.p2align	8
	.type	_ZL30rocblas_trmm_outofplace_kernelI19rocblas_complex_numIdELi32ELi2ELb1ELb0ELb1ELb1ES1_KS1_S1_Ev17rocblas_diagonal_iiT6_lPT7_lllS6_lllPT8_llli,@function
_ZL30rocblas_trmm_outofplace_kernelI19rocblas_complex_numIdELi32ELi2ELb1ELb0ELb1ELb1ES1_KS1_S1_Ev17rocblas_diagonal_iiT6_lPT7_lllS6_lllPT8_llli: ; @_ZL30rocblas_trmm_outofplace_kernelI19rocblas_complex_numIdELi32ELi2ELb1ELb0ELb1ELb1ES1_KS1_S1_Ev17rocblas_diagonal_iiT6_lPT7_lllS6_lllPT8_llli
; %bb.0:
	s_load_dwordx4 s[28:31], s[4:5], 0x10
	s_mov_b64 s[58:59], s[2:3]
	s_mov_b64 s[56:57], s[0:1]
	s_add_u32 s56, s56, s9
	s_addc_u32 s57, s57, 0
	s_waitcnt lgkmcnt(0)
	v_cmp_eq_f64_e64 s[0:1], s[28:29], 0
	v_cmp_eq_f64_e64 s[2:3], s[30:31], 0
	buffer_store_dword v1, off, s[56:59], 0 offset:40 ; 4-byte Folded Spill
	s_and_b64 s[0:1], s[0:1], s[2:3]
	s_and_b64 vcc, exec, s[0:1]
	s_cbranch_vccnz .LBB117_64
; %bb.1:
	s_load_dwordx4 s[44:47], s[4:5], 0x0
	s_waitcnt lgkmcnt(0)
	s_add_i32 s0, s46, -1
	s_ashr_i32 s1, s0, 31
	s_lshr_b32 s1, s1, 27
	s_add_i32 s0, s0, s1
	s_ashr_i32 s33, s0, 5
	s_cmp_gt_i32 s7, s33
	s_cbranch_scc1 .LBB117_64
; %bb.2:
	s_load_dwordx16 s[12:27], s[4:5], 0x28
	s_load_dwordx8 s[36:43], s[4:5], 0x68
	buffer_load_dword v7, off, s[56:59], 0 offset:40 ; 4-byte Folded Reload
	s_load_dword s54, s[4:5], 0x94
	s_waitcnt lgkmcnt(0)
	s_mul_i32 s1, s19, s8
	s_mul_hi_u32 s2, s18, s8
	s_mul_i32 s0, s18, s8
	s_add_i32 s1, s2, s1
	s_lshl_b64 s[10:11], s[0:1], 4
	s_add_u32 s0, s12, s10
	s_addc_u32 s1, s13, s11
	s_lshl_b64 s[18:19], s[14:15], 4
	s_add_u32 s2, s0, s18
	s_addc_u32 s3, s1, s19
	s_mul_i32 s0, s43, s8
	s_mul_hi_u32 s1, s42, s8
	s_add_i32 s1, s1, s0
	s_mul_i32 s0, s42, s8
	s_lshl_b64 s[0:1], s[0:1], 4
	s_add_u32 s9, s36, s0
	s_addc_u32 s14, s37, s1
	s_lshl_b64 s[0:1], s[38:39], 4
	s_add_u32 s47, s9, s0
	s_addc_u32 s52, s14, s1
	s_lshl_b32 s6, s6, 5
	v_add_u32_e32 v24, s6, v0
	v_ashrrev_i32_e32 v25, 31, v24
	v_mul_lo_u32 v3, s16, v25
	v_mul_lo_u32 v4, s17, v24
	v_mad_u64_u32 v[1:2], s[0:1], s16, v24, 0
	v_lshlrev_b32_e32 v0, 4, v0
	s_mul_i32 s9, s27, s8
	v_add3_u32 v2, v2, v3, v4
	v_lshlrev_b64 v[1:2], 4, v[1:2]
	v_mov_b32_e32 v3, s3
	v_add_co_u32_e32 v4, vcc, s2, v1
	v_addc_co_u32_e32 v3, vcc, v3, v2, vcc
	s_mul_hi_u32 s27, s26, s8
	s_mul_i32 s8, s26, s8
	s_mov_b32 s38, s45
	v_lshlrev_b64 v[5:6], 4, v[24:25]
	v_cmp_le_i32_e64 s[0:1], s45, v24
	v_cmp_gt_i32_e64 s[4:5], s45, v24
	s_waitcnt vmcnt(0)
	v_add_u32_e32 v26, s6, v7
	v_ashrrev_i32_e32 v27, 31, v26
	v_lshlrev_b64 v[1:2], 4, v[26:27]
	s_sub_i32 s6, s45, s6
	v_add_co_u32_e32 v4, vcc, v4, v1
	v_addc_co_u32_e32 v3, vcc, v3, v2, vcc
	buffer_store_dword v3, off, s[56:59], 0 offset:4 ; 4-byte Folded Spill
	v_lshlrev_b32_e32 v3, 9, v7
	v_add_u32_e32 v30, v0, v3
	v_add_u32_e32 v31, 0x4000, v3
	v_add_co_u32_e32 v3, vcc, 16, v24
	buffer_store_dword v4, off, s[56:59], 0 ; 4-byte Folded Spill
	v_addc_co_u32_e32 v4, vcc, 0, v25, vcc
	buffer_store_dword v3, off, s[56:59], 0 offset:8 ; 4-byte Folded Spill
	s_nop 0
	buffer_store_dword v4, off, s[56:59], 0 offset:12 ; 4-byte Folded Spill
	s_cmp_gt_i32 s6, 0
	s_cselect_b64 s[34:35], -1, 0
	s_cmpk_eq_i32 s44, 0x84
	s_cselect_b64 s[36:37], -1, 0
	s_ashr_i32 s39, s45, 31
	s_ashr_i32 s53, s46, 31
	s_add_u32 s42, s45, -16
	s_addc_u32 s43, s39, -1
	s_add_i32 s9, s27, s9
	s_lshl_b64 s[8:9], s[8:9], 4
	s_lshl_b64 s[22:23], s[22:23], 4
	s_add_u32 s8, s8, s22
	s_addc_u32 s9, s9, s23
	v_sub_co_u32_e32 v10, vcc, v24, v26
	s_add_u32 s8, s20, s8
	v_subb_co_u32_e32 v11, vcc, v25, v27, vcc
	s_addc_u32 s9, s21, s9
	s_movk_i32 s44, 0x100
	s_lshl_b64 s[20:21], s[24:25], 4
	s_lshl_b32 s55, s54, 5
	v_mov_b32_e32 v33, v11
	v_mov_b32_e32 v32, v10
	v_add_u32_e32 v42, v31, v0
	v_lshl_add_u32 v20, s7, 5, v7
	v_cmp_le_i64_e64 s[2:3], s[38:39], v[3:4]
	v_add_u32_e32 v3, 16, v24
	v_ashrrev_i32_e32 v4, 31, v3
	v_cmp_gt_i32_e64 s[14:15], s45, v3
	buffer_store_dword v3, off, s[56:59], 0 offset:44 ; 4-byte Folded Spill
	s_nop 0
	buffer_store_dword v4, off, s[56:59], 0 offset:48 ; 4-byte Folded Spill
	v_mov_b32_e32 v3, s9
	v_add_co_u32_e32 v4, vcc, s8, v5
	v_addc_co_u32_e32 v3, vcc, v3, v6, vcc
	v_add_co_u32_e32 v8, vcc, s44, v4
	v_addc_co_u32_e32 v9, vcc, 0, v3, vcc
	s_add_u32 s8, s18, s10
	v_add_co_u32_e32 v5, vcc, s44, v5
	s_addc_u32 s9, s19, s11
	v_mov_b32_e32 v3, s8
	buffer_store_dword v8, off, s[56:59], 0 offset:52 ; 4-byte Folded Spill
	s_nop 0
	buffer_store_dword v9, off, s[56:59], 0 offset:56 ; 4-byte Folded Spill
	v_addc_co_u32_e32 v6, vcc, 0, v6, vcc
	v_mov_b32_e32 v4, s9
	v_mad_u64_u32 v[3:4], s[8:9], s16, v5, v[3:4]
	v_mul_lo_u32 v6, s16, v6
	v_mul_lo_u32 v5, s17, v5
	v_add_co_u32_e32 v8, vcc, 16, v10
	v_addc_co_u32_e32 v9, vcc, 0, v11, vcc
	v_add_co_u32_e32 v40, vcc, -16, v10
	v_addc_co_u32_e32 v41, vcc, -1, v11, vcc
	v_add3_u32 v4, v5, v4, v6
	v_add_co_u32_e32 v1, vcc, v3, v1
	v_addc_co_u32_e32 v2, vcc, v4, v2, vcc
	v_mov_b32_e32 v3, s13
	v_add_co_u32_e32 v43, vcc, s12, v1
	v_addc_co_u32_e32 v1, vcc, v3, v2, vcc
	v_mov_b32_e32 v2, 0
	v_mov_b32_e32 v3, 0x3ff00000
	buffer_store_dword v8, off, s[56:59], 0 offset:16 ; 4-byte Folded Spill
	s_nop 0
	buffer_store_dword v9, off, s[56:59], 0 offset:20 ; 4-byte Folded Spill
	buffer_store_dword v1, off, s[56:59], 0 offset:24 ; 4-byte Folded Spill
	s_branch .LBB117_4
.LBB117_3:                              ;   in Loop: Header=BB117_4 Depth=1
	s_or_b64 exec, exec, s[8:9]
	s_add_i32 s7, s54, s7
	s_cmp_le_i32 s7, s33
	s_waitcnt vmcnt(1)
	v_add_u32_e32 v20, s55, v20
	s_cbranch_scc0 .LBB117_64
.LBB117_4:                              ; =>This Loop Header: Depth=1
                                        ;     Child Loop BB117_7 Depth 2
	buffer_load_dword v1, off, s[56:59], 0 offset:40 ; 4-byte Folded Reload
	s_andn2_b64 vcc, exec, s[34:35]
	s_waitcnt vmcnt(0)
	v_lshl_add_u32 v11, s7, 5, v1
	v_ashrrev_i32_e32 v1, 31, v11
	buffer_store_dword v11, off, s[56:59], 0 offset:28 ; 4-byte Folded Spill
	s_cbranch_vccnz .LBB117_55
; %bb.5:                                ;   in Loop: Header=BB117_4 Depth=1
	buffer_load_dword v9, off, s[56:59], 0 offset:52 ; 4-byte Folded Reload
	buffer_load_dword v10, off, s[56:59], 0 offset:56 ; 4-byte Folded Reload
	v_mov_b32_e32 v4, v20
	v_ashrrev_i32_e32 v21, 31, v20
	buffer_store_dword v4, off, s[56:59], 0 offset:32 ; 4-byte Folded Spill
	s_nop 0
	buffer_store_dword v5, off, s[56:59], 0 offset:36 ; 4-byte Folded Spill
	v_lshlrev_b64 v[4:5], 4, v[20:21]
	v_mul_lo_u32 v6, s21, v20
	v_add_co_u32_e32 v4, vcc, 0x100, v4
	v_addc_co_u32_e32 v5, vcc, 0, v5, vcc
	v_mul_lo_u32 v5, s24, v5
	v_mul_lo_u32 v8, s25, v4
	;; [unrolled: 1-line block ×3, first 2 shown]
	v_mov_b32_e32 v12, 0
	v_mov_b32_e32 v14, 0
	;; [unrolled: 1-line block ×8, first 2 shown]
	s_mov_b64 s[22:23], 0
	v_mov_b32_e32 v13, 0
	v_mov_b32_e32 v15, 0
	;; [unrolled: 1-line block ×8, first 2 shown]
	s_mov_b64 s[26:27], 0
	s_waitcnt vmcnt(2)
	v_mad_u64_u32 v[46:47], s[8:9], s24, v4, v[9:10]
	v_mad_u64_u32 v[44:45], s[8:9], s20, v20, v[9:10]
	v_add3_u32 v47, v8, v47, v5
	v_mov_b32_e32 v5, s53
	v_sub_co_u32_e32 v4, vcc, s46, v11
	v_subb_co_u32_e32 v5, vcc, v5, v1, vcc
	v_cmp_lt_i64_e32 vcc, 0, v[4:5]
	v_cmp_lt_i64_e64 s[8:9], 16, v[4:5]
	v_add3_u32 v45, v6, v45, v7
	s_branch .LBB117_7
.LBB117_6:                              ;   in Loop: Header=BB117_7 Depth=2
	s_or_b64 exec, exec, s[10:11]
	s_waitcnt lgkmcnt(0)
	s_barrier
	ds_read_b128 v[56:59], v31
	ds_read_b128 v[20:23], v31 offset:16
	ds_read_b128 v[8:11], v31 offset:32
	;; [unrolled: 1-line block ×3, first 2 shown]
	ds_read_b128 v[60:63], v0
	s_add_u32 s26, s26, 32
	s_addc_u32 s27, s27, 0
	s_add_u32 s22, s22, 0x200
	s_addc_u32 s23, s23, 0
	s_waitcnt lgkmcnt(0)
	v_mul_f64 v[34:35], v[58:59], v[62:63]
	v_mul_f64 v[28:29], v[56:57], v[62:63]
	s_cmp_ge_i32 s26, s6
	v_fma_f64 v[34:35], v[56:57], v[60:61], -v[34:35]
	v_fma_f64 v[28:29], v[58:59], v[60:61], v[28:29]
	v_add_f64 v[34:35], v[48:49], v[34:35]
	v_add_f64 v[28:29], v[28:29], v[50:51]
	ds_read_b128 v[48:51], v0 offset:256
	s_waitcnt lgkmcnt(0)
	v_mul_f64 v[36:37], v[58:59], v[50:51]
	v_fma_f64 v[36:37], v[56:57], v[48:49], -v[36:37]
	v_mul_f64 v[56:57], v[56:57], v[50:51]
	v_add_f64 v[36:37], v[16:17], v[36:37]
	v_fma_f64 v[56:57], v[58:59], v[48:49], v[56:57]
	v_add_f64 v[38:39], v[56:57], v[18:19]
	ds_read_b128 v[16:19], v31 offset:8192
	s_waitcnt lgkmcnt(0)
	v_mul_f64 v[56:57], v[18:19], v[62:63]
	v_mul_f64 v[58:59], v[16:17], v[62:63]
	v_fma_f64 v[56:57], v[16:17], v[60:61], -v[56:57]
	v_fma_f64 v[58:59], v[18:19], v[60:61], v[58:59]
	v_add_f64 v[60:61], v[52:53], v[56:57]
	v_mul_f64 v[52:53], v[18:19], v[50:51]
	v_add_f64 v[62:63], v[58:59], v[54:55]
	v_fma_f64 v[52:53], v[16:17], v[48:49], -v[52:53]
	v_mul_f64 v[16:17], v[16:17], v[50:51]
	v_add_f64 v[56:57], v[14:15], v[52:53]
	v_fma_f64 v[16:17], v[18:19], v[48:49], v[16:17]
	v_add_f64 v[58:59], v[16:17], v[12:13]
	ds_read_b128 v[16:19], v0 offset:512
	s_waitcnt lgkmcnt(0)
	v_mul_f64 v[12:13], v[22:23], v[18:19]
	v_mul_f64 v[14:15], v[20:21], v[18:19]
	v_fma_f64 v[12:13], v[20:21], v[16:17], -v[12:13]
	v_fma_f64 v[14:15], v[22:23], v[16:17], v[14:15]
	v_add_f64 v[52:53], v[34:35], v[12:13]
	v_add_f64 v[54:55], v[14:15], v[28:29]
	ds_read_b128 v[12:15], v0 offset:768
	s_waitcnt lgkmcnt(0)
	v_mul_f64 v[28:29], v[22:23], v[14:15]
	v_fma_f64 v[28:29], v[20:21], v[12:13], -v[28:29]
	v_mul_f64 v[20:21], v[20:21], v[14:15]
	v_add_f64 v[48:49], v[36:37], v[28:29]
	v_fma_f64 v[20:21], v[22:23], v[12:13], v[20:21]
	v_add_f64 v[50:51], v[20:21], v[38:39]
	ds_read_b128 v[20:23], v31 offset:8208
	s_waitcnt lgkmcnt(0)
	v_mul_f64 v[28:29], v[22:23], v[18:19]
	v_mul_f64 v[18:19], v[20:21], v[18:19]
	v_fma_f64 v[28:29], v[20:21], v[16:17], -v[28:29]
	v_fma_f64 v[18:19], v[22:23], v[16:17], v[18:19]
	v_add_f64 v[16:17], v[60:61], v[28:29]
	v_mul_f64 v[28:29], v[22:23], v[14:15]
	v_mul_f64 v[14:15], v[20:21], v[14:15]
	v_add_f64 v[18:19], v[18:19], v[62:63]
	v_fma_f64 v[28:29], v[20:21], v[12:13], -v[28:29]
	v_fma_f64 v[14:15], v[22:23], v[12:13], v[14:15]
	ds_read_b128 v[20:23], v0 offset:1024
	s_waitcnt lgkmcnt(0)
	v_mul_f64 v[34:35], v[8:9], v[22:23]
	v_add_f64 v[12:13], v[56:57], v[28:29]
	v_mul_f64 v[28:29], v[10:11], v[22:23]
	v_add_f64 v[14:15], v[14:15], v[58:59]
	v_fma_f64 v[34:35], v[10:11], v[20:21], v[34:35]
	v_fma_f64 v[28:29], v[8:9], v[20:21], -v[28:29]
	v_add_f64 v[34:35], v[34:35], v[54:55]
	v_add_f64 v[28:29], v[52:53], v[28:29]
	ds_read_b128 v[52:55], v0 offset:1280
	s_waitcnt lgkmcnt(0)
	v_mul_f64 v[36:37], v[10:11], v[54:55]
	v_fma_f64 v[36:37], v[8:9], v[52:53], -v[36:37]
	v_mul_f64 v[8:9], v[8:9], v[54:55]
	v_add_f64 v[36:37], v[48:49], v[36:37]
	v_fma_f64 v[8:9], v[10:11], v[52:53], v[8:9]
	v_add_f64 v[38:39], v[8:9], v[50:51]
	ds_read_b128 v[8:11], v31 offset:8224
	s_waitcnt lgkmcnt(0)
	v_mul_f64 v[48:49], v[10:11], v[22:23]
	v_mul_f64 v[22:23], v[8:9], v[22:23]
	v_fma_f64 v[48:49], v[8:9], v[20:21], -v[48:49]
	v_fma_f64 v[20:21], v[10:11], v[20:21], v[22:23]
	v_add_f64 v[48:49], v[16:17], v[48:49]
	v_mul_f64 v[16:17], v[10:11], v[54:55]
	v_add_f64 v[50:51], v[20:21], v[18:19]
	v_fma_f64 v[16:17], v[8:9], v[52:53], -v[16:17]
	v_mul_f64 v[8:9], v[8:9], v[54:55]
	v_add_f64 v[20:21], v[12:13], v[16:17]
	v_fma_f64 v[8:9], v[10:11], v[52:53], v[8:9]
	ds_read_b128 v[52:55], v31 offset:8240
	v_add_f64 v[22:23], v[8:9], v[14:15]
	ds_read_b128 v[12:15], v0 offset:1536
	s_waitcnt lgkmcnt(0)
	v_mul_f64 v[8:9], v[6:7], v[14:15]
	v_mul_f64 v[10:11], v[4:5], v[14:15]
	v_fma_f64 v[8:9], v[4:5], v[12:13], -v[8:9]
	v_fma_f64 v[10:11], v[6:7], v[12:13], v[10:11]
	v_add_f64 v[16:17], v[28:29], v[8:9]
	v_add_f64 v[18:19], v[10:11], v[34:35]
	ds_read_b128 v[8:11], v0 offset:1792
	s_waitcnt lgkmcnt(0)
	v_mul_f64 v[28:29], v[6:7], v[10:11]
	v_fma_f64 v[28:29], v[4:5], v[8:9], -v[28:29]
	v_mul_f64 v[4:5], v[4:5], v[10:11]
	v_fma_f64 v[6:7], v[6:7], v[8:9], v[4:5]
	v_add_f64 v[4:5], v[36:37], v[28:29]
	v_mul_f64 v[28:29], v[54:55], v[14:15]
	v_mul_f64 v[14:15], v[52:53], v[14:15]
	v_add_f64 v[6:7], v[6:7], v[38:39]
	v_fma_f64 v[28:29], v[52:53], v[12:13], -v[28:29]
	v_fma_f64 v[14:15], v[54:55], v[12:13], v[14:15]
	v_add_f64 v[12:13], v[48:49], v[28:29]
	v_mul_f64 v[28:29], v[54:55], v[10:11]
	v_mul_f64 v[10:11], v[52:53], v[10:11]
	v_add_f64 v[14:15], v[14:15], v[50:51]
	v_fma_f64 v[28:29], v[52:53], v[8:9], -v[28:29]
	v_fma_f64 v[8:9], v[54:55], v[8:9], v[10:11]
	v_add_f64 v[28:29], v[20:21], v[28:29]
	v_add_f64 v[34:35], v[8:9], v[22:23]
	ds_read_b128 v[8:11], v31 offset:64
	ds_read_b128 v[20:23], v0 offset:2048
	;; [unrolled: 1-line block ×3, first 2 shown]
	s_waitcnt lgkmcnt(1)
	v_mul_f64 v[36:37], v[10:11], v[22:23]
	v_mul_f64 v[38:39], v[8:9], v[22:23]
	v_fma_f64 v[36:37], v[8:9], v[20:21], -v[36:37]
	v_fma_f64 v[38:39], v[10:11], v[20:21], v[38:39]
	v_add_f64 v[16:17], v[16:17], v[36:37]
	s_waitcnt lgkmcnt(0)
	v_mul_f64 v[36:37], v[10:11], v[50:51]
	v_add_f64 v[18:19], v[38:39], v[18:19]
	v_fma_f64 v[36:37], v[8:9], v[48:49], -v[36:37]
	v_mul_f64 v[8:9], v[8:9], v[50:51]
	v_add_f64 v[36:37], v[4:5], v[36:37]
	v_fma_f64 v[8:9], v[10:11], v[48:49], v[8:9]
	v_add_f64 v[38:39], v[8:9], v[6:7]
	ds_read_b128 v[4:7], v31 offset:8256
	s_waitcnt lgkmcnt(0)
	v_mul_f64 v[8:9], v[6:7], v[22:23]
	v_mul_f64 v[10:11], v[4:5], v[22:23]
	v_fma_f64 v[8:9], v[4:5], v[20:21], -v[8:9]
	v_fma_f64 v[10:11], v[6:7], v[20:21], v[10:11]
	v_add_f64 v[20:21], v[12:13], v[8:9]
	v_mul_f64 v[8:9], v[6:7], v[50:51]
	v_add_f64 v[22:23], v[10:11], v[14:15]
	v_fma_f64 v[8:9], v[4:5], v[48:49], -v[8:9]
	v_mul_f64 v[4:5], v[4:5], v[50:51]
	v_add_f64 v[12:13], v[28:29], v[8:9]
	v_fma_f64 v[4:5], v[6:7], v[48:49], v[4:5]
	ds_read_b128 v[52:55], v31 offset:80
	ds_read_b128 v[8:11], v0 offset:2560
	s_waitcnt lgkmcnt(0)
	v_mul_f64 v[6:7], v[52:53], v[10:11]
	v_add_f64 v[14:15], v[4:5], v[34:35]
	v_mul_f64 v[4:5], v[54:55], v[10:11]
	v_fma_f64 v[6:7], v[54:55], v[8:9], v[6:7]
	v_fma_f64 v[4:5], v[52:53], v[8:9], -v[4:5]
	v_add_f64 v[50:51], v[6:7], v[18:19]
	v_add_f64 v[48:49], v[16:17], v[4:5]
	ds_read_b128 v[4:7], v0 offset:2816
	s_waitcnt lgkmcnt(0)
	v_mul_f64 v[16:17], v[54:55], v[6:7]
	v_mul_f64 v[18:19], v[52:53], v[6:7]
	v_fma_f64 v[16:17], v[52:53], v[4:5], -v[16:17]
	v_fma_f64 v[18:19], v[54:55], v[4:5], v[18:19]
	ds_read_b128 v[52:55], v31 offset:8272
	s_waitcnt lgkmcnt(0)
	v_mul_f64 v[28:29], v[54:55], v[10:11]
	v_mul_f64 v[10:11], v[52:53], v[10:11]
	v_add_f64 v[16:17], v[36:37], v[16:17]
	v_add_f64 v[18:19], v[18:19], v[38:39]
	v_fma_f64 v[28:29], v[52:53], v[8:9], -v[28:29]
	v_fma_f64 v[10:11], v[54:55], v[8:9], v[10:11]
	v_add_f64 v[8:9], v[20:21], v[28:29]
	v_mul_f64 v[20:21], v[54:55], v[6:7]
	v_mul_f64 v[6:7], v[52:53], v[6:7]
	v_add_f64 v[10:11], v[10:11], v[22:23]
	v_fma_f64 v[20:21], v[52:53], v[4:5], -v[20:21]
	v_fma_f64 v[4:5], v[54:55], v[4:5], v[6:7]
	v_add_f64 v[28:29], v[12:13], v[20:21]
	v_add_f64 v[34:35], v[4:5], v[14:15]
	ds_read_b128 v[12:15], v31 offset:96
	ds_read_b128 v[20:23], v0 offset:3072
	s_waitcnt lgkmcnt(0)
	v_mul_f64 v[4:5], v[14:15], v[22:23]
	v_mul_f64 v[6:7], v[12:13], v[22:23]
	v_fma_f64 v[4:5], v[12:13], v[20:21], -v[4:5]
	v_fma_f64 v[6:7], v[14:15], v[20:21], v[6:7]
	v_add_f64 v[4:5], v[48:49], v[4:5]
	v_add_f64 v[6:7], v[6:7], v[50:51]
	ds_read_b128 v[48:51], v0 offset:3328
	s_waitcnt lgkmcnt(0)
	v_mul_f64 v[36:37], v[14:15], v[50:51]
	v_fma_f64 v[36:37], v[12:13], v[48:49], -v[36:37]
	v_mul_f64 v[12:13], v[12:13], v[50:51]
	v_add_f64 v[36:37], v[16:17], v[36:37]
	v_fma_f64 v[12:13], v[14:15], v[48:49], v[12:13]
	v_add_f64 v[38:39], v[12:13], v[18:19]
	ds_read_b128 v[12:15], v31 offset:8288
	s_waitcnt lgkmcnt(0)
	v_mul_f64 v[16:17], v[14:15], v[22:23]
	v_mul_f64 v[18:19], v[12:13], v[22:23]
	v_fma_f64 v[16:17], v[12:13], v[20:21], -v[16:17]
	v_fma_f64 v[18:19], v[14:15], v[20:21], v[18:19]
	v_add_f64 v[20:21], v[8:9], v[16:17]
	v_add_f64 v[22:23], v[18:19], v[10:11]
	v_mul_f64 v[8:9], v[14:15], v[50:51]
	v_mul_f64 v[10:11], v[12:13], v[50:51]
	v_fma_f64 v[8:9], v[12:13], v[48:49], -v[8:9]
	v_fma_f64 v[10:11], v[14:15], v[48:49], v[10:11]
	v_add_f64 v[12:13], v[28:29], v[8:9]
	v_add_f64 v[14:15], v[10:11], v[34:35]
	ds_read_b128 v[16:19], v31 offset:112
	ds_read_b128 v[8:11], v0 offset:3584
	ds_read_b128 v[52:55], v31 offset:8304
	s_waitcnt lgkmcnt(1)
	v_mul_f64 v[28:29], v[18:19], v[10:11]
	v_mul_f64 v[34:35], v[16:17], v[10:11]
	v_fma_f64 v[28:29], v[16:17], v[8:9], -v[28:29]
	v_fma_f64 v[34:35], v[18:19], v[8:9], v[34:35]
	v_add_f64 v[48:49], v[4:5], v[28:29]
	v_add_f64 v[50:51], v[34:35], v[6:7]
	ds_read_b128 v[4:7], v0 offset:3840
	s_waitcnt lgkmcnt(0)
	v_mul_f64 v[28:29], v[18:19], v[6:7]
	v_fma_f64 v[28:29], v[16:17], v[4:5], -v[28:29]
	v_mul_f64 v[16:17], v[16:17], v[6:7]
	v_fma_f64 v[18:19], v[18:19], v[4:5], v[16:17]
	v_add_f64 v[16:17], v[36:37], v[28:29]
	v_mul_f64 v[28:29], v[54:55], v[10:11]
	v_mul_f64 v[10:11], v[52:53], v[10:11]
	v_add_f64 v[18:19], v[18:19], v[38:39]
	v_fma_f64 v[28:29], v[52:53], v[8:9], -v[28:29]
	v_fma_f64 v[10:11], v[54:55], v[8:9], v[10:11]
	v_add_f64 v[8:9], v[20:21], v[28:29]
	v_mul_f64 v[20:21], v[54:55], v[6:7]
	v_mul_f64 v[6:7], v[52:53], v[6:7]
	v_add_f64 v[10:11], v[10:11], v[22:23]
	v_fma_f64 v[20:21], v[52:53], v[4:5], -v[20:21]
	v_fma_f64 v[4:5], v[54:55], v[4:5], v[6:7]
	v_add_f64 v[28:29], v[12:13], v[20:21]
	v_add_f64 v[34:35], v[4:5], v[14:15]
	ds_read_b128 v[12:15], v31 offset:128
	ds_read_b128 v[20:23], v0 offset:4096
	s_waitcnt lgkmcnt(0)
	v_mul_f64 v[4:5], v[14:15], v[22:23]
	v_mul_f64 v[6:7], v[12:13], v[22:23]
	v_fma_f64 v[4:5], v[12:13], v[20:21], -v[4:5]
	v_fma_f64 v[6:7], v[14:15], v[20:21], v[6:7]
	v_add_f64 v[4:5], v[48:49], v[4:5]
	v_add_f64 v[6:7], v[6:7], v[50:51]
	ds_read_b128 v[48:51], v0 offset:4352
	s_waitcnt lgkmcnt(0)
	v_mul_f64 v[36:37], v[14:15], v[50:51]
	v_fma_f64 v[36:37], v[12:13], v[48:49], -v[36:37]
	v_mul_f64 v[12:13], v[12:13], v[50:51]
	v_add_f64 v[36:37], v[16:17], v[36:37]
	v_fma_f64 v[12:13], v[14:15], v[48:49], v[12:13]
	v_add_f64 v[38:39], v[12:13], v[18:19]
	ds_read_b128 v[12:15], v31 offset:8320
	s_waitcnt lgkmcnt(0)
	v_mul_f64 v[16:17], v[14:15], v[22:23]
	v_mul_f64 v[18:19], v[12:13], v[22:23]
	v_fma_f64 v[16:17], v[12:13], v[20:21], -v[16:17]
	v_fma_f64 v[18:19], v[14:15], v[20:21], v[18:19]
	v_add_f64 v[20:21], v[8:9], v[16:17]
	v_add_f64 v[22:23], v[18:19], v[10:11]
	v_mul_f64 v[8:9], v[14:15], v[50:51]
	v_mul_f64 v[10:11], v[12:13], v[50:51]
	v_fma_f64 v[8:9], v[12:13], v[48:49], -v[8:9]
	v_fma_f64 v[10:11], v[14:15], v[48:49], v[10:11]
	v_add_f64 v[12:13], v[28:29], v[8:9]
	v_add_f64 v[14:15], v[10:11], v[34:35]
	ds_read_b128 v[16:19], v31 offset:144
	ds_read_b128 v[8:11], v0 offset:4608
	ds_read_b128 v[52:55], v31 offset:8336
	s_waitcnt lgkmcnt(1)
	v_mul_f64 v[28:29], v[18:19], v[10:11]
	v_mul_f64 v[34:35], v[16:17], v[10:11]
	v_fma_f64 v[28:29], v[16:17], v[8:9], -v[28:29]
	v_fma_f64 v[34:35], v[18:19], v[8:9], v[34:35]
	v_add_f64 v[48:49], v[4:5], v[28:29]
	v_add_f64 v[50:51], v[34:35], v[6:7]
	ds_read_b128 v[4:7], v0 offset:4864
	s_waitcnt lgkmcnt(0)
	v_mul_f64 v[28:29], v[18:19], v[6:7]
	v_fma_f64 v[28:29], v[16:17], v[4:5], -v[28:29]
	v_mul_f64 v[16:17], v[16:17], v[6:7]
	v_fma_f64 v[18:19], v[18:19], v[4:5], v[16:17]
	v_add_f64 v[16:17], v[36:37], v[28:29]
	v_mul_f64 v[28:29], v[54:55], v[10:11]
	v_mul_f64 v[10:11], v[52:53], v[10:11]
	;; [unrolled: 61-line block ×11, first 2 shown]
	v_add_f64 v[22:23], v[22:23], v[38:39]
	v_fma_f64 v[28:29], v[52:53], v[8:9], -v[28:29]
	v_fma_f64 v[8:9], v[54:55], v[8:9], v[10:11]
	v_add_f64 v[28:29], v[16:17], v[28:29]
	v_add_f64 v[34:35], v[8:9], v[18:19]
	v_mul_f64 v[8:9], v[54:55], v[6:7]
	v_mul_f64 v[6:7], v[52:53], v[6:7]
	v_fma_f64 v[8:9], v[52:53], v[4:5], -v[8:9]
	v_fma_f64 v[4:5], v[54:55], v[4:5], v[6:7]
	v_add_f64 v[36:37], v[12:13], v[8:9]
	v_add_f64 v[38:39], v[4:5], v[14:15]
	ds_read_b128 v[8:11], v31 offset:448
	ds_read_b128 v[12:15], v0 offset:14336
	;; [unrolled: 1-line block ×3, first 2 shown]
	s_waitcnt lgkmcnt(1)
	v_mul_f64 v[4:5], v[10:11], v[14:15]
	v_mul_f64 v[6:7], v[8:9], v[14:15]
	v_fma_f64 v[4:5], v[8:9], v[12:13], -v[4:5]
	v_fma_f64 v[6:7], v[10:11], v[12:13], v[6:7]
	v_add_f64 v[4:5], v[48:49], v[4:5]
	s_waitcnt lgkmcnt(0)
	v_mul_f64 v[48:49], v[10:11], v[18:19]
	v_add_f64 v[6:7], v[6:7], v[50:51]
	v_fma_f64 v[48:49], v[8:9], v[16:17], -v[48:49]
	v_mul_f64 v[8:9], v[8:9], v[18:19]
	v_add_f64 v[20:21], v[20:21], v[48:49]
	v_fma_f64 v[8:9], v[10:11], v[16:17], v[8:9]
	v_add_f64 v[22:23], v[8:9], v[22:23]
	ds_read_b128 v[8:11], v31 offset:8640
	s_waitcnt lgkmcnt(0)
	v_mul_f64 v[48:49], v[10:11], v[14:15]
	v_mul_f64 v[14:15], v[8:9], v[14:15]
	v_fma_f64 v[48:49], v[8:9], v[12:13], -v[48:49]
	v_fma_f64 v[12:13], v[10:11], v[12:13], v[14:15]
	v_add_f64 v[48:49], v[28:29], v[48:49]
	v_add_f64 v[50:51], v[12:13], v[34:35]
	v_mul_f64 v[12:13], v[10:11], v[18:19]
	v_fma_f64 v[12:13], v[8:9], v[16:17], -v[12:13]
	v_mul_f64 v[8:9], v[8:9], v[18:19]
	v_fma_f64 v[8:9], v[10:11], v[16:17], v[8:9]
	v_add_f64 v[16:17], v[36:37], v[12:13]
	v_add_f64 v[18:19], v[8:9], v[38:39]
	ds_read_b128 v[12:15], v31 offset:464
	ds_read_b128 v[8:11], v0 offset:14848
	s_waitcnt lgkmcnt(0)
	v_mul_f64 v[28:29], v[14:15], v[10:11]
	v_mul_f64 v[34:35], v[12:13], v[10:11]
	v_fma_f64 v[28:29], v[12:13], v[8:9], -v[28:29]
	v_fma_f64 v[34:35], v[14:15], v[8:9], v[34:35]
	v_add_f64 v[52:53], v[4:5], v[28:29]
	v_add_f64 v[54:55], v[34:35], v[6:7]
	ds_read_b128 v[4:7], v0 offset:15104
	s_waitcnt lgkmcnt(0)
	v_mul_f64 v[28:29], v[14:15], v[6:7]
	v_fma_f64 v[28:29], v[12:13], v[4:5], -v[28:29]
	v_mul_f64 v[12:13], v[12:13], v[6:7]
	v_add_f64 v[20:21], v[20:21], v[28:29]
	v_fma_f64 v[12:13], v[14:15], v[4:5], v[12:13]
	v_add_f64 v[22:23], v[12:13], v[22:23]
	ds_read_b128 v[12:15], v31 offset:8656
	s_waitcnt lgkmcnt(0)
	v_mul_f64 v[28:29], v[14:15], v[10:11]
	v_mul_f64 v[10:11], v[12:13], v[10:11]
	v_fma_f64 v[28:29], v[12:13], v[8:9], -v[28:29]
	v_fma_f64 v[10:11], v[14:15], v[8:9], v[10:11]
	v_add_f64 v[8:9], v[48:49], v[28:29]
	v_mul_f64 v[28:29], v[14:15], v[6:7]
	v_mul_f64 v[6:7], v[12:13], v[6:7]
	v_add_f64 v[10:11], v[10:11], v[50:51]
	v_fma_f64 v[28:29], v[12:13], v[4:5], -v[28:29]
	v_fma_f64 v[4:5], v[14:15], v[4:5], v[6:7]
	v_add_f64 v[28:29], v[16:17], v[28:29]
	v_add_f64 v[34:35], v[4:5], v[18:19]
	ds_read_b128 v[12:15], v31 offset:480
	ds_read_b128 v[16:19], v0 offset:15360
	;; [unrolled: 1-line block ×3, first 2 shown]
	s_waitcnt lgkmcnt(1)
	v_mul_f64 v[4:5], v[14:15], v[18:19]
	s_waitcnt lgkmcnt(0)
	v_mul_f64 v[36:37], v[14:15], v[50:51]
	v_mul_f64 v[6:7], v[12:13], v[18:19]
	v_fma_f64 v[4:5], v[12:13], v[16:17], -v[4:5]
	v_fma_f64 v[36:37], v[12:13], v[48:49], -v[36:37]
	v_mul_f64 v[12:13], v[12:13], v[50:51]
	v_fma_f64 v[6:7], v[14:15], v[16:17], v[6:7]
	v_add_f64 v[4:5], v[52:53], v[4:5]
	v_add_f64 v[36:37], v[20:21], v[36:37]
	v_fma_f64 v[12:13], v[14:15], v[48:49], v[12:13]
	v_add_f64 v[6:7], v[6:7], v[54:55]
	v_add_f64 v[38:39], v[12:13], v[22:23]
	ds_read_b128 v[12:15], v31 offset:8672
	s_waitcnt lgkmcnt(0)
	v_mul_f64 v[20:21], v[14:15], v[18:19]
	v_mul_f64 v[18:19], v[12:13], v[18:19]
	v_fma_f64 v[20:21], v[12:13], v[16:17], -v[20:21]
	v_fma_f64 v[16:17], v[14:15], v[16:17], v[18:19]
	v_add_f64 v[52:53], v[8:9], v[20:21]
	v_add_f64 v[54:55], v[16:17], v[10:11]
	v_mul_f64 v[8:9], v[14:15], v[50:51]
	v_mul_f64 v[10:11], v[12:13], v[50:51]
	v_fma_f64 v[8:9], v[12:13], v[48:49], -v[8:9]
	v_fma_f64 v[10:11], v[14:15], v[48:49], v[10:11]
	v_add_f64 v[20:21], v[28:29], v[8:9]
	v_add_f64 v[22:23], v[10:11], v[34:35]
	ds_read_b128 v[12:15], v31 offset:496
	ds_read_b128 v[8:11], v0 offset:15872
	s_waitcnt lgkmcnt(0)
	v_mul_f64 v[16:17], v[14:15], v[10:11]
	v_mul_f64 v[18:19], v[12:13], v[10:11]
	v_fma_f64 v[16:17], v[12:13], v[8:9], -v[16:17]
	v_fma_f64 v[18:19], v[14:15], v[8:9], v[18:19]
	v_add_f64 v[48:49], v[4:5], v[16:17]
	v_add_f64 v[50:51], v[18:19], v[6:7]
	ds_read_b128 v[4:7], v0 offset:16128
	s_waitcnt lgkmcnt(0)
	v_mul_f64 v[16:17], v[14:15], v[6:7]
	v_fma_f64 v[16:17], v[12:13], v[4:5], -v[16:17]
	v_mul_f64 v[12:13], v[12:13], v[6:7]
	v_add_f64 v[16:17], v[36:37], v[16:17]
	v_fma_f64 v[12:13], v[14:15], v[4:5], v[12:13]
	v_add_f64 v[18:19], v[12:13], v[38:39]
	ds_read_b128 v[12:15], v31 offset:8688
	s_waitcnt lgkmcnt(0)
	s_barrier
	v_mul_f64 v[28:29], v[14:15], v[10:11]
	v_mul_f64 v[10:11], v[12:13], v[10:11]
	v_fma_f64 v[28:29], v[12:13], v[8:9], -v[28:29]
	v_fma_f64 v[8:9], v[14:15], v[8:9], v[10:11]
	v_add_f64 v[52:53], v[52:53], v[28:29]
	v_add_f64 v[54:55], v[8:9], v[54:55]
	v_mul_f64 v[8:9], v[14:15], v[6:7]
	v_mul_f64 v[6:7], v[12:13], v[6:7]
	v_fma_f64 v[8:9], v[12:13], v[4:5], -v[8:9]
	v_fma_f64 v[4:5], v[14:15], v[4:5], v[6:7]
	v_add_f64 v[14:15], v[20:21], v[8:9]
	v_add_f64 v[12:13], v[4:5], v[22:23]
	s_cbranch_scc1 .LBB117_56
.LBB117_7:                              ;   Parent Loop BB117_4 Depth=1
                                        ; =>  This Inner Loop Header: Depth=2
	buffer_load_dword v5, off, s[56:59], 0  ; 4-byte Folded Reload
	v_mov_b32_e32 v4, s27
	v_add_co_u32_e64 v8, s[10:11], s26, v26
	v_addc_co_u32_e64 v9, s[10:11], v27, v4, s[10:11]
	v_mov_b32_e32 v4, s23
	v_cmp_le_i64_e64 s[12:13], s[38:39], v[8:9]
	v_cmp_eq_u64_e64 s[16:17], s[26:27], v[32:33]
	s_and_b64 s[48:49], s[36:37], s[16:17]
	s_waitcnt vmcnt(0)
	v_add_co_u32_e64 v6, s[10:11], s22, v5
	buffer_load_dword v5, off, s[56:59], 0 offset:4 ; 4-byte Folded Reload
	s_waitcnt vmcnt(0)
	v_addc_co_u32_e64 v7, s[10:11], v5, v4, s[10:11]
	v_cmp_lt_i64_e64 s[10:11], v[8:9], v[24:25]
	s_or_b64 s[16:17], s[12:13], s[10:11]
	s_or_b64 s[16:17], s[16:17], s[48:49]
	s_nor_b64 s[16:17], s[0:1], s[16:17]
	s_and_saveexec_b64 s[18:19], s[16:17]
	s_xor_b64 s[16:17], exec, s[18:19]
	s_cbranch_execz .LBB117_9
; %bb.8:                                ;   in Loop: Header=BB117_7 Depth=2
	global_load_dwordx4 v[20:23], v[6:7], off
	s_waitcnt vmcnt(0)
	v_xor_b32_e32 v23, 0x80000000, v23
	ds_write_b128 v30, v[20:23]
.LBB117_9:                              ;   in Loop: Header=BB117_7 Depth=2
	s_or_saveexec_b64 s[16:17], s[16:17]
	s_xor_b64 s[44:45], s[48:49], -1
	s_xor_b64 exec, exec, s[16:17]
	s_cbranch_execz .LBB117_15
; %bb.10:                               ;   in Loop: Header=BB117_7 Depth=2
	s_and_saveexec_b64 s[18:19], s[44:45]
	s_xor_b64 s[18:19], exec, s[18:19]
; %bb.11:                               ;   in Loop: Header=BB117_7 Depth=2
	v_mov_b32_e32 v20, v2
	v_mov_b32_e32 v21, v2
	;; [unrolled: 1-line block ×4, first 2 shown]
	ds_write_b128 v30, v[20:23]
; %bb.12:                               ;   in Loop: Header=BB117_7 Depth=2
	s_andn2_saveexec_b64 s[18:19], s[18:19]
; %bb.13:                               ;   in Loop: Header=BB117_7 Depth=2
	v_mov_b32_e32 v4, v2
	v_mov_b32_e32 v5, v2
	ds_write_b128 v30, v[2:5]
; %bb.14:                               ;   in Loop: Header=BB117_7 Depth=2
	s_or_b64 exec, exec, s[18:19]
.LBB117_15:                             ;   in Loop: Header=BB117_7 Depth=2
	s_or_b64 exec, exec, s[16:17]
	buffer_load_dword v4, off, s[56:59], 0 offset:16 ; 4-byte Folded Reload
	buffer_load_dword v5, off, s[56:59], 0 offset:20 ; 4-byte Folded Reload
	s_waitcnt vmcnt(0)
	v_cmp_eq_u64_e64 s[16:17], s[26:27], v[4:5]
	buffer_load_dword v4, off, s[56:59], 0 offset:8 ; 4-byte Folded Reload
	buffer_load_dword v5, off, s[56:59], 0 offset:12 ; 4-byte Folded Reload
	s_and_b64 s[16:17], s[36:37], s[16:17]
	s_waitcnt vmcnt(0)
	v_cmp_gt_i64_e64 s[18:19], v[4:5], v[8:9]
	s_or_b64 s[12:13], s[12:13], s[18:19]
	s_or_b64 s[12:13], s[12:13], s[16:17]
	s_nor_b64 s[12:13], s[2:3], s[12:13]
	s_and_saveexec_b64 s[18:19], s[12:13]
	s_xor_b64 s[18:19], exec, s[18:19]
	s_cbranch_execz .LBB117_17
; %bb.16:                               ;   in Loop: Header=BB117_7 Depth=2
	buffer_load_dword v10, off, s[56:59], 0 offset:24 ; 4-byte Folded Reload
	v_mov_b32_e32 v5, s23
	v_add_co_u32_e64 v4, s[12:13], s22, v43
	s_waitcnt vmcnt(0)
	v_addc_co_u32_e64 v5, s[12:13], v10, v5, s[12:13]
	global_load_dwordx4 v[20:23], v[4:5], off
	s_waitcnt vmcnt(0)
	v_xor_b32_e32 v23, 0x80000000, v23
	ds_write_b128 v30, v[20:23] offset:256
.LBB117_17:                             ;   in Loop: Header=BB117_7 Depth=2
	s_andn2_saveexec_b64 s[12:13], s[18:19]
	s_cbranch_execz .LBB117_23
; %bb.18:                               ;   in Loop: Header=BB117_7 Depth=2
	s_xor_b64 s[16:17], s[16:17], -1
	s_and_saveexec_b64 s[18:19], s[16:17]
	s_xor_b64 s[16:17], exec, s[18:19]
; %bb.19:                               ;   in Loop: Header=BB117_7 Depth=2
	v_mov_b32_e32 v20, v2
	v_mov_b32_e32 v21, v2
	;; [unrolled: 1-line block ×4, first 2 shown]
	ds_write_b128 v30, v[20:23] offset:256
; %bb.20:                               ;   in Loop: Header=BB117_7 Depth=2
	s_andn2_saveexec_b64 s[16:17], s[16:17]
; %bb.21:                               ;   in Loop: Header=BB117_7 Depth=2
	v_mov_b32_e32 v4, v2
	v_mov_b32_e32 v5, v2
	ds_write_b128 v30, v[2:5] offset:256
; %bb.22:                               ;   in Loop: Header=BB117_7 Depth=2
	s_or_b64 exec, exec, s[16:17]
.LBB117_23:                             ;   in Loop: Header=BB117_7 Depth=2
	s_or_b64 exec, exec, s[12:13]
	v_add_co_u32_e64 v4, s[12:13], 16, v8
	v_addc_co_u32_e64 v5, s[12:13], 0, v9, s[12:13]
	v_cmp_le_i64_e64 s[12:13], s[38:39], v[4:5]
	v_cmp_eq_u64_e64 s[16:17], s[26:27], v[40:41]
	v_cmp_lt_i64_e64 s[18:19], v[4:5], v[24:25]
	s_and_b64 s[50:51], s[36:37], s[16:17]
	s_or_b64 s[16:17], s[12:13], s[18:19]
	s_or_b64 s[16:17], s[16:17], s[50:51]
	s_nor_b64 s[16:17], s[0:1], s[16:17]
	s_and_saveexec_b64 s[18:19], s[16:17]
	s_xor_b64 s[16:17], exec, s[18:19]
	s_cbranch_execz .LBB117_25
; %bb.24:                               ;   in Loop: Header=BB117_7 Depth=2
	global_load_dwordx4 v[4:7], v[6:7], off offset:256
	s_waitcnt vmcnt(0)
	v_xor_b32_e32 v7, 0x80000000, v7
	ds_write_b128 v30, v[4:7] offset:8192
.LBB117_25:                             ;   in Loop: Header=BB117_7 Depth=2
	s_andn2_saveexec_b64 s[16:17], s[16:17]
	s_cbranch_execz .LBB117_31
; %bb.26:                               ;   in Loop: Header=BB117_7 Depth=2
	s_xor_b64 s[18:19], s[50:51], -1
	s_and_saveexec_b64 s[50:51], s[18:19]
	s_xor_b64 s[18:19], exec, s[50:51]
; %bb.27:                               ;   in Loop: Header=BB117_7 Depth=2
	v_mov_b32_e32 v4, v2
	v_mov_b32_e32 v5, v2
	;; [unrolled: 1-line block ×4, first 2 shown]
	ds_write_b128 v30, v[4:7] offset:8192
; %bb.28:                               ;   in Loop: Header=BB117_7 Depth=2
	s_andn2_saveexec_b64 s[18:19], s[18:19]
; %bb.29:                               ;   in Loop: Header=BB117_7 Depth=2
	v_mov_b32_e32 v4, v2
	v_mov_b32_e32 v5, v2
	ds_write_b128 v30, v[2:5] offset:8192
; %bb.30:                               ;   in Loop: Header=BB117_7 Depth=2
	s_or_b64 exec, exec, s[18:19]
.LBB117_31:                             ;   in Loop: Header=BB117_7 Depth=2
	s_or_b64 exec, exec, s[16:17]
	s_or_b64 s[10:11], s[12:13], s[10:11]
	s_or_b64 s[10:11], s[10:11], s[48:49]
	s_nor_b64 s[10:11], s[2:3], s[10:11]
	s_and_saveexec_b64 s[12:13], s[10:11]
	s_xor_b64 s[12:13], exec, s[12:13]
	s_cbranch_execz .LBB117_33
; %bb.32:                               ;   in Loop: Header=BB117_7 Depth=2
	buffer_load_dword v6, off, s[56:59], 0 offset:24 ; 4-byte Folded Reload
	v_mov_b32_e32 v5, s23
	v_add_co_u32_e64 v4, s[10:11], s22, v43
	s_waitcnt vmcnt(0)
	v_addc_co_u32_e64 v5, s[10:11], v6, v5, s[10:11]
	global_load_dwordx4 v[4:7], v[4:5], off offset:256
	s_waitcnt vmcnt(0)
	v_xor_b32_e32 v7, 0x80000000, v7
	ds_write_b128 v30, v[4:7] offset:8448
.LBB117_33:                             ;   in Loop: Header=BB117_7 Depth=2
	s_andn2_saveexec_b64 s[10:11], s[12:13]
	s_cbranch_execz .LBB117_39
; %bb.34:                               ;   in Loop: Header=BB117_7 Depth=2
	s_and_saveexec_b64 s[12:13], s[44:45]
	s_xor_b64 s[12:13], exec, s[12:13]
; %bb.35:                               ;   in Loop: Header=BB117_7 Depth=2
	v_mov_b32_e32 v4, v2
	v_mov_b32_e32 v5, v2
	;; [unrolled: 1-line block ×4, first 2 shown]
	ds_write_b128 v30, v[4:7] offset:8448
; %bb.36:                               ;   in Loop: Header=BB117_7 Depth=2
	s_andn2_saveexec_b64 s[12:13], s[12:13]
; %bb.37:                               ;   in Loop: Header=BB117_7 Depth=2
	v_mov_b32_e32 v4, v2
	v_mov_b32_e32 v5, v2
	ds_write_b128 v30, v[2:5] offset:8448
; %bb.38:                               ;   in Loop: Header=BB117_7 Depth=2
	s_or_b64 exec, exec, s[12:13]
.LBB117_39:                             ;   in Loop: Header=BB117_7 Depth=2
	s_or_b64 exec, exec, s[10:11]
	v_mov_b32_e32 v5, s27
	v_add_co_u32_e64 v4, s[10:11], s26, v24
	v_addc_co_u32_e64 v5, s[10:11], v25, v5, s[10:11]
	v_cmp_gt_i64_e64 s[10:11], s[38:39], v[4:5]
	s_and_b64 s[12:13], vcc, s[10:11]
	s_xor_b64 s[12:13], s[12:13], -1
	s_and_saveexec_b64 s[16:17], s[12:13]
	s_xor_b64 s[12:13], exec, s[16:17]
; %bb.40:                               ;   in Loop: Header=BB117_7 Depth=2
	v_mov_b32_e32 v6, v2
	v_mov_b32_e32 v7, v2
	v_mov_b32_e32 v8, v2
	v_mov_b32_e32 v9, v2
	ds_write_b128 v42, v[6:9]
; %bb.41:                               ;   in Loop: Header=BB117_7 Depth=2
	s_or_saveexec_b64 s[16:17], s[12:13]
	v_mov_b32_e32 v7, s23
	v_add_co_u32_e64 v6, s[12:13], s22, v44
	v_addc_co_u32_e64 v7, s[12:13], v45, v7, s[12:13]
	s_xor_b64 exec, exec, s[16:17]
	s_cbranch_execz .LBB117_43
; %bb.42:                               ;   in Loop: Header=BB117_7 Depth=2
	global_load_dwordx4 v[8:11], v[6:7], off offset:-256
	s_waitcnt vmcnt(0)
	ds_write2_b64 v42, v[8:9], v[10:11] offset1:1
.LBB117_43:                             ;   in Loop: Header=BB117_7 Depth=2
	s_or_b64 exec, exec, s[16:17]
	v_cmp_gt_i64_e64 s[12:13], s[42:43], v[4:5]
	s_and_b64 s[16:17], vcc, s[12:13]
	s_xor_b64 s[16:17], s[16:17], -1
	s_and_saveexec_b64 s[18:19], s[16:17]
	s_xor_b64 s[16:17], exec, s[18:19]
; %bb.44:                               ;   in Loop: Header=BB117_7 Depth=2
	v_mov_b32_e32 v4, v2
	v_mov_b32_e32 v5, v2
	;; [unrolled: 1-line block ×4, first 2 shown]
	ds_write_b128 v42, v[4:7] offset:256
                                        ; implicit-def: $vgpr6_vgpr7
; %bb.45:                               ;   in Loop: Header=BB117_7 Depth=2
	s_andn2_saveexec_b64 s[16:17], s[16:17]
	s_cbranch_execz .LBB117_47
; %bb.46:                               ;   in Loop: Header=BB117_7 Depth=2
	global_load_dwordx4 v[4:7], v[6:7], off
	v_add_u32_e32 v8, 0x100, v42
	s_waitcnt vmcnt(0)
	ds_write2_b64 v8, v[4:5], v[6:7] offset1:1
.LBB117_47:                             ;   in Loop: Header=BB117_7 Depth=2
	s_or_b64 exec, exec, s[16:17]
	s_and_b64 s[10:11], s[8:9], s[10:11]
	s_xor_b64 s[10:11], s[10:11], -1
	s_and_saveexec_b64 s[16:17], s[10:11]
	s_xor_b64 s[10:11], exec, s[16:17]
; %bb.48:                               ;   in Loop: Header=BB117_7 Depth=2
	v_mov_b32_e32 v4, v2
	v_mov_b32_e32 v5, v2
	;; [unrolled: 1-line block ×4, first 2 shown]
	ds_write_b128 v42, v[4:7] offset:8192
; %bb.49:                               ;   in Loop: Header=BB117_7 Depth=2
	s_or_saveexec_b64 s[16:17], s[10:11]
	v_mov_b32_e32 v5, s23
	v_add_co_u32_e64 v4, s[10:11], s22, v46
	v_addc_co_u32_e64 v5, s[10:11], v47, v5, s[10:11]
	s_xor_b64 exec, exec, s[16:17]
	s_cbranch_execz .LBB117_51
; %bb.50:                               ;   in Loop: Header=BB117_7 Depth=2
	global_load_dwordx4 v[6:9], v[4:5], off offset:-256
	v_add_u32_e32 v10, 0x2000, v42
	s_waitcnt vmcnt(0)
	ds_write2_b64 v10, v[6:7], v[8:9] offset1:1
.LBB117_51:                             ;   in Loop: Header=BB117_7 Depth=2
	s_or_b64 exec, exec, s[16:17]
	s_and_b64 s[10:11], s[8:9], s[12:13]
	s_xor_b64 s[10:11], s[10:11], -1
	s_and_saveexec_b64 s[12:13], s[10:11]
	s_xor_b64 s[10:11], exec, s[12:13]
; %bb.52:                               ;   in Loop: Header=BB117_7 Depth=2
	v_mov_b32_e32 v4, v2
	v_mov_b32_e32 v5, v2
	;; [unrolled: 1-line block ×4, first 2 shown]
	ds_write_b128 v42, v[4:7] offset:8448
                                        ; implicit-def: $vgpr4_vgpr5
; %bb.53:                               ;   in Loop: Header=BB117_7 Depth=2
	s_andn2_saveexec_b64 s[10:11], s[10:11]
	s_cbranch_execz .LBB117_6
; %bb.54:                               ;   in Loop: Header=BB117_7 Depth=2
	global_load_dwordx4 v[4:7], v[4:5], off
	v_add_u32_e32 v8, 0x2100, v42
	s_waitcnt vmcnt(0)
	ds_write2_b64 v8, v[4:5], v[6:7] offset1:1
	s_branch .LBB117_6
.LBB117_55:                             ;   in Loop: Header=BB117_4 Depth=1
	v_mov_b32_e32 v48, 0
	v_mov_b32_e32 v50, 0
	;; [unrolled: 1-line block ×16, first 2 shown]
	buffer_store_dword v20, off, s[56:59], 0 offset:32 ; 4-byte Folded Spill
	s_nop 0
	buffer_store_dword v21, off, s[56:59], 0 offset:36 ; 4-byte Folded Spill
.LBB117_56:                             ;   in Loop: Header=BB117_4 Depth=1
	buffer_load_dword v7, off, s[56:59], 0 offset:28 ; 4-byte Folded Reload
	v_mul_lo_u32 v1, s40, v1
	s_waitcnt vmcnt(0)
	v_mul_lo_u32 v6, s41, v7
	v_mad_u64_u32 v[4:5], s[8:9], s40, v7, 0
	v_cmp_gt_i32_e32 vcc, s46, v7
	v_add3_u32 v5, v5, v1, v6
	v_lshlrev_b64 v[4:5], 4, v[4:5]
	v_mov_b32_e32 v6, s52
	v_add_co_u32_e64 v1, s[8:9], s47, v4
	v_addc_co_u32_e64 v4, s[8:9], v6, v5, s[8:9]
	s_and_b64 s[8:9], s[4:5], vcc
	s_and_saveexec_b64 s[10:11], s[8:9]
	s_cbranch_execz .LBB117_58
; %bb.57:                               ;   in Loop: Header=BB117_4 Depth=1
	v_lshlrev_b64 v[5:6], 4, v[24:25]
	v_mul_f64 v[20:21], s[30:31], v[50:51]
	v_add_co_u32_e64 v9, s[8:9], v1, v5
	v_addc_co_u32_e64 v10, s[8:9], v4, v6, s[8:9]
	global_load_dwordx4 v[5:8], v[9:10], off
	v_mul_f64 v[22:23], s[28:29], v[50:51]
	v_fma_f64 v[20:21], s[28:29], v[48:49], -v[20:21]
	v_fma_f64 v[22:23], s[30:31], v[48:49], v[22:23]
	s_waitcnt vmcnt(0)
	v_add_f64 v[5:6], v[5:6], v[20:21]
	v_add_f64 v[7:8], v[22:23], v[7:8]
	global_store_dwordx4 v[9:10], v[5:8], off
.LBB117_58:                             ;   in Loop: Header=BB117_4 Depth=1
	s_or_b64 exec, exec, s[10:11]
	s_and_b64 s[10:11], s[14:15], vcc
	s_and_saveexec_b64 s[8:9], s[10:11]
	s_cbranch_execz .LBB117_60
; %bb.59:                               ;   in Loop: Header=BB117_4 Depth=1
	buffer_load_dword v5, off, s[56:59], 0 offset:44 ; 4-byte Folded Reload
	buffer_load_dword v6, off, s[56:59], 0 offset:48 ; 4-byte Folded Reload
	v_mul_f64 v[10:11], s[30:31], v[18:19]
	v_mul_f64 v[18:19], s[28:29], v[18:19]
	v_fma_f64 v[10:11], s[28:29], v[16:17], -v[10:11]
	v_fma_f64 v[16:17], s[30:31], v[16:17], v[18:19]
	s_waitcnt vmcnt(0)
	v_lshlrev_b64 v[5:6], 4, v[5:6]
	v_add_co_u32_e32 v8, vcc, v1, v5
	v_addc_co_u32_e32 v9, vcc, v4, v6, vcc
	global_load_dwordx4 v[4:7], v[8:9], off
	s_waitcnt vmcnt(0)
	v_add_f64 v[4:5], v[4:5], v[10:11]
	v_add_f64 v[6:7], v[16:17], v[6:7]
	global_store_dwordx4 v[8:9], v[4:7], off
.LBB117_60:                             ;   in Loop: Header=BB117_4 Depth=1
	s_or_b64 exec, exec, s[8:9]
	buffer_load_dword v1, off, s[56:59], 0 offset:28 ; 4-byte Folded Reload
	s_waitcnt vmcnt(0)
	v_add_u32_e32 v1, 16, v1
	v_ashrrev_i32_e32 v4, 31, v1
	v_mul_lo_u32 v6, s40, v4
	v_mul_lo_u32 v7, s41, v1
	v_mad_u64_u32 v[4:5], s[8:9], s40, v1, 0
	v_cmp_gt_i32_e32 vcc, s46, v1
	v_add3_u32 v5, v5, v6, v7
	v_lshlrev_b64 v[4:5], 4, v[4:5]
	v_mov_b32_e32 v6, s52
	v_add_co_u32_e64 v1, s[8:9], s47, v4
	v_addc_co_u32_e64 v4, s[8:9], v6, v5, s[8:9]
	s_and_b64 s[8:9], s[4:5], vcc
	s_mov_b64 s[10:11], exec
	buffer_load_dword v20, off, s[56:59], 0 offset:32 ; 4-byte Folded Reload
	buffer_load_dword v21, off, s[56:59], 0 offset:36 ; 4-byte Folded Reload
	s_and_b64 s[8:9], s[10:11], s[8:9]
	s_mov_b64 exec, s[8:9]
	s_cbranch_execz .LBB117_62
; %bb.61:                               ;   in Loop: Header=BB117_4 Depth=1
	v_lshlrev_b64 v[5:6], 4, v[24:25]
	v_mul_f64 v[16:17], s[30:31], v[54:55]
	v_add_co_u32_e64 v9, s[8:9], v1, v5
	v_addc_co_u32_e64 v10, s[8:9], v4, v6, s[8:9]
	global_load_dwordx4 v[5:8], v[9:10], off
	v_mul_f64 v[18:19], s[28:29], v[54:55]
	v_fma_f64 v[16:17], s[28:29], v[52:53], -v[16:17]
	v_fma_f64 v[18:19], s[30:31], v[52:53], v[18:19]
	s_waitcnt vmcnt(0)
	v_add_f64 v[5:6], v[5:6], v[16:17]
	v_add_f64 v[7:8], v[18:19], v[7:8]
	global_store_dwordx4 v[9:10], v[5:8], off
.LBB117_62:                             ;   in Loop: Header=BB117_4 Depth=1
	s_or_b64 exec, exec, s[10:11]
	s_and_b64 s[10:11], s[14:15], vcc
	s_and_saveexec_b64 s[8:9], s[10:11]
	s_cbranch_execz .LBB117_3
; %bb.63:                               ;   in Loop: Header=BB117_4 Depth=1
	buffer_load_dword v5, off, s[56:59], 0 offset:44 ; 4-byte Folded Reload
	buffer_load_dword v6, off, s[56:59], 0 offset:48 ; 4-byte Folded Reload
	v_mul_f64 v[10:11], s[30:31], v[12:13]
	v_mul_f64 v[12:13], s[28:29], v[12:13]
	v_fma_f64 v[10:11], s[28:29], v[14:15], -v[10:11]
	v_fma_f64 v[12:13], s[30:31], v[14:15], v[12:13]
	s_waitcnt vmcnt(0)
	v_lshlrev_b64 v[5:6], 4, v[5:6]
	v_add_co_u32_e32 v8, vcc, v1, v5
	v_addc_co_u32_e32 v9, vcc, v4, v6, vcc
	global_load_dwordx4 v[4:7], v[8:9], off
	s_waitcnt vmcnt(0)
	v_add_f64 v[4:5], v[4:5], v[10:11]
	v_add_f64 v[6:7], v[12:13], v[6:7]
	global_store_dwordx4 v[8:9], v[4:7], off
	s_branch .LBB117_3
.LBB117_64:
	s_endpgm
	.section	.rodata,"a",@progbits
	.p2align	6, 0x0
	.amdhsa_kernel _ZL30rocblas_trmm_outofplace_kernelI19rocblas_complex_numIdELi32ELi2ELb1ELb0ELb1ELb1ES1_KS1_S1_Ev17rocblas_diagonal_iiT6_lPT7_lllS6_lllPT8_llli
		.amdhsa_group_segment_fixed_size 32768
		.amdhsa_private_segment_fixed_size 64
		.amdhsa_kernarg_size 400
		.amdhsa_user_sgpr_count 6
		.amdhsa_user_sgpr_private_segment_buffer 1
		.amdhsa_user_sgpr_dispatch_ptr 0
		.amdhsa_user_sgpr_queue_ptr 0
		.amdhsa_user_sgpr_kernarg_segment_ptr 1
		.amdhsa_user_sgpr_dispatch_id 0
		.amdhsa_user_sgpr_flat_scratch_init 0
		.amdhsa_user_sgpr_private_segment_size 0
		.amdhsa_uses_dynamic_stack 0
		.amdhsa_system_sgpr_private_segment_wavefront_offset 1
		.amdhsa_system_sgpr_workgroup_id_x 1
		.amdhsa_system_sgpr_workgroup_id_y 1
		.amdhsa_system_sgpr_workgroup_id_z 1
		.amdhsa_system_sgpr_workgroup_info 0
		.amdhsa_system_vgpr_workitem_id 1
		.amdhsa_next_free_vgpr 64
		.amdhsa_next_free_sgpr 61
		.amdhsa_reserve_vcc 1
		.amdhsa_reserve_flat_scratch 0
		.amdhsa_float_round_mode_32 0
		.amdhsa_float_round_mode_16_64 0
		.amdhsa_float_denorm_mode_32 3
		.amdhsa_float_denorm_mode_16_64 3
		.amdhsa_dx10_clamp 1
		.amdhsa_ieee_mode 1
		.amdhsa_fp16_overflow 0
		.amdhsa_exception_fp_ieee_invalid_op 0
		.amdhsa_exception_fp_denorm_src 0
		.amdhsa_exception_fp_ieee_div_zero 0
		.amdhsa_exception_fp_ieee_overflow 0
		.amdhsa_exception_fp_ieee_underflow 0
		.amdhsa_exception_fp_ieee_inexact 0
		.amdhsa_exception_int_div_zero 0
	.end_amdhsa_kernel
	.section	.text._ZL30rocblas_trmm_outofplace_kernelI19rocblas_complex_numIdELi32ELi2ELb1ELb0ELb1ELb1ES1_KS1_S1_Ev17rocblas_diagonal_iiT6_lPT7_lllS6_lllPT8_llli,"axG",@progbits,_ZL30rocblas_trmm_outofplace_kernelI19rocblas_complex_numIdELi32ELi2ELb1ELb0ELb1ELb1ES1_KS1_S1_Ev17rocblas_diagonal_iiT6_lPT7_lllS6_lllPT8_llli,comdat
.Lfunc_end117:
	.size	_ZL30rocblas_trmm_outofplace_kernelI19rocblas_complex_numIdELi32ELi2ELb1ELb0ELb1ELb1ES1_KS1_S1_Ev17rocblas_diagonal_iiT6_lPT7_lllS6_lllPT8_llli, .Lfunc_end117-_ZL30rocblas_trmm_outofplace_kernelI19rocblas_complex_numIdELi32ELi2ELb1ELb0ELb1ELb1ES1_KS1_S1_Ev17rocblas_diagonal_iiT6_lPT7_lllS6_lllPT8_llli
                                        ; -- End function
	.set _ZL30rocblas_trmm_outofplace_kernelI19rocblas_complex_numIdELi32ELi2ELb1ELb0ELb1ELb1ES1_KS1_S1_Ev17rocblas_diagonal_iiT6_lPT7_lllS6_lllPT8_llli.num_vgpr, 64
	.set _ZL30rocblas_trmm_outofplace_kernelI19rocblas_complex_numIdELi32ELi2ELb1ELb0ELb1ELb1ES1_KS1_S1_Ev17rocblas_diagonal_iiT6_lPT7_lllS6_lllPT8_llli.num_agpr, 0
	.set _ZL30rocblas_trmm_outofplace_kernelI19rocblas_complex_numIdELi32ELi2ELb1ELb0ELb1ELb1ES1_KS1_S1_Ev17rocblas_diagonal_iiT6_lPT7_lllS6_lllPT8_llli.numbered_sgpr, 60
	.set _ZL30rocblas_trmm_outofplace_kernelI19rocblas_complex_numIdELi32ELi2ELb1ELb0ELb1ELb1ES1_KS1_S1_Ev17rocblas_diagonal_iiT6_lPT7_lllS6_lllPT8_llli.num_named_barrier, 0
	.set _ZL30rocblas_trmm_outofplace_kernelI19rocblas_complex_numIdELi32ELi2ELb1ELb0ELb1ELb1ES1_KS1_S1_Ev17rocblas_diagonal_iiT6_lPT7_lllS6_lllPT8_llli.private_seg_size, 64
	.set _ZL30rocblas_trmm_outofplace_kernelI19rocblas_complex_numIdELi32ELi2ELb1ELb0ELb1ELb1ES1_KS1_S1_Ev17rocblas_diagonal_iiT6_lPT7_lllS6_lllPT8_llli.uses_vcc, 1
	.set _ZL30rocblas_trmm_outofplace_kernelI19rocblas_complex_numIdELi32ELi2ELb1ELb0ELb1ELb1ES1_KS1_S1_Ev17rocblas_diagonal_iiT6_lPT7_lllS6_lllPT8_llli.uses_flat_scratch, 0
	.set _ZL30rocblas_trmm_outofplace_kernelI19rocblas_complex_numIdELi32ELi2ELb1ELb0ELb1ELb1ES1_KS1_S1_Ev17rocblas_diagonal_iiT6_lPT7_lllS6_lllPT8_llli.has_dyn_sized_stack, 0
	.set _ZL30rocblas_trmm_outofplace_kernelI19rocblas_complex_numIdELi32ELi2ELb1ELb0ELb1ELb1ES1_KS1_S1_Ev17rocblas_diagonal_iiT6_lPT7_lllS6_lllPT8_llli.has_recursion, 0
	.set _ZL30rocblas_trmm_outofplace_kernelI19rocblas_complex_numIdELi32ELi2ELb1ELb0ELb1ELb1ES1_KS1_S1_Ev17rocblas_diagonal_iiT6_lPT7_lllS6_lllPT8_llli.has_indirect_call, 0
	.section	.AMDGPU.csdata,"",@progbits
; Kernel info:
; codeLenInByte = 10464
; TotalNumSgprs: 64
; NumVgprs: 64
; ScratchSize: 64
; MemoryBound: 0
; FloatMode: 240
; IeeeMode: 1
; LDSByteSize: 32768 bytes/workgroup (compile time only)
; SGPRBlocks: 8
; VGPRBlocks: 15
; NumSGPRsForWavesPerEU: 65
; NumVGPRsForWavesPerEU: 64
; Occupancy: 4
; WaveLimiterHint : 0
; COMPUTE_PGM_RSRC2:SCRATCH_EN: 1
; COMPUTE_PGM_RSRC2:USER_SGPR: 6
; COMPUTE_PGM_RSRC2:TRAP_HANDLER: 0
; COMPUTE_PGM_RSRC2:TGID_X_EN: 1
; COMPUTE_PGM_RSRC2:TGID_Y_EN: 1
; COMPUTE_PGM_RSRC2:TGID_Z_EN: 1
; COMPUTE_PGM_RSRC2:TIDIG_COMP_CNT: 1
	.section	.text._ZL30rocblas_trmm_outofplace_kernelI19rocblas_complex_numIdELi32ELi2ELb1ELb1ELb1ELb1EPKS1_S2_S1_Ev17rocblas_diagonal_iiT6_lPT7_lllS7_lllPT8_llli,"axG",@progbits,_ZL30rocblas_trmm_outofplace_kernelI19rocblas_complex_numIdELi32ELi2ELb1ELb1ELb1ELb1EPKS1_S2_S1_Ev17rocblas_diagonal_iiT6_lPT7_lllS7_lllPT8_llli,comdat
	.globl	_ZL30rocblas_trmm_outofplace_kernelI19rocblas_complex_numIdELi32ELi2ELb1ELb1ELb1ELb1EPKS1_S2_S1_Ev17rocblas_diagonal_iiT6_lPT7_lllS7_lllPT8_llli ; -- Begin function _ZL30rocblas_trmm_outofplace_kernelI19rocblas_complex_numIdELi32ELi2ELb1ELb1ELb1ELb1EPKS1_S2_S1_Ev17rocblas_diagonal_iiT6_lPT7_lllS7_lllPT8_llli
	.p2align	8
	.type	_ZL30rocblas_trmm_outofplace_kernelI19rocblas_complex_numIdELi32ELi2ELb1ELb1ELb1ELb1EPKS1_S2_S1_Ev17rocblas_diagonal_iiT6_lPT7_lllS7_lllPT8_llli,@function
_ZL30rocblas_trmm_outofplace_kernelI19rocblas_complex_numIdELi32ELi2ELb1ELb1ELb1ELb1EPKS1_S2_S1_Ev17rocblas_diagonal_iiT6_lPT7_lllS7_lllPT8_llli: ; @_ZL30rocblas_trmm_outofplace_kernelI19rocblas_complex_numIdELi32ELi2ELb1ELb1ELb1ELb1EPKS1_S2_S1_Ev17rocblas_diagonal_iiT6_lPT7_lllS7_lllPT8_llli
; %bb.0:
	s_load_dwordx16 s[12:27], s[4:5], 0x10
	s_mov_b64 s[58:59], s[2:3]
	s_mov_b64 s[56:57], s[0:1]
	s_add_u32 s56, s56, s9
	s_addc_u32 s57, s57, 0
	s_waitcnt lgkmcnt(0)
	s_mul_i32 s0, s15, s8
	s_mul_hi_u32 s1, s14, s8
	s_add_i32 s1, s1, s0
	s_mul_i32 s0, s14, s8
	s_lshl_b64 s[0:1], s[0:1], 4
	s_add_u32 s0, s12, s0
	s_addc_u32 s1, s13, s1
	s_load_dwordx4 s[28:31], s[0:1], 0x0
	s_waitcnt lgkmcnt(0)
	v_cmp_eq_f64_e64 s[0:1], s[28:29], 0
	v_cmp_eq_f64_e64 s[2:3], s[30:31], 0
	s_and_b64 s[0:1], s[0:1], s[2:3]
	s_and_b64 vcc, exec, s[0:1]
	s_cbranch_vccnz .LBB118_63
; %bb.1:
	s_load_dwordx4 s[44:47], s[4:5], 0x0
	s_waitcnt lgkmcnt(0)
	s_add_i32 s0, s46, -1
	s_ashr_i32 s1, s0, 31
	s_lshr_b32 s1, s1, 27
	s_add_i32 s0, s0, s1
	s_ashr_i32 s33, s0, 5
	s_cmp_gt_i32 s7, s33
	s_cbranch_scc1 .LBB118_63
; %bb.2:
	s_mul_i32 s0, s23, s8
	s_mul_hi_u32 s1, s22, s8
	s_load_dwordx8 s[36:43], s[4:5], 0x50
	s_load_dwordx4 s[48:51], s[4:5], 0x70
	s_add_i32 s1, s1, s0
	s_mul_i32 s0, s22, s8
	s_lshl_b64 s[10:11], s[0:1], 4
	s_add_u32 s0, s16, s10
	s_addc_u32 s1, s17, s11
	s_lshl_b64 s[12:13], s[18:19], 4
	s_add_u32 s2, s0, s12
	s_addc_u32 s3, s1, s13
	s_waitcnt lgkmcnt(0)
	s_mul_i32 s0, s51, s8
	s_mul_hi_u32 s1, s50, s8
	s_add_i32 s1, s1, s0
	s_mul_i32 s0, s50, s8
	s_lshl_b64 s[0:1], s[0:1], 4
	s_load_dword s47, s[4:5], 0x8c
	s_add_u32 s4, s40, s0
	s_addc_u32 s5, s41, s1
	s_lshl_b64 s[0:1], s[42:43], 4
	s_add_u32 s52, s4, s0
	s_addc_u32 s53, s5, s1
	s_lshl_b32 s54, s6, 5
	v_add_u32_e32 v24, s54, v0
	v_ashrrev_i32_e32 v25, 31, v24
	v_mul_lo_u32 v4, s20, v25
	v_mul_lo_u32 v5, s21, v24
	v_mad_u64_u32 v[2:3], s[0:1], s20, v24, 0
	v_lshlrev_b32_e32 v6, 4, v1
	v_lshlrev_b32_e32 v34, 4, v0
	v_add3_u32 v3, v3, v4, v5
	v_lshlrev_b64 v[2:3], 4, v[2:3]
	v_mov_b32_e32 v4, s3
	v_add_co_u32_e32 v2, vcc, s2, v2
	v_addc_co_u32_e32 v3, vcc, v4, v3, vcc
	v_add_co_u32_e32 v2, vcc, v2, v6
	buffer_store_dword v2, off, s[56:59], 0 ; 4-byte Folded Spill
	v_addc_co_u32_e32 v2, vcc, 0, v3, vcc
	buffer_store_dword v2, off, s[56:59], 0 offset:4 ; 4-byte Folded Spill
	v_lshlrev_b32_e32 v2, 9, v1
	v_add_u32_e32 v35, v34, v2
	v_add_u32_e32 v32, 0x4000, v2
	v_add_co_u32_e32 v2, vcc, 16, v24
	v_addc_co_u32_e32 v3, vcc, 0, v25, vcc
	buffer_store_dword v2, off, s[56:59], 0 offset:8 ; 4-byte Folded Spill
	s_nop 0
	buffer_store_dword v3, off, s[56:59], 0 offset:12 ; 4-byte Folded Spill
	s_cmp_gt_i32 s6, -1
	s_cselect_b64 s[22:23], -1, 0
	s_cmpk_eq_i32 s44, 0x84
	s_cselect_b64 s[34:35], -1, 0
	s_ashr_i32 s41, s45, 31
	s_ashr_i32 s6, s46, 31
	s_add_u32 s42, s45, -16
	s_mul_i32 s9, s39, s8
	s_mul_hi_u32 s18, s38, s8
	s_addc_u32 s43, s41, -1
	s_add_i32 s9, s18, s9
	s_mul_i32 s8, s38, s8
	v_sub_co_u32_e32 v9, vcc, v24, v1
	s_lshl_b64 s[8:9], s[8:9], 4
	s_lshl_b64 s[18:19], s[26:27], 4
	s_mov_b32 s40, s45
	v_subbrev_co_u32_e32 v10, vcc, 0, v25, vcc
	s_add_u32 s8, s8, s18
	s_addc_u32 s9, s9, s19
	s_add_u32 s8, s24, s8
	s_addc_u32 s9, s25, s9
	s_movk_i32 s44, 0x100
	s_lshl_b64 s[24:25], s[36:37], 4
	s_waitcnt lgkmcnt(0)
	s_lshl_b32 s55, s47, 5
	v_add_u32_e32 v4, 16, v24
	v_ashrrev_i32_e32 v5, 31, v4
	v_cmp_gt_i32_e64 s[14:15], s45, v4
	v_mov_b32_e32 v38, v10
	v_lshlrev_b64 v[4:5], 4, v[4:5]
	v_cmp_le_i32_e64 s[0:1], s45, v24
	v_cmp_gt_i32_e64 s[4:5], s45, v24
	v_mov_b32_e32 v37, v9
	v_add_u32_e32 v39, v32, v34
	v_lshl_add_u32 v20, s7, 5, v1
	v_cmp_le_i64_e64 s[2:3], s[40:41], v[2:3]
	v_add_co_u32_e32 v2, vcc, 16, v9
	v_addc_co_u32_e32 v3, vcc, 0, v10, vcc
	buffer_store_dword v2, off, s[56:59], 0 offset:16 ; 4-byte Folded Spill
	s_nop 0
	buffer_store_dword v3, off, s[56:59], 0 offset:20 ; 4-byte Folded Spill
	v_mov_b32_e32 v2, s9
	v_add_co_u32_e32 v3, vcc, s8, v34
	v_addc_co_u32_e32 v2, vcc, 0, v2, vcc
	v_add_co_u32_e32 v7, vcc, s44, v3
	v_addc_co_u32_e32 v8, vcc, 0, v2, vcc
	v_lshlrev_b64 v[2:3], 4, v[24:25]
	buffer_store_dword v7, off, s[56:59], 0 offset:48 ; 4-byte Folded Spill
	s_nop 0
	buffer_store_dword v8, off, s[56:59], 0 offset:52 ; 4-byte Folded Spill
	v_add_co_u32_e32 v7, vcc, s44, v2
	s_add_u32 s8, s12, s10
	v_addc_co_u32_e32 v8, vcc, 0, v3, vcc
	s_addc_u32 s9, s13, s11
	v_mov_b32_e32 v2, s8
	v_mov_b32_e32 v3, s9
	v_mad_u64_u32 v[2:3], s[8:9], s20, v7, v[2:3]
	v_mul_lo_u32 v8, s20, v8
	v_mul_lo_u32 v7, s21, v7
	v_add_co_u32_e32 v28, vcc, -16, v9
	v_addc_co_u32_e32 v29, vcc, -1, v10, vcc
	v_add3_u32 v3, v7, v3, v8
	v_add_co_u32_e32 v2, vcc, v2, v6
	v_addc_co_u32_e32 v3, vcc, 0, v3, vcc
	v_mov_b32_e32 v6, s17
	v_add_co_u32_e32 v33, vcc, s16, v2
	v_addc_co_u32_e32 v36, vcc, v6, v3, vcc
	v_mov_b32_e32 v2, 0
	v_mov_b32_e32 v3, 0x3ff00000
	buffer_store_dword v4, off, s[56:59], 0 offset:40 ; 4-byte Folded Spill
	s_nop 0
	buffer_store_dword v5, off, s[56:59], 0 offset:44 ; 4-byte Folded Spill
	s_branch .LBB118_4
.LBB118_3:                              ;   in Loop: Header=BB118_4 Depth=1
	s_or_b64 exec, exec, s[8:9]
	s_add_i32 s7, s47, s7
	s_cmp_le_i32 s7, s33
	s_waitcnt vmcnt(1)
	v_add_u32_e32 v20, s55, v20
	s_cbranch_scc0 .LBB118_63
.LBB118_4:                              ; =>This Loop Header: Depth=1
                                        ;     Child Loop BB118_7 Depth 2
	v_lshl_add_u32 v4, s7, 5, v1
	v_mov_b32_e32 v46, 0
	v_mov_b32_e32 v48, 0
	;; [unrolled: 1-line block ×8, first 2 shown]
	buffer_store_dword v20, off, s[56:59], 0 offset:28 ; 4-byte Folded Spill
	s_waitcnt vmcnt(1)
	buffer_store_dword v21, off, s[56:59], 0 offset:32 ; 4-byte Folded Spill
	v_mov_b32_e32 v47, 0
	s_andn2_b64 vcc, exec, s[22:23]
	v_mov_b32_e32 v49, 0
	v_mov_b32_e32 v17, 0
	;; [unrolled: 1-line block ×7, first 2 shown]
	buffer_store_dword v4, off, s[56:59], 0 offset:24 ; 4-byte Folded Spill
	v_ashrrev_i32_e32 v4, 31, v4
	buffer_store_dword v4, off, s[56:59], 0 offset:36 ; 4-byte Folded Spill
	s_cbranch_vccnz .LBB118_55
; %bb.5:                                ;   in Loop: Header=BB118_4 Depth=1
	buffer_load_dword v4, off, s[56:59], 0 offset:28 ; 4-byte Folded Reload
	buffer_load_dword v5, off, s[56:59], 0 offset:32 ; 4-byte Folded Reload
	;; [unrolled: 1-line block ×4, first 2 shown]
	v_mov_b32_e32 v14, 0
	v_mov_b32_e32 v52, 0
	;; [unrolled: 1-line block ×7, first 2 shown]
	s_mov_b64 s[20:21], 0
	v_mov_b32_e32 v15, 0
	v_mov_b32_e32 v53, 0
	;; [unrolled: 1-line block ×7, first 2 shown]
	s_mov_b64 s[26:27], 0
	s_waitcnt vmcnt(3)
	v_mov_b32_e32 v11, v4
	v_ashrrev_i32_e32 v12, 31, v11
	buffer_store_dword v4, off, s[56:59], 0 offset:28 ; 4-byte Folded Spill
	s_waitcnt vmcnt(3)
	buffer_store_dword v5, off, s[56:59], 0 offset:32 ; 4-byte Folded Spill
	s_waitcnt vmcnt(2)
	v_mad_u64_u32 v[42:43], s[8:9], s24, v11, v[9:10]
	v_mul_lo_u32 v6, s25, v11
	v_mul_lo_u32 v7, s24, v12
	v_lshlrev_b64 v[4:5], 4, v[11:12]
	v_mov_b32_e32 v12, 0
	v_add_co_u32_e32 v4, vcc, 0x100, v4
	v_mul_lo_u32 v8, s37, v4
	v_mad_u64_u32 v[44:45], s[8:9], s36, v4, v[9:10]
	buffer_load_dword v4, off, s[56:59], 0 offset:24 ; 4-byte Folded Reload
	v_add3_u32 v43, v6, v43, v7
	buffer_load_dword v6, off, s[56:59], 0 offset:36 ; 4-byte Folded Reload
	v_addc_co_u32_e32 v5, vcc, 0, v5, vcc
	v_mul_lo_u32 v5, s36, v5
	v_mov_b32_e32 v13, 0
	v_add3_u32 v45, v8, v45, v5
	v_mov_b32_e32 v5, s6
	s_waitcnt vmcnt(1)
	v_sub_co_u32_e32 v4, vcc, s46, v4
	s_waitcnt vmcnt(0)
	v_subb_co_u32_e32 v5, vcc, v5, v6, vcc
	v_cmp_lt_i64_e32 vcc, 0, v[4:5]
	v_cmp_lt_i64_e64 s[8:9], 16, v[4:5]
	s_branch .LBB118_7
.LBB118_6:                              ;   in Loop: Header=BB118_7 Depth=2
	s_or_b64 exec, exec, s[10:11]
	s_waitcnt lgkmcnt(0)
	s_barrier
	ds_read_b128 v[54:57], v32
	ds_read_b128 v[20:23], v32 offset:16
	ds_read_b128 v[8:11], v32 offset:32
	;; [unrolled: 1-line block ×3, first 2 shown]
	ds_read_b128 v[58:61], v34
	s_add_u32 s26, s26, 32
	s_addc_u32 s27, s27, 0
	s_sub_i32 s10, s26, 32
	s_add_u32 s20, s20, 0x200
	s_waitcnt lgkmcnt(0)
	v_mul_f64 v[40:41], v[56:57], v[60:61]
	v_mul_f64 v[62:63], v[54:55], v[60:61]
	s_addc_u32 s21, s21, 0
	s_cmp_ge_i32 s10, s54
	v_fma_f64 v[40:41], v[54:55], v[58:59], -v[40:41]
	v_fma_f64 v[62:63], v[56:57], v[58:59], v[62:63]
	v_add_f64 v[40:41], v[46:47], v[40:41]
	v_add_f64 v[62:63], v[62:63], v[48:49]
	ds_read_b128 v[46:49], v34 offset:256
	s_waitcnt lgkmcnt(0)
	v_mul_f64 v[26:27], v[56:57], v[48:49]
	v_fma_f64 v[26:27], v[54:55], v[46:47], -v[26:27]
	v_mul_f64 v[54:55], v[54:55], v[48:49]
	v_add_f64 v[26:27], v[16:17], v[26:27]
	v_fma_f64 v[54:55], v[56:57], v[46:47], v[54:55]
	v_add_f64 v[30:31], v[54:55], v[18:19]
	ds_read_b128 v[16:19], v32 offset:8192
	s_waitcnt lgkmcnt(0)
	v_mul_f64 v[54:55], v[18:19], v[60:61]
	v_mul_f64 v[56:57], v[16:17], v[60:61]
	v_fma_f64 v[54:55], v[16:17], v[58:59], -v[54:55]
	v_fma_f64 v[56:57], v[18:19], v[58:59], v[56:57]
	v_add_f64 v[58:59], v[50:51], v[54:55]
	v_mul_f64 v[50:51], v[18:19], v[48:49]
	v_add_f64 v[60:61], v[56:57], v[52:53]
	v_fma_f64 v[50:51], v[16:17], v[46:47], -v[50:51]
	v_mul_f64 v[16:17], v[16:17], v[48:49]
	v_add_f64 v[54:55], v[14:15], v[50:51]
	v_fma_f64 v[16:17], v[18:19], v[46:47], v[16:17]
	v_add_f64 v[56:57], v[16:17], v[12:13]
	ds_read_b128 v[16:19], v34 offset:512
	s_waitcnt lgkmcnt(0)
	v_mul_f64 v[12:13], v[22:23], v[18:19]
	v_mul_f64 v[14:15], v[20:21], v[18:19]
	v_fma_f64 v[12:13], v[20:21], v[16:17], -v[12:13]
	v_fma_f64 v[14:15], v[22:23], v[16:17], v[14:15]
	v_add_f64 v[50:51], v[40:41], v[12:13]
	v_add_f64 v[52:53], v[14:15], v[62:63]
	ds_read_b128 v[12:15], v34 offset:768
	s_waitcnt lgkmcnt(0)
	v_mul_f64 v[40:41], v[22:23], v[14:15]
	v_fma_f64 v[40:41], v[20:21], v[12:13], -v[40:41]
	v_mul_f64 v[20:21], v[20:21], v[14:15]
	v_add_f64 v[46:47], v[26:27], v[40:41]
	v_fma_f64 v[20:21], v[22:23], v[12:13], v[20:21]
	v_add_f64 v[48:49], v[20:21], v[30:31]
	ds_read_b128 v[20:23], v32 offset:8208
	s_waitcnt lgkmcnt(0)
	v_mul_f64 v[26:27], v[22:23], v[18:19]
	v_mul_f64 v[18:19], v[20:21], v[18:19]
	v_fma_f64 v[26:27], v[20:21], v[16:17], -v[26:27]
	v_fma_f64 v[18:19], v[22:23], v[16:17], v[18:19]
	v_add_f64 v[16:17], v[58:59], v[26:27]
	v_mul_f64 v[26:27], v[22:23], v[14:15]
	v_mul_f64 v[14:15], v[20:21], v[14:15]
	v_add_f64 v[18:19], v[18:19], v[60:61]
	v_fma_f64 v[26:27], v[20:21], v[12:13], -v[26:27]
	v_fma_f64 v[14:15], v[22:23], v[12:13], v[14:15]
	ds_read_b128 v[20:23], v34 offset:1024
	s_waitcnt lgkmcnt(0)
	v_mul_f64 v[30:31], v[8:9], v[22:23]
	v_add_f64 v[12:13], v[54:55], v[26:27]
	v_mul_f64 v[26:27], v[10:11], v[22:23]
	v_add_f64 v[14:15], v[14:15], v[56:57]
	v_fma_f64 v[30:31], v[10:11], v[20:21], v[30:31]
	v_fma_f64 v[26:27], v[8:9], v[20:21], -v[26:27]
	v_add_f64 v[30:31], v[30:31], v[52:53]
	v_add_f64 v[26:27], v[50:51], v[26:27]
	ds_read_b128 v[50:53], v34 offset:1280
	s_waitcnt lgkmcnt(0)
	v_mul_f64 v[40:41], v[10:11], v[52:53]
	v_fma_f64 v[40:41], v[8:9], v[50:51], -v[40:41]
	v_mul_f64 v[8:9], v[8:9], v[52:53]
	v_add_f64 v[40:41], v[46:47], v[40:41]
	v_fma_f64 v[8:9], v[10:11], v[50:51], v[8:9]
	v_add_f64 v[54:55], v[8:9], v[48:49]
	ds_read_b128 v[8:11], v32 offset:8224
	s_waitcnt lgkmcnt(0)
	v_mul_f64 v[46:47], v[10:11], v[22:23]
	v_mul_f64 v[22:23], v[8:9], v[22:23]
	v_fma_f64 v[46:47], v[8:9], v[20:21], -v[46:47]
	v_fma_f64 v[20:21], v[10:11], v[20:21], v[22:23]
	v_add_f64 v[46:47], v[16:17], v[46:47]
	v_mul_f64 v[16:17], v[10:11], v[52:53]
	v_add_f64 v[48:49], v[20:21], v[18:19]
	v_fma_f64 v[16:17], v[8:9], v[50:51], -v[16:17]
	v_mul_f64 v[8:9], v[8:9], v[52:53]
	v_add_f64 v[20:21], v[12:13], v[16:17]
	v_fma_f64 v[8:9], v[10:11], v[50:51], v[8:9]
	ds_read_b128 v[50:53], v32 offset:8240
	v_add_f64 v[22:23], v[8:9], v[14:15]
	ds_read_b128 v[12:15], v34 offset:1536
	s_waitcnt lgkmcnt(0)
	v_mul_f64 v[8:9], v[6:7], v[14:15]
	v_mul_f64 v[10:11], v[4:5], v[14:15]
	v_fma_f64 v[8:9], v[4:5], v[12:13], -v[8:9]
	v_fma_f64 v[10:11], v[6:7], v[12:13], v[10:11]
	v_add_f64 v[16:17], v[26:27], v[8:9]
	v_add_f64 v[18:19], v[10:11], v[30:31]
	ds_read_b128 v[8:11], v34 offset:1792
	s_waitcnt lgkmcnt(0)
	v_mul_f64 v[26:27], v[6:7], v[10:11]
	v_fma_f64 v[26:27], v[4:5], v[8:9], -v[26:27]
	v_mul_f64 v[4:5], v[4:5], v[10:11]
	v_fma_f64 v[6:7], v[6:7], v[8:9], v[4:5]
	v_add_f64 v[4:5], v[40:41], v[26:27]
	v_mul_f64 v[26:27], v[52:53], v[14:15]
	v_mul_f64 v[14:15], v[50:51], v[14:15]
	v_add_f64 v[6:7], v[6:7], v[54:55]
	v_fma_f64 v[26:27], v[50:51], v[12:13], -v[26:27]
	v_fma_f64 v[14:15], v[52:53], v[12:13], v[14:15]
	v_add_f64 v[12:13], v[46:47], v[26:27]
	v_mul_f64 v[26:27], v[52:53], v[10:11]
	v_mul_f64 v[10:11], v[50:51], v[10:11]
	v_add_f64 v[14:15], v[14:15], v[48:49]
	v_fma_f64 v[26:27], v[50:51], v[8:9], -v[26:27]
	v_fma_f64 v[8:9], v[52:53], v[8:9], v[10:11]
	v_add_f64 v[26:27], v[20:21], v[26:27]
	v_add_f64 v[30:31], v[8:9], v[22:23]
	ds_read_b128 v[8:11], v32 offset:64
	ds_read_b128 v[20:23], v34 offset:2048
	s_waitcnt lgkmcnt(0)
	v_mul_f64 v[46:47], v[8:9], v[22:23]
	v_mul_f64 v[40:41], v[10:11], v[22:23]
	v_fma_f64 v[46:47], v[10:11], v[20:21], v[46:47]
	v_fma_f64 v[40:41], v[8:9], v[20:21], -v[40:41]
	v_add_f64 v[18:19], v[46:47], v[18:19]
	ds_read_b128 v[46:49], v34 offset:2304
	v_add_f64 v[16:17], v[16:17], v[40:41]
	s_waitcnt lgkmcnt(0)
	v_mul_f64 v[40:41], v[10:11], v[48:49]
	v_fma_f64 v[40:41], v[8:9], v[46:47], -v[40:41]
	v_mul_f64 v[8:9], v[8:9], v[48:49]
	v_add_f64 v[40:41], v[4:5], v[40:41]
	v_fma_f64 v[8:9], v[10:11], v[46:47], v[8:9]
	v_add_f64 v[54:55], v[8:9], v[6:7]
	ds_read_b128 v[4:7], v32 offset:8256
	s_waitcnt lgkmcnt(0)
	v_mul_f64 v[8:9], v[6:7], v[22:23]
	v_mul_f64 v[10:11], v[4:5], v[22:23]
	v_fma_f64 v[8:9], v[4:5], v[20:21], -v[8:9]
	v_fma_f64 v[10:11], v[6:7], v[20:21], v[10:11]
	v_add_f64 v[20:21], v[12:13], v[8:9]
	v_mul_f64 v[8:9], v[6:7], v[48:49]
	v_add_f64 v[22:23], v[10:11], v[14:15]
	v_fma_f64 v[8:9], v[4:5], v[46:47], -v[8:9]
	v_mul_f64 v[4:5], v[4:5], v[48:49]
	v_add_f64 v[12:13], v[26:27], v[8:9]
	v_fma_f64 v[4:5], v[6:7], v[46:47], v[4:5]
	ds_read_b128 v[50:53], v32 offset:80
	ds_read_b128 v[8:11], v34 offset:2560
	s_waitcnt lgkmcnt(0)
	v_mul_f64 v[6:7], v[50:51], v[10:11]
	v_add_f64 v[14:15], v[4:5], v[30:31]
	v_mul_f64 v[4:5], v[52:53], v[10:11]
	v_fma_f64 v[6:7], v[52:53], v[8:9], v[6:7]
	v_fma_f64 v[4:5], v[50:51], v[8:9], -v[4:5]
	v_add_f64 v[48:49], v[6:7], v[18:19]
	v_add_f64 v[46:47], v[16:17], v[4:5]
	ds_read_b128 v[4:7], v34 offset:2816
	s_waitcnt lgkmcnt(0)
	v_mul_f64 v[16:17], v[52:53], v[6:7]
	v_mul_f64 v[18:19], v[50:51], v[6:7]
	v_fma_f64 v[16:17], v[50:51], v[4:5], -v[16:17]
	v_fma_f64 v[18:19], v[52:53], v[4:5], v[18:19]
	ds_read_b128 v[50:53], v32 offset:8272
	s_waitcnt lgkmcnt(0)
	v_mul_f64 v[26:27], v[52:53], v[10:11]
	v_mul_f64 v[10:11], v[50:51], v[10:11]
	v_add_f64 v[16:17], v[40:41], v[16:17]
	v_add_f64 v[18:19], v[18:19], v[54:55]
	v_fma_f64 v[26:27], v[50:51], v[8:9], -v[26:27]
	v_fma_f64 v[10:11], v[52:53], v[8:9], v[10:11]
	v_add_f64 v[8:9], v[20:21], v[26:27]
	v_mul_f64 v[20:21], v[52:53], v[6:7]
	v_mul_f64 v[6:7], v[50:51], v[6:7]
	v_add_f64 v[10:11], v[10:11], v[22:23]
	v_fma_f64 v[20:21], v[50:51], v[4:5], -v[20:21]
	v_fma_f64 v[4:5], v[52:53], v[4:5], v[6:7]
	v_add_f64 v[26:27], v[12:13], v[20:21]
	v_add_f64 v[30:31], v[4:5], v[14:15]
	ds_read_b128 v[12:15], v32 offset:96
	ds_read_b128 v[20:23], v34 offset:3072
	s_waitcnt lgkmcnt(0)
	v_mul_f64 v[4:5], v[14:15], v[22:23]
	v_mul_f64 v[6:7], v[12:13], v[22:23]
	v_fma_f64 v[4:5], v[12:13], v[20:21], -v[4:5]
	v_fma_f64 v[6:7], v[14:15], v[20:21], v[6:7]
	v_add_f64 v[4:5], v[46:47], v[4:5]
	v_add_f64 v[6:7], v[6:7], v[48:49]
	ds_read_b128 v[46:49], v34 offset:3328
	s_waitcnt lgkmcnt(0)
	v_mul_f64 v[40:41], v[14:15], v[48:49]
	v_fma_f64 v[40:41], v[12:13], v[46:47], -v[40:41]
	v_mul_f64 v[12:13], v[12:13], v[48:49]
	v_add_f64 v[40:41], v[16:17], v[40:41]
	v_fma_f64 v[12:13], v[14:15], v[46:47], v[12:13]
	v_add_f64 v[50:51], v[12:13], v[18:19]
	ds_read_b128 v[12:15], v32 offset:8288
	s_waitcnt lgkmcnt(0)
	v_mul_f64 v[16:17], v[14:15], v[22:23]
	v_mul_f64 v[18:19], v[12:13], v[22:23]
	v_fma_f64 v[16:17], v[12:13], v[20:21], -v[16:17]
	v_fma_f64 v[18:19], v[14:15], v[20:21], v[18:19]
	v_add_f64 v[20:21], v[8:9], v[16:17]
	v_add_f64 v[22:23], v[18:19], v[10:11]
	v_mul_f64 v[8:9], v[14:15], v[48:49]
	v_mul_f64 v[10:11], v[12:13], v[48:49]
	v_fma_f64 v[8:9], v[12:13], v[46:47], -v[8:9]
	v_fma_f64 v[10:11], v[14:15], v[46:47], v[10:11]
	v_add_f64 v[12:13], v[26:27], v[8:9]
	v_add_f64 v[14:15], v[10:11], v[30:31]
	ds_read_b128 v[16:19], v32 offset:112
	ds_read_b128 v[8:11], v34 offset:3584
	s_waitcnt lgkmcnt(0)
	v_mul_f64 v[26:27], v[18:19], v[10:11]
	v_mul_f64 v[30:31], v[16:17], v[10:11]
	v_fma_f64 v[26:27], v[16:17], v[8:9], -v[26:27]
	v_fma_f64 v[30:31], v[18:19], v[8:9], v[30:31]
	v_add_f64 v[46:47], v[4:5], v[26:27]
	v_add_f64 v[48:49], v[30:31], v[6:7]
	ds_read_b128 v[4:7], v34 offset:3840
	s_waitcnt lgkmcnt(0)
	v_mul_f64 v[26:27], v[18:19], v[6:7]
	v_fma_f64 v[26:27], v[16:17], v[4:5], -v[26:27]
	v_mul_f64 v[16:17], v[16:17], v[6:7]
	v_fma_f64 v[18:19], v[18:19], v[4:5], v[16:17]
	v_add_f64 v[16:17], v[40:41], v[26:27]
	v_add_f64 v[18:19], v[18:19], v[50:51]
	ds_read_b128 v[50:53], v32 offset:8304
	s_waitcnt lgkmcnt(0)
	v_mul_f64 v[26:27], v[52:53], v[10:11]
	v_mul_f64 v[10:11], v[50:51], v[10:11]
	v_fma_f64 v[26:27], v[50:51], v[8:9], -v[26:27]
	v_fma_f64 v[10:11], v[52:53], v[8:9], v[10:11]
	v_add_f64 v[8:9], v[20:21], v[26:27]
	v_mul_f64 v[20:21], v[52:53], v[6:7]
	v_mul_f64 v[6:7], v[50:51], v[6:7]
	v_add_f64 v[10:11], v[10:11], v[22:23]
	v_fma_f64 v[20:21], v[50:51], v[4:5], -v[20:21]
	v_fma_f64 v[4:5], v[52:53], v[4:5], v[6:7]
	v_add_f64 v[26:27], v[12:13], v[20:21]
	v_add_f64 v[30:31], v[4:5], v[14:15]
	ds_read_b128 v[12:15], v32 offset:128
	ds_read_b128 v[20:23], v34 offset:4096
	s_waitcnt lgkmcnt(0)
	v_mul_f64 v[4:5], v[14:15], v[22:23]
	v_mul_f64 v[6:7], v[12:13], v[22:23]
	v_fma_f64 v[4:5], v[12:13], v[20:21], -v[4:5]
	v_fma_f64 v[6:7], v[14:15], v[20:21], v[6:7]
	v_add_f64 v[4:5], v[46:47], v[4:5]
	v_add_f64 v[6:7], v[6:7], v[48:49]
	ds_read_b128 v[46:49], v34 offset:4352
	s_waitcnt lgkmcnt(0)
	v_mul_f64 v[40:41], v[14:15], v[48:49]
	v_fma_f64 v[40:41], v[12:13], v[46:47], -v[40:41]
	v_mul_f64 v[12:13], v[12:13], v[48:49]
	v_add_f64 v[40:41], v[16:17], v[40:41]
	v_fma_f64 v[12:13], v[14:15], v[46:47], v[12:13]
	v_add_f64 v[50:51], v[12:13], v[18:19]
	ds_read_b128 v[12:15], v32 offset:8320
	s_waitcnt lgkmcnt(0)
	v_mul_f64 v[16:17], v[14:15], v[22:23]
	v_mul_f64 v[18:19], v[12:13], v[22:23]
	v_fma_f64 v[16:17], v[12:13], v[20:21], -v[16:17]
	v_fma_f64 v[18:19], v[14:15], v[20:21], v[18:19]
	v_add_f64 v[20:21], v[8:9], v[16:17]
	v_add_f64 v[22:23], v[18:19], v[10:11]
	v_mul_f64 v[8:9], v[14:15], v[48:49]
	v_mul_f64 v[10:11], v[12:13], v[48:49]
	v_fma_f64 v[8:9], v[12:13], v[46:47], -v[8:9]
	v_fma_f64 v[10:11], v[14:15], v[46:47], v[10:11]
	v_add_f64 v[12:13], v[26:27], v[8:9]
	v_add_f64 v[14:15], v[10:11], v[30:31]
	ds_read_b128 v[16:19], v32 offset:144
	ds_read_b128 v[8:11], v34 offset:4608
	s_waitcnt lgkmcnt(0)
	v_mul_f64 v[26:27], v[18:19], v[10:11]
	v_mul_f64 v[30:31], v[16:17], v[10:11]
	v_fma_f64 v[26:27], v[16:17], v[8:9], -v[26:27]
	v_fma_f64 v[30:31], v[18:19], v[8:9], v[30:31]
	v_add_f64 v[46:47], v[4:5], v[26:27]
	v_add_f64 v[48:49], v[30:31], v[6:7]
	ds_read_b128 v[4:7], v34 offset:4864
	s_waitcnt lgkmcnt(0)
	v_mul_f64 v[26:27], v[18:19], v[6:7]
	v_fma_f64 v[26:27], v[16:17], v[4:5], -v[26:27]
	v_mul_f64 v[16:17], v[16:17], v[6:7]
	v_fma_f64 v[18:19], v[18:19], v[4:5], v[16:17]
	v_add_f64 v[16:17], v[40:41], v[26:27]
	v_add_f64 v[18:19], v[18:19], v[50:51]
	ds_read_b128 v[50:53], v32 offset:8336
	s_waitcnt lgkmcnt(0)
	v_mul_f64 v[26:27], v[52:53], v[10:11]
	v_mul_f64 v[10:11], v[50:51], v[10:11]
	;; [unrolled: 62-line block ×11, first 2 shown]
	v_fma_f64 v[26:27], v[50:51], v[8:9], -v[26:27]
	v_fma_f64 v[8:9], v[52:53], v[8:9], v[10:11]
	v_add_f64 v[26:27], v[16:17], v[26:27]
	v_add_f64 v[30:31], v[8:9], v[18:19]
	v_mul_f64 v[8:9], v[52:53], v[6:7]
	v_mul_f64 v[6:7], v[50:51], v[6:7]
	v_fma_f64 v[8:9], v[50:51], v[4:5], -v[8:9]
	v_fma_f64 v[4:5], v[52:53], v[4:5], v[6:7]
	v_add_f64 v[40:41], v[12:13], v[8:9]
	v_add_f64 v[50:51], v[4:5], v[14:15]
	ds_read_b128 v[8:11], v32 offset:448
	ds_read_b128 v[12:15], v34 offset:14336
	;; [unrolled: 1-line block ×3, first 2 shown]
	s_waitcnt lgkmcnt(1)
	v_mul_f64 v[4:5], v[10:11], v[14:15]
	v_mul_f64 v[6:7], v[8:9], v[14:15]
	v_fma_f64 v[4:5], v[8:9], v[12:13], -v[4:5]
	v_fma_f64 v[6:7], v[10:11], v[12:13], v[6:7]
	v_add_f64 v[4:5], v[46:47], v[4:5]
	s_waitcnt lgkmcnt(0)
	v_mul_f64 v[46:47], v[10:11], v[18:19]
	v_add_f64 v[6:7], v[6:7], v[48:49]
	v_fma_f64 v[46:47], v[8:9], v[16:17], -v[46:47]
	v_mul_f64 v[8:9], v[8:9], v[18:19]
	v_add_f64 v[20:21], v[20:21], v[46:47]
	v_fma_f64 v[8:9], v[10:11], v[16:17], v[8:9]
	v_add_f64 v[22:23], v[8:9], v[22:23]
	ds_read_b128 v[8:11], v32 offset:8640
	s_waitcnt lgkmcnt(0)
	v_mul_f64 v[46:47], v[10:11], v[14:15]
	v_mul_f64 v[14:15], v[8:9], v[14:15]
	v_fma_f64 v[46:47], v[8:9], v[12:13], -v[46:47]
	v_fma_f64 v[12:13], v[10:11], v[12:13], v[14:15]
	v_add_f64 v[46:47], v[26:27], v[46:47]
	v_add_f64 v[48:49], v[12:13], v[30:31]
	v_mul_f64 v[12:13], v[10:11], v[18:19]
	v_fma_f64 v[12:13], v[8:9], v[16:17], -v[12:13]
	v_mul_f64 v[8:9], v[8:9], v[18:19]
	v_fma_f64 v[8:9], v[10:11], v[16:17], v[8:9]
	v_add_f64 v[16:17], v[40:41], v[12:13]
	v_add_f64 v[18:19], v[8:9], v[50:51]
	ds_read_b128 v[12:15], v32 offset:464
	ds_read_b128 v[8:11], v34 offset:14848
	s_waitcnt lgkmcnt(0)
	v_mul_f64 v[26:27], v[14:15], v[10:11]
	v_mul_f64 v[30:31], v[12:13], v[10:11]
	v_fma_f64 v[26:27], v[12:13], v[8:9], -v[26:27]
	v_fma_f64 v[30:31], v[14:15], v[8:9], v[30:31]
	v_add_f64 v[50:51], v[4:5], v[26:27]
	v_add_f64 v[52:53], v[30:31], v[6:7]
	ds_read_b128 v[4:7], v34 offset:15104
	s_waitcnt lgkmcnt(0)
	v_mul_f64 v[26:27], v[14:15], v[6:7]
	v_fma_f64 v[26:27], v[12:13], v[4:5], -v[26:27]
	v_mul_f64 v[12:13], v[12:13], v[6:7]
	v_add_f64 v[20:21], v[20:21], v[26:27]
	v_fma_f64 v[12:13], v[14:15], v[4:5], v[12:13]
	v_add_f64 v[22:23], v[12:13], v[22:23]
	ds_read_b128 v[12:15], v32 offset:8656
	s_waitcnt lgkmcnt(0)
	v_mul_f64 v[26:27], v[14:15], v[10:11]
	v_mul_f64 v[10:11], v[12:13], v[10:11]
	v_fma_f64 v[26:27], v[12:13], v[8:9], -v[26:27]
	v_fma_f64 v[10:11], v[14:15], v[8:9], v[10:11]
	v_add_f64 v[8:9], v[46:47], v[26:27]
	v_mul_f64 v[26:27], v[14:15], v[6:7]
	v_mul_f64 v[6:7], v[12:13], v[6:7]
	v_add_f64 v[10:11], v[10:11], v[48:49]
	v_fma_f64 v[26:27], v[12:13], v[4:5], -v[26:27]
	v_fma_f64 v[4:5], v[14:15], v[4:5], v[6:7]
	v_add_f64 v[26:27], v[16:17], v[26:27]
	v_add_f64 v[30:31], v[4:5], v[18:19]
	ds_read_b128 v[12:15], v32 offset:480
	ds_read_b128 v[16:19], v34 offset:15360
	;; [unrolled: 1-line block ×3, first 2 shown]
	s_waitcnt lgkmcnt(1)
	v_mul_f64 v[4:5], v[14:15], v[18:19]
	s_waitcnt lgkmcnt(0)
	v_mul_f64 v[40:41], v[14:15], v[48:49]
	v_mul_f64 v[6:7], v[12:13], v[18:19]
	v_fma_f64 v[4:5], v[12:13], v[16:17], -v[4:5]
	v_fma_f64 v[40:41], v[12:13], v[46:47], -v[40:41]
	v_mul_f64 v[12:13], v[12:13], v[48:49]
	v_fma_f64 v[6:7], v[14:15], v[16:17], v[6:7]
	v_add_f64 v[4:5], v[50:51], v[4:5]
	v_add_f64 v[40:41], v[20:21], v[40:41]
	v_fma_f64 v[12:13], v[14:15], v[46:47], v[12:13]
	v_add_f64 v[6:7], v[6:7], v[52:53]
	v_add_f64 v[54:55], v[12:13], v[22:23]
	ds_read_b128 v[12:15], v32 offset:8672
	s_waitcnt lgkmcnt(0)
	v_mul_f64 v[20:21], v[14:15], v[18:19]
	v_mul_f64 v[18:19], v[12:13], v[18:19]
	v_fma_f64 v[20:21], v[12:13], v[16:17], -v[20:21]
	v_fma_f64 v[16:17], v[14:15], v[16:17], v[18:19]
	v_add_f64 v[50:51], v[8:9], v[20:21]
	v_add_f64 v[52:53], v[16:17], v[10:11]
	v_mul_f64 v[8:9], v[14:15], v[48:49]
	v_mul_f64 v[10:11], v[12:13], v[48:49]
	v_fma_f64 v[8:9], v[12:13], v[46:47], -v[8:9]
	v_fma_f64 v[10:11], v[14:15], v[46:47], v[10:11]
	v_add_f64 v[20:21], v[26:27], v[8:9]
	v_add_f64 v[22:23], v[10:11], v[30:31]
	ds_read_b128 v[12:15], v32 offset:496
	ds_read_b128 v[8:11], v34 offset:15872
	s_waitcnt lgkmcnt(0)
	v_mul_f64 v[16:17], v[14:15], v[10:11]
	v_mul_f64 v[18:19], v[12:13], v[10:11]
	v_fma_f64 v[16:17], v[12:13], v[8:9], -v[16:17]
	v_fma_f64 v[18:19], v[14:15], v[8:9], v[18:19]
	v_add_f64 v[46:47], v[4:5], v[16:17]
	v_add_f64 v[48:49], v[18:19], v[6:7]
	ds_read_b128 v[4:7], v34 offset:16128
	s_waitcnt lgkmcnt(0)
	v_mul_f64 v[16:17], v[14:15], v[6:7]
	v_fma_f64 v[16:17], v[12:13], v[4:5], -v[16:17]
	v_mul_f64 v[12:13], v[12:13], v[6:7]
	v_add_f64 v[16:17], v[40:41], v[16:17]
	v_fma_f64 v[12:13], v[14:15], v[4:5], v[12:13]
	v_add_f64 v[18:19], v[12:13], v[54:55]
	ds_read_b128 v[12:15], v32 offset:8688
	s_waitcnt lgkmcnt(0)
	s_barrier
	v_mul_f64 v[26:27], v[14:15], v[10:11]
	v_mul_f64 v[10:11], v[12:13], v[10:11]
	v_fma_f64 v[26:27], v[12:13], v[8:9], -v[26:27]
	v_fma_f64 v[8:9], v[14:15], v[8:9], v[10:11]
	v_add_f64 v[50:51], v[50:51], v[26:27]
	v_add_f64 v[52:53], v[8:9], v[52:53]
	v_mul_f64 v[8:9], v[14:15], v[6:7]
	v_mul_f64 v[6:7], v[12:13], v[6:7]
	v_fma_f64 v[8:9], v[12:13], v[4:5], -v[8:9]
	v_fma_f64 v[4:5], v[14:15], v[4:5], v[6:7]
	v_add_f64 v[14:15], v[20:21], v[8:9]
	v_add_f64 v[12:13], v[4:5], v[22:23]
	s_cbranch_scc1 .LBB118_55
.LBB118_7:                              ;   Parent Loop BB118_4 Depth=1
                                        ; =>  This Inner Loop Header: Depth=2
	buffer_load_dword v5, off, s[56:59], 0  ; 4-byte Folded Reload
	v_mov_b32_e32 v4, s27
	v_add_co_u32_e64 v8, s[10:11], s26, v1
	v_addc_co_u32_e64 v9, s[10:11], 0, v4, s[10:11]
	v_mov_b32_e32 v4, s21
	v_cmp_le_i64_e64 s[12:13], s[40:41], v[8:9]
	v_cmp_eq_u64_e64 s[16:17], s[26:27], v[37:38]
	s_and_b64 s[44:45], s[34:35], s[16:17]
	s_waitcnt vmcnt(0)
	v_add_co_u32_e64 v6, s[10:11], s20, v5
	buffer_load_dword v5, off, s[56:59], 0 offset:4 ; 4-byte Folded Reload
	s_waitcnt vmcnt(0)
	v_addc_co_u32_e64 v7, s[10:11], v5, v4, s[10:11]
	v_cmp_gt_i64_e64 s[10:11], v[8:9], v[24:25]
	s_or_b64 s[16:17], s[12:13], s[10:11]
	s_or_b64 s[16:17], s[16:17], s[44:45]
	s_nor_b64 s[16:17], s[0:1], s[16:17]
	s_and_saveexec_b64 s[18:19], s[16:17]
	s_xor_b64 s[16:17], exec, s[18:19]
	s_cbranch_execz .LBB118_9
; %bb.8:                                ;   in Loop: Header=BB118_7 Depth=2
	global_load_dwordx4 v[20:23], v[6:7], off
	s_waitcnt vmcnt(0)
	v_xor_b32_e32 v23, 0x80000000, v23
	ds_write_b128 v35, v[20:23]
.LBB118_9:                              ;   in Loop: Header=BB118_7 Depth=2
	s_or_saveexec_b64 s[16:17], s[16:17]
	s_xor_b64 s[38:39], s[44:45], -1
	s_xor_b64 exec, exec, s[16:17]
	s_cbranch_execz .LBB118_15
; %bb.10:                               ;   in Loop: Header=BB118_7 Depth=2
	s_and_saveexec_b64 s[18:19], s[38:39]
	s_xor_b64 s[18:19], exec, s[18:19]
; %bb.11:                               ;   in Loop: Header=BB118_7 Depth=2
	v_mov_b32_e32 v20, v2
	v_mov_b32_e32 v21, v2
	;; [unrolled: 1-line block ×4, first 2 shown]
	ds_write_b128 v35, v[20:23]
; %bb.12:                               ;   in Loop: Header=BB118_7 Depth=2
	s_andn2_saveexec_b64 s[18:19], s[18:19]
; %bb.13:                               ;   in Loop: Header=BB118_7 Depth=2
	v_mov_b32_e32 v4, v2
	v_mov_b32_e32 v5, v2
	ds_write_b128 v35, v[2:5]
; %bb.14:                               ;   in Loop: Header=BB118_7 Depth=2
	s_or_b64 exec, exec, s[18:19]
.LBB118_15:                             ;   in Loop: Header=BB118_7 Depth=2
	s_or_b64 exec, exec, s[16:17]
	buffer_load_dword v4, off, s[56:59], 0 offset:16 ; 4-byte Folded Reload
	buffer_load_dword v5, off, s[56:59], 0 offset:20 ; 4-byte Folded Reload
	s_waitcnt vmcnt(0)
	v_cmp_eq_u64_e64 s[16:17], s[26:27], v[4:5]
	buffer_load_dword v4, off, s[56:59], 0 offset:8 ; 4-byte Folded Reload
	buffer_load_dword v5, off, s[56:59], 0 offset:12 ; 4-byte Folded Reload
	s_and_b64 s[16:17], s[34:35], s[16:17]
	s_waitcnt vmcnt(0)
	v_cmp_lt_i64_e64 s[18:19], v[4:5], v[8:9]
	s_or_b64 s[12:13], s[12:13], s[18:19]
	s_or_b64 s[12:13], s[12:13], s[16:17]
	s_nor_b64 s[12:13], s[2:3], s[12:13]
	s_and_saveexec_b64 s[18:19], s[12:13]
	s_xor_b64 s[18:19], exec, s[18:19]
	s_cbranch_execz .LBB118_17
; %bb.16:                               ;   in Loop: Header=BB118_7 Depth=2
	v_mov_b32_e32 v5, s21
	v_add_co_u32_e64 v4, s[12:13], s20, v33
	v_addc_co_u32_e64 v5, s[12:13], v36, v5, s[12:13]
	global_load_dwordx4 v[20:23], v[4:5], off
	s_waitcnt vmcnt(0)
	v_xor_b32_e32 v23, 0x80000000, v23
	ds_write_b128 v35, v[20:23] offset:256
.LBB118_17:                             ;   in Loop: Header=BB118_7 Depth=2
	s_andn2_saveexec_b64 s[12:13], s[18:19]
	s_cbranch_execz .LBB118_23
; %bb.18:                               ;   in Loop: Header=BB118_7 Depth=2
	s_xor_b64 s[16:17], s[16:17], -1
	s_and_saveexec_b64 s[18:19], s[16:17]
	s_xor_b64 s[16:17], exec, s[18:19]
; %bb.19:                               ;   in Loop: Header=BB118_7 Depth=2
	v_mov_b32_e32 v20, v2
	v_mov_b32_e32 v21, v2
	;; [unrolled: 1-line block ×4, first 2 shown]
	ds_write_b128 v35, v[20:23] offset:256
; %bb.20:                               ;   in Loop: Header=BB118_7 Depth=2
	s_andn2_saveexec_b64 s[16:17], s[16:17]
; %bb.21:                               ;   in Loop: Header=BB118_7 Depth=2
	v_mov_b32_e32 v4, v2
	v_mov_b32_e32 v5, v2
	ds_write_b128 v35, v[2:5] offset:256
; %bb.22:                               ;   in Loop: Header=BB118_7 Depth=2
	s_or_b64 exec, exec, s[16:17]
.LBB118_23:                             ;   in Loop: Header=BB118_7 Depth=2
	s_or_b64 exec, exec, s[12:13]
	v_add_co_u32_e64 v4, s[12:13], 16, v8
	v_addc_co_u32_e64 v5, s[12:13], 0, v9, s[12:13]
	v_cmp_le_i64_e64 s[12:13], s[40:41], v[4:5]
	v_cmp_eq_u64_e64 s[16:17], s[26:27], v[28:29]
	v_cmp_gt_i64_e64 s[18:19], v[4:5], v[24:25]
	s_and_b64 s[50:51], s[34:35], s[16:17]
	s_or_b64 s[16:17], s[12:13], s[18:19]
	s_or_b64 s[16:17], s[16:17], s[50:51]
	s_nor_b64 s[16:17], s[0:1], s[16:17]
	s_and_saveexec_b64 s[18:19], s[16:17]
	s_xor_b64 s[16:17], exec, s[18:19]
	s_cbranch_execz .LBB118_25
; %bb.24:                               ;   in Loop: Header=BB118_7 Depth=2
	global_load_dwordx4 v[4:7], v[6:7], off offset:256
	s_waitcnt vmcnt(0)
	v_xor_b32_e32 v7, 0x80000000, v7
	ds_write_b128 v35, v[4:7] offset:8192
.LBB118_25:                             ;   in Loop: Header=BB118_7 Depth=2
	s_andn2_saveexec_b64 s[16:17], s[16:17]
	s_cbranch_execz .LBB118_31
; %bb.26:                               ;   in Loop: Header=BB118_7 Depth=2
	s_xor_b64 s[18:19], s[50:51], -1
	s_and_saveexec_b64 s[50:51], s[18:19]
	s_xor_b64 s[18:19], exec, s[50:51]
; %bb.27:                               ;   in Loop: Header=BB118_7 Depth=2
	v_mov_b32_e32 v4, v2
	v_mov_b32_e32 v5, v2
	;; [unrolled: 1-line block ×4, first 2 shown]
	ds_write_b128 v35, v[4:7] offset:8192
; %bb.28:                               ;   in Loop: Header=BB118_7 Depth=2
	s_andn2_saveexec_b64 s[18:19], s[18:19]
; %bb.29:                               ;   in Loop: Header=BB118_7 Depth=2
	v_mov_b32_e32 v4, v2
	v_mov_b32_e32 v5, v2
	ds_write_b128 v35, v[2:5] offset:8192
; %bb.30:                               ;   in Loop: Header=BB118_7 Depth=2
	s_or_b64 exec, exec, s[18:19]
.LBB118_31:                             ;   in Loop: Header=BB118_7 Depth=2
	s_or_b64 exec, exec, s[16:17]
	s_or_b64 s[10:11], s[12:13], s[10:11]
	s_or_b64 s[10:11], s[10:11], s[44:45]
	s_nor_b64 s[10:11], s[2:3], s[10:11]
	s_and_saveexec_b64 s[12:13], s[10:11]
	s_xor_b64 s[12:13], exec, s[12:13]
	s_cbranch_execz .LBB118_33
; %bb.32:                               ;   in Loop: Header=BB118_7 Depth=2
	v_mov_b32_e32 v5, s21
	v_add_co_u32_e64 v4, s[10:11], s20, v33
	v_addc_co_u32_e64 v5, s[10:11], v36, v5, s[10:11]
	global_load_dwordx4 v[4:7], v[4:5], off offset:256
	s_waitcnt vmcnt(0)
	v_xor_b32_e32 v7, 0x80000000, v7
	ds_write_b128 v35, v[4:7] offset:8448
.LBB118_33:                             ;   in Loop: Header=BB118_7 Depth=2
	s_andn2_saveexec_b64 s[10:11], s[12:13]
	s_cbranch_execz .LBB118_39
; %bb.34:                               ;   in Loop: Header=BB118_7 Depth=2
	s_and_saveexec_b64 s[12:13], s[38:39]
	s_xor_b64 s[12:13], exec, s[12:13]
; %bb.35:                               ;   in Loop: Header=BB118_7 Depth=2
	v_mov_b32_e32 v4, v2
	v_mov_b32_e32 v5, v2
	;; [unrolled: 1-line block ×4, first 2 shown]
	ds_write_b128 v35, v[4:7] offset:8448
; %bb.36:                               ;   in Loop: Header=BB118_7 Depth=2
	s_andn2_saveexec_b64 s[12:13], s[12:13]
; %bb.37:                               ;   in Loop: Header=BB118_7 Depth=2
	v_mov_b32_e32 v4, v2
	v_mov_b32_e32 v5, v2
	ds_write_b128 v35, v[2:5] offset:8448
; %bb.38:                               ;   in Loop: Header=BB118_7 Depth=2
	s_or_b64 exec, exec, s[12:13]
.LBB118_39:                             ;   in Loop: Header=BB118_7 Depth=2
	s_or_b64 exec, exec, s[10:11]
	v_mov_b32_e32 v5, s27
	v_add_co_u32_e64 v4, s[10:11], s26, v0
	v_addc_co_u32_e64 v5, s[10:11], 0, v5, s[10:11]
	v_cmp_gt_i64_e64 s[10:11], s[40:41], v[4:5]
	s_and_b64 s[12:13], vcc, s[10:11]
	s_xor_b64 s[12:13], s[12:13], -1
	s_and_saveexec_b64 s[16:17], s[12:13]
	s_xor_b64 s[12:13], exec, s[16:17]
; %bb.40:                               ;   in Loop: Header=BB118_7 Depth=2
	v_mov_b32_e32 v6, v2
	v_mov_b32_e32 v7, v2
	;; [unrolled: 1-line block ×4, first 2 shown]
	ds_write_b128 v39, v[6:9]
; %bb.41:                               ;   in Loop: Header=BB118_7 Depth=2
	s_or_saveexec_b64 s[16:17], s[12:13]
	v_mov_b32_e32 v7, s21
	v_add_co_u32_e64 v6, s[12:13], s20, v42
	v_addc_co_u32_e64 v7, s[12:13], v43, v7, s[12:13]
	s_xor_b64 exec, exec, s[16:17]
	s_cbranch_execz .LBB118_43
; %bb.42:                               ;   in Loop: Header=BB118_7 Depth=2
	global_load_dwordx4 v[8:11], v[6:7], off offset:-256
	s_waitcnt vmcnt(0)
	ds_write2_b64 v39, v[8:9], v[10:11] offset1:1
.LBB118_43:                             ;   in Loop: Header=BB118_7 Depth=2
	s_or_b64 exec, exec, s[16:17]
	v_cmp_gt_i64_e64 s[12:13], s[42:43], v[4:5]
	s_and_b64 s[16:17], vcc, s[12:13]
	s_xor_b64 s[16:17], s[16:17], -1
	s_and_saveexec_b64 s[18:19], s[16:17]
	s_xor_b64 s[16:17], exec, s[18:19]
; %bb.44:                               ;   in Loop: Header=BB118_7 Depth=2
	v_mov_b32_e32 v4, v2
	v_mov_b32_e32 v5, v2
	;; [unrolled: 1-line block ×4, first 2 shown]
	ds_write_b128 v39, v[4:7] offset:256
                                        ; implicit-def: $vgpr6_vgpr7
; %bb.45:                               ;   in Loop: Header=BB118_7 Depth=2
	s_andn2_saveexec_b64 s[16:17], s[16:17]
	s_cbranch_execz .LBB118_47
; %bb.46:                               ;   in Loop: Header=BB118_7 Depth=2
	global_load_dwordx4 v[4:7], v[6:7], off
	v_add_u32_e32 v8, 0x100, v39
	s_waitcnt vmcnt(0)
	ds_write2_b64 v8, v[4:5], v[6:7] offset1:1
.LBB118_47:                             ;   in Loop: Header=BB118_7 Depth=2
	s_or_b64 exec, exec, s[16:17]
	s_and_b64 s[10:11], s[8:9], s[10:11]
	s_xor_b64 s[10:11], s[10:11], -1
	s_and_saveexec_b64 s[16:17], s[10:11]
	s_xor_b64 s[10:11], exec, s[16:17]
; %bb.48:                               ;   in Loop: Header=BB118_7 Depth=2
	v_mov_b32_e32 v4, v2
	v_mov_b32_e32 v5, v2
	;; [unrolled: 1-line block ×4, first 2 shown]
	ds_write_b128 v39, v[4:7] offset:8192
; %bb.49:                               ;   in Loop: Header=BB118_7 Depth=2
	s_or_saveexec_b64 s[16:17], s[10:11]
	v_mov_b32_e32 v5, s21
	v_add_co_u32_e64 v4, s[10:11], s20, v44
	v_addc_co_u32_e64 v5, s[10:11], v45, v5, s[10:11]
	s_xor_b64 exec, exec, s[16:17]
	s_cbranch_execz .LBB118_51
; %bb.50:                               ;   in Loop: Header=BB118_7 Depth=2
	global_load_dwordx4 v[6:9], v[4:5], off offset:-256
	v_add_u32_e32 v10, 0x2000, v39
	s_waitcnt vmcnt(0)
	ds_write2_b64 v10, v[6:7], v[8:9] offset1:1
.LBB118_51:                             ;   in Loop: Header=BB118_7 Depth=2
	s_or_b64 exec, exec, s[16:17]
	s_and_b64 s[10:11], s[8:9], s[12:13]
	s_xor_b64 s[10:11], s[10:11], -1
	s_and_saveexec_b64 s[12:13], s[10:11]
	s_xor_b64 s[10:11], exec, s[12:13]
; %bb.52:                               ;   in Loop: Header=BB118_7 Depth=2
	v_mov_b32_e32 v4, v2
	v_mov_b32_e32 v5, v2
	;; [unrolled: 1-line block ×4, first 2 shown]
	ds_write_b128 v39, v[4:7] offset:8448
                                        ; implicit-def: $vgpr4_vgpr5
; %bb.53:                               ;   in Loop: Header=BB118_7 Depth=2
	s_andn2_saveexec_b64 s[10:11], s[10:11]
	s_cbranch_execz .LBB118_6
; %bb.54:                               ;   in Loop: Header=BB118_7 Depth=2
	global_load_dwordx4 v[4:7], v[4:5], off
	v_add_u32_e32 v8, 0x2100, v39
	s_waitcnt vmcnt(0)
	ds_write2_b64 v8, v[4:5], v[6:7] offset1:1
	s_branch .LBB118_6
.LBB118_55:                             ;   in Loop: Header=BB118_4 Depth=1
	buffer_load_dword v8, off, s[56:59], 0 offset:24 ; 4-byte Folded Reload
	buffer_load_dword v4, off, s[56:59], 0 offset:36 ; 4-byte Folded Reload
	s_waitcnt vmcnt(1)
	v_mul_lo_u32 v6, s49, v8
	s_waitcnt vmcnt(0)
	v_mul_lo_u32 v7, s48, v4
	v_mad_u64_u32 v[4:5], s[8:9], s48, v8, 0
	v_cmp_gt_i32_e32 vcc, s46, v8
	v_add3_u32 v5, v5, v7, v6
	v_lshlrev_b64 v[4:5], 4, v[4:5]
	v_mov_b32_e32 v6, s53
	v_add_co_u32_e64 v4, s[8:9], s52, v4
	v_addc_co_u32_e64 v5, s[8:9], v6, v5, s[8:9]
	s_and_b64 s[8:9], s[4:5], vcc
	s_and_saveexec_b64 s[10:11], s[8:9]
	s_cbranch_execz .LBB118_57
; %bb.56:                               ;   in Loop: Header=BB118_4 Depth=1
	v_lshlrev_b64 v[6:7], 4, v[24:25]
	v_mul_f64 v[20:21], s[30:31], v[48:49]
	v_add_co_u32_e64 v10, s[8:9], v4, v6
	v_addc_co_u32_e64 v11, s[8:9], v5, v7, s[8:9]
	global_load_dwordx4 v[6:9], v[10:11], off
	v_mul_f64 v[22:23], s[28:29], v[48:49]
	v_fma_f64 v[20:21], s[28:29], v[46:47], -v[20:21]
	v_fma_f64 v[22:23], s[30:31], v[46:47], v[22:23]
	s_waitcnt vmcnt(0)
	v_add_f64 v[6:7], v[6:7], v[20:21]
	v_add_f64 v[8:9], v[22:23], v[8:9]
	global_store_dwordx4 v[10:11], v[6:9], off
.LBB118_57:                             ;   in Loop: Header=BB118_4 Depth=1
	s_or_b64 exec, exec, s[10:11]
	s_and_b64 s[10:11], s[14:15], vcc
	s_and_saveexec_b64 s[8:9], s[10:11]
	s_cbranch_execz .LBB118_59
; %bb.58:                               ;   in Loop: Header=BB118_4 Depth=1
	buffer_load_dword v6, off, s[56:59], 0 offset:40 ; 4-byte Folded Reload
	buffer_load_dword v7, off, s[56:59], 0 offset:44 ; 4-byte Folded Reload
	v_mul_f64 v[10:11], s[30:31], v[18:19]
	v_mul_f64 v[18:19], s[28:29], v[18:19]
	v_fma_f64 v[10:11], s[28:29], v[16:17], -v[10:11]
	v_fma_f64 v[16:17], s[30:31], v[16:17], v[18:19]
	s_waitcnt vmcnt(1)
	v_add_co_u32_e32 v8, vcc, v4, v6
	s_waitcnt vmcnt(0)
	v_addc_co_u32_e32 v9, vcc, v5, v7, vcc
	global_load_dwordx4 v[4:7], v[8:9], off
	s_waitcnt vmcnt(0)
	v_add_f64 v[4:5], v[4:5], v[10:11]
	v_add_f64 v[6:7], v[16:17], v[6:7]
	global_store_dwordx4 v[8:9], v[4:7], off
.LBB118_59:                             ;   in Loop: Header=BB118_4 Depth=1
	s_or_b64 exec, exec, s[8:9]
	buffer_load_dword v4, off, s[56:59], 0 offset:24 ; 4-byte Folded Reload
	s_waitcnt vmcnt(0)
	v_add_u32_e32 v6, 16, v4
	v_ashrrev_i32_e32 v4, 31, v6
	v_mul_lo_u32 v7, s48, v4
	v_mul_lo_u32 v8, s49, v6
	v_mad_u64_u32 v[4:5], s[8:9], s48, v6, 0
	v_cmp_gt_i32_e32 vcc, s46, v6
	v_mov_b32_e32 v6, s53
	v_add3_u32 v5, v5, v7, v8
	v_lshlrev_b64 v[4:5], 4, v[4:5]
	v_add_co_u32_e64 v4, s[8:9], s52, v4
	v_addc_co_u32_e64 v5, s[8:9], v6, v5, s[8:9]
	s_and_b64 s[8:9], s[4:5], vcc
	s_mov_b64 s[10:11], exec
	buffer_load_dword v20, off, s[56:59], 0 offset:28 ; 4-byte Folded Reload
	buffer_load_dword v21, off, s[56:59], 0 offset:32 ; 4-byte Folded Reload
	s_and_b64 s[8:9], s[10:11], s[8:9]
	s_mov_b64 exec, s[8:9]
	s_cbranch_execz .LBB118_61
; %bb.60:                               ;   in Loop: Header=BB118_4 Depth=1
	v_lshlrev_b64 v[6:7], 4, v[24:25]
	v_mul_f64 v[16:17], s[30:31], v[52:53]
	v_add_co_u32_e64 v10, s[8:9], v4, v6
	v_addc_co_u32_e64 v11, s[8:9], v5, v7, s[8:9]
	global_load_dwordx4 v[6:9], v[10:11], off
	v_mul_f64 v[18:19], s[28:29], v[52:53]
	v_fma_f64 v[16:17], s[28:29], v[50:51], -v[16:17]
	v_fma_f64 v[18:19], s[30:31], v[50:51], v[18:19]
	s_waitcnt vmcnt(0)
	v_add_f64 v[6:7], v[6:7], v[16:17]
	v_add_f64 v[8:9], v[18:19], v[8:9]
	global_store_dwordx4 v[10:11], v[6:9], off
.LBB118_61:                             ;   in Loop: Header=BB118_4 Depth=1
	s_or_b64 exec, exec, s[10:11]
	s_and_b64 s[10:11], s[14:15], vcc
	s_and_saveexec_b64 s[8:9], s[10:11]
	s_cbranch_execz .LBB118_3
; %bb.62:                               ;   in Loop: Header=BB118_4 Depth=1
	buffer_load_dword v6, off, s[56:59], 0 offset:40 ; 4-byte Folded Reload
	buffer_load_dword v7, off, s[56:59], 0 offset:44 ; 4-byte Folded Reload
	v_mul_f64 v[10:11], s[30:31], v[12:13]
	v_mul_f64 v[12:13], s[28:29], v[12:13]
	v_fma_f64 v[10:11], s[28:29], v[14:15], -v[10:11]
	v_fma_f64 v[12:13], s[30:31], v[14:15], v[12:13]
	s_waitcnt vmcnt(1)
	v_add_co_u32_e32 v8, vcc, v4, v6
	s_waitcnt vmcnt(0)
	v_addc_co_u32_e32 v9, vcc, v5, v7, vcc
	global_load_dwordx4 v[4:7], v[8:9], off
	s_waitcnt vmcnt(0)
	v_add_f64 v[4:5], v[4:5], v[10:11]
	v_add_f64 v[6:7], v[12:13], v[6:7]
	global_store_dwordx4 v[8:9], v[4:7], off
	s_branch .LBB118_3
.LBB118_63:
	s_endpgm
	.section	.rodata,"a",@progbits
	.p2align	6, 0x0
	.amdhsa_kernel _ZL30rocblas_trmm_outofplace_kernelI19rocblas_complex_numIdELi32ELi2ELb1ELb1ELb1ELb1EPKS1_S2_S1_Ev17rocblas_diagonal_iiT6_lPT7_lllS7_lllPT8_llli
		.amdhsa_group_segment_fixed_size 32768
		.amdhsa_private_segment_fixed_size 60
		.amdhsa_kernarg_size 392
		.amdhsa_user_sgpr_count 6
		.amdhsa_user_sgpr_private_segment_buffer 1
		.amdhsa_user_sgpr_dispatch_ptr 0
		.amdhsa_user_sgpr_queue_ptr 0
		.amdhsa_user_sgpr_kernarg_segment_ptr 1
		.amdhsa_user_sgpr_dispatch_id 0
		.amdhsa_user_sgpr_flat_scratch_init 0
		.amdhsa_user_sgpr_private_segment_size 0
		.amdhsa_uses_dynamic_stack 0
		.amdhsa_system_sgpr_private_segment_wavefront_offset 1
		.amdhsa_system_sgpr_workgroup_id_x 1
		.amdhsa_system_sgpr_workgroup_id_y 1
		.amdhsa_system_sgpr_workgroup_id_z 1
		.amdhsa_system_sgpr_workgroup_info 0
		.amdhsa_system_vgpr_workitem_id 1
		.amdhsa_next_free_vgpr 64
		.amdhsa_next_free_sgpr 61
		.amdhsa_reserve_vcc 1
		.amdhsa_reserve_flat_scratch 0
		.amdhsa_float_round_mode_32 0
		.amdhsa_float_round_mode_16_64 0
		.amdhsa_float_denorm_mode_32 3
		.amdhsa_float_denorm_mode_16_64 3
		.amdhsa_dx10_clamp 1
		.amdhsa_ieee_mode 1
		.amdhsa_fp16_overflow 0
		.amdhsa_exception_fp_ieee_invalid_op 0
		.amdhsa_exception_fp_denorm_src 0
		.amdhsa_exception_fp_ieee_div_zero 0
		.amdhsa_exception_fp_ieee_overflow 0
		.amdhsa_exception_fp_ieee_underflow 0
		.amdhsa_exception_fp_ieee_inexact 0
		.amdhsa_exception_int_div_zero 0
	.end_amdhsa_kernel
	.section	.text._ZL30rocblas_trmm_outofplace_kernelI19rocblas_complex_numIdELi32ELi2ELb1ELb1ELb1ELb1EPKS1_S2_S1_Ev17rocblas_diagonal_iiT6_lPT7_lllS7_lllPT8_llli,"axG",@progbits,_ZL30rocblas_trmm_outofplace_kernelI19rocblas_complex_numIdELi32ELi2ELb1ELb1ELb1ELb1EPKS1_S2_S1_Ev17rocblas_diagonal_iiT6_lPT7_lllS7_lllPT8_llli,comdat
.Lfunc_end118:
	.size	_ZL30rocblas_trmm_outofplace_kernelI19rocblas_complex_numIdELi32ELi2ELb1ELb1ELb1ELb1EPKS1_S2_S1_Ev17rocblas_diagonal_iiT6_lPT7_lllS7_lllPT8_llli, .Lfunc_end118-_ZL30rocblas_trmm_outofplace_kernelI19rocblas_complex_numIdELi32ELi2ELb1ELb1ELb1ELb1EPKS1_S2_S1_Ev17rocblas_diagonal_iiT6_lPT7_lllS7_lllPT8_llli
                                        ; -- End function
	.set _ZL30rocblas_trmm_outofplace_kernelI19rocblas_complex_numIdELi32ELi2ELb1ELb1ELb1ELb1EPKS1_S2_S1_Ev17rocblas_diagonal_iiT6_lPT7_lllS7_lllPT8_llli.num_vgpr, 64
	.set _ZL30rocblas_trmm_outofplace_kernelI19rocblas_complex_numIdELi32ELi2ELb1ELb1ELb1ELb1EPKS1_S2_S1_Ev17rocblas_diagonal_iiT6_lPT7_lllS7_lllPT8_llli.num_agpr, 0
	.set _ZL30rocblas_trmm_outofplace_kernelI19rocblas_complex_numIdELi32ELi2ELb1ELb1ELb1ELb1EPKS1_S2_S1_Ev17rocblas_diagonal_iiT6_lPT7_lllS7_lllPT8_llli.numbered_sgpr, 60
	.set _ZL30rocblas_trmm_outofplace_kernelI19rocblas_complex_numIdELi32ELi2ELb1ELb1ELb1ELb1EPKS1_S2_S1_Ev17rocblas_diagonal_iiT6_lPT7_lllS7_lllPT8_llli.num_named_barrier, 0
	.set _ZL30rocblas_trmm_outofplace_kernelI19rocblas_complex_numIdELi32ELi2ELb1ELb1ELb1ELb1EPKS1_S2_S1_Ev17rocblas_diagonal_iiT6_lPT7_lllS7_lllPT8_llli.private_seg_size, 60
	.set _ZL30rocblas_trmm_outofplace_kernelI19rocblas_complex_numIdELi32ELi2ELb1ELb1ELb1ELb1EPKS1_S2_S1_Ev17rocblas_diagonal_iiT6_lPT7_lllS7_lllPT8_llli.uses_vcc, 1
	.set _ZL30rocblas_trmm_outofplace_kernelI19rocblas_complex_numIdELi32ELi2ELb1ELb1ELb1ELb1EPKS1_S2_S1_Ev17rocblas_diagonal_iiT6_lPT7_lllS7_lllPT8_llli.uses_flat_scratch, 0
	.set _ZL30rocblas_trmm_outofplace_kernelI19rocblas_complex_numIdELi32ELi2ELb1ELb1ELb1ELb1EPKS1_S2_S1_Ev17rocblas_diagonal_iiT6_lPT7_lllS7_lllPT8_llli.has_dyn_sized_stack, 0
	.set _ZL30rocblas_trmm_outofplace_kernelI19rocblas_complex_numIdELi32ELi2ELb1ELb1ELb1ELb1EPKS1_S2_S1_Ev17rocblas_diagonal_iiT6_lPT7_lllS7_lllPT8_llli.has_recursion, 0
	.set _ZL30rocblas_trmm_outofplace_kernelI19rocblas_complex_numIdELi32ELi2ELb1ELb1ELb1ELb1EPKS1_S2_S1_Ev17rocblas_diagonal_iiT6_lPT7_lllS7_lllPT8_llli.has_indirect_call, 0
	.section	.AMDGPU.csdata,"",@progbits
; Kernel info:
; codeLenInByte = 10540
; TotalNumSgprs: 64
; NumVgprs: 64
; ScratchSize: 60
; MemoryBound: 0
; FloatMode: 240
; IeeeMode: 1
; LDSByteSize: 32768 bytes/workgroup (compile time only)
; SGPRBlocks: 8
; VGPRBlocks: 15
; NumSGPRsForWavesPerEU: 65
; NumVGPRsForWavesPerEU: 64
; Occupancy: 4
; WaveLimiterHint : 0
; COMPUTE_PGM_RSRC2:SCRATCH_EN: 1
; COMPUTE_PGM_RSRC2:USER_SGPR: 6
; COMPUTE_PGM_RSRC2:TRAP_HANDLER: 0
; COMPUTE_PGM_RSRC2:TGID_X_EN: 1
; COMPUTE_PGM_RSRC2:TGID_Y_EN: 1
; COMPUTE_PGM_RSRC2:TGID_Z_EN: 1
; COMPUTE_PGM_RSRC2:TIDIG_COMP_CNT: 1
	.section	.text._ZL30rocblas_trmm_outofplace_kernelI19rocblas_complex_numIdELi32ELi2ELb1ELb1ELb1ELb1ES1_KS1_S1_Ev17rocblas_diagonal_iiT6_lPT7_lllS6_lllPT8_llli,"axG",@progbits,_ZL30rocblas_trmm_outofplace_kernelI19rocblas_complex_numIdELi32ELi2ELb1ELb1ELb1ELb1ES1_KS1_S1_Ev17rocblas_diagonal_iiT6_lPT7_lllS6_lllPT8_llli,comdat
	.globl	_ZL30rocblas_trmm_outofplace_kernelI19rocblas_complex_numIdELi32ELi2ELb1ELb1ELb1ELb1ES1_KS1_S1_Ev17rocblas_diagonal_iiT6_lPT7_lllS6_lllPT8_llli ; -- Begin function _ZL30rocblas_trmm_outofplace_kernelI19rocblas_complex_numIdELi32ELi2ELb1ELb1ELb1ELb1ES1_KS1_S1_Ev17rocblas_diagonal_iiT6_lPT7_lllS6_lllPT8_llli
	.p2align	8
	.type	_ZL30rocblas_trmm_outofplace_kernelI19rocblas_complex_numIdELi32ELi2ELb1ELb1ELb1ELb1ES1_KS1_S1_Ev17rocblas_diagonal_iiT6_lPT7_lllS6_lllPT8_llli,@function
_ZL30rocblas_trmm_outofplace_kernelI19rocblas_complex_numIdELi32ELi2ELb1ELb1ELb1ELb1ES1_KS1_S1_Ev17rocblas_diagonal_iiT6_lPT7_lllS6_lllPT8_llli: ; @_ZL30rocblas_trmm_outofplace_kernelI19rocblas_complex_numIdELi32ELi2ELb1ELb1ELb1ELb1ES1_KS1_S1_Ev17rocblas_diagonal_iiT6_lPT7_lllS6_lllPT8_llli
; %bb.0:
	s_load_dwordx4 s[28:31], s[4:5], 0x10
	s_mov_b64 s[58:59], s[2:3]
	s_mov_b64 s[56:57], s[0:1]
	s_add_u32 s56, s56, s9
	s_addc_u32 s57, s57, 0
	s_waitcnt lgkmcnt(0)
	v_cmp_eq_f64_e64 s[0:1], s[28:29], 0
	v_cmp_eq_f64_e64 s[2:3], s[30:31], 0
	s_and_b64 s[0:1], s[0:1], s[2:3]
	s_and_b64 vcc, exec, s[0:1]
	s_cbranch_vccnz .LBB119_63
; %bb.1:
	s_load_dwordx4 s[44:47], s[4:5], 0x0
	s_waitcnt lgkmcnt(0)
	s_add_i32 s0, s46, -1
	s_ashr_i32 s1, s0, 31
	s_lshr_b32 s1, s1, 27
	s_add_i32 s0, s0, s1
	s_ashr_i32 s33, s0, 5
	s_cmp_gt_i32 s7, s33
	s_cbranch_scc1 .LBB119_63
; %bb.2:
	s_load_dwordx16 s[12:27], s[4:5], 0x28
	s_load_dwordx8 s[36:43], s[4:5], 0x68
	v_lshlrev_b32_e32 v6, 4, v1
	v_lshlrev_b32_e32 v34, 4, v0
	s_load_dword s54, s[4:5], 0x94
	s_waitcnt lgkmcnt(0)
	s_mul_i32 s1, s19, s8
	s_mul_hi_u32 s2, s18, s8
	s_mul_i32 s0, s18, s8
	s_add_i32 s1, s2, s1
	s_lshl_b64 s[10:11], s[0:1], 4
	s_add_u32 s0, s12, s10
	s_addc_u32 s1, s13, s11
	s_lshl_b64 s[18:19], s[14:15], 4
	s_add_u32 s2, s0, s18
	s_addc_u32 s3, s1, s19
	s_mul_i32 s0, s43, s8
	s_mul_hi_u32 s1, s42, s8
	s_add_i32 s1, s1, s0
	s_mul_i32 s0, s42, s8
	s_lshl_b64 s[0:1], s[0:1], 4
	s_add_u32 s9, s36, s0
	s_addc_u32 s14, s37, s1
	s_lshl_b64 s[0:1], s[38:39], 4
	s_add_u32 s47, s9, s0
	s_addc_u32 s52, s14, s1
	s_lshl_b32 s53, s6, 5
	v_add_u32_e32 v24, s53, v0
	v_ashrrev_i32_e32 v25, 31, v24
	v_mul_lo_u32 v4, s16, v25
	v_mul_lo_u32 v5, s17, v24
	v_mad_u64_u32 v[2:3], s[0:1], s16, v24, 0
	s_cmp_gt_i32 s6, -1
	s_cselect_b64 s[34:35], -1, 0
	v_add3_u32 v3, v3, v4, v5
	v_lshlrev_b64 v[2:3], 4, v[2:3]
	v_mov_b32_e32 v4, s3
	v_add_co_u32_e32 v2, vcc, s2, v2
	v_addc_co_u32_e32 v3, vcc, v4, v3, vcc
	v_add_co_u32_e32 v2, vcc, v2, v6
	buffer_store_dword v2, off, s[56:59], 0 ; 4-byte Folded Spill
	v_addc_co_u32_e32 v2, vcc, 0, v3, vcc
	buffer_store_dword v2, off, s[56:59], 0 offset:4 ; 4-byte Folded Spill
	v_lshlrev_b32_e32 v2, 9, v1
	v_add_u32_e32 v35, v34, v2
	v_add_u32_e32 v32, 0x4000, v2
	v_add_co_u32_e32 v2, vcc, 16, v24
	v_addc_co_u32_e32 v3, vcc, 0, v25, vcc
	buffer_store_dword v2, off, s[56:59], 0 offset:8 ; 4-byte Folded Spill
	s_nop 0
	buffer_store_dword v3, off, s[56:59], 0 offset:12 ; 4-byte Folded Spill
	s_cmpk_eq_i32 s44, 0x84
	s_cselect_b64 s[36:37], -1, 0
	s_ashr_i32 s39, s45, 31
	s_ashr_i32 s6, s46, 31
	s_add_u32 s42, s45, -16
	s_mul_i32 s9, s27, s8
	s_mul_hi_u32 s27, s26, s8
	s_addc_u32 s43, s39, -1
	s_add_i32 s9, s27, s9
	s_mul_i32 s8, s26, s8
	v_sub_co_u32_e32 v9, vcc, v24, v1
	s_lshl_b64 s[8:9], s[8:9], 4
	s_lshl_b64 s[22:23], s[22:23], 4
	s_mov_b32 s38, s45
	v_subbrev_co_u32_e32 v10, vcc, 0, v25, vcc
	s_add_u32 s8, s8, s22
	s_addc_u32 s9, s9, s23
	s_add_u32 s8, s20, s8
	s_addc_u32 s9, s21, s9
	s_movk_i32 s44, 0x100
	s_lshl_b64 s[20:21], s[24:25], 4
	s_lshl_b32 s55, s54, 5
	v_add_u32_e32 v4, 16, v24
	v_ashrrev_i32_e32 v5, 31, v4
	v_cmp_gt_i32_e64 s[14:15], s45, v4
	v_mov_b32_e32 v38, v10
	v_lshlrev_b64 v[4:5], 4, v[4:5]
	v_cmp_le_i32_e64 s[0:1], s45, v24
	v_cmp_gt_i32_e64 s[4:5], s45, v24
	v_mov_b32_e32 v37, v9
	v_add_u32_e32 v39, v32, v34
	v_lshl_add_u32 v20, s7, 5, v1
	v_cmp_le_i64_e64 s[2:3], s[38:39], v[2:3]
	v_add_co_u32_e32 v2, vcc, 16, v9
	v_addc_co_u32_e32 v3, vcc, 0, v10, vcc
	buffer_store_dword v2, off, s[56:59], 0 offset:16 ; 4-byte Folded Spill
	s_nop 0
	buffer_store_dword v3, off, s[56:59], 0 offset:20 ; 4-byte Folded Spill
	v_mov_b32_e32 v2, s9
	v_add_co_u32_e32 v3, vcc, s8, v34
	v_addc_co_u32_e32 v2, vcc, 0, v2, vcc
	v_add_co_u32_e32 v7, vcc, s44, v3
	v_addc_co_u32_e32 v8, vcc, 0, v2, vcc
	v_lshlrev_b64 v[2:3], 4, v[24:25]
	buffer_store_dword v7, off, s[56:59], 0 offset:48 ; 4-byte Folded Spill
	s_nop 0
	buffer_store_dword v8, off, s[56:59], 0 offset:52 ; 4-byte Folded Spill
	v_add_co_u32_e32 v7, vcc, s44, v2
	s_add_u32 s8, s18, s10
	v_addc_co_u32_e32 v8, vcc, 0, v3, vcc
	s_addc_u32 s9, s19, s11
	v_mov_b32_e32 v2, s8
	v_mov_b32_e32 v3, s9
	v_mad_u64_u32 v[2:3], s[8:9], s16, v7, v[2:3]
	v_mul_lo_u32 v8, s16, v8
	v_mul_lo_u32 v7, s17, v7
	v_add_co_u32_e32 v28, vcc, -16, v9
	v_addc_co_u32_e32 v29, vcc, -1, v10, vcc
	v_add3_u32 v3, v7, v3, v8
	v_add_co_u32_e32 v2, vcc, v2, v6
	v_addc_co_u32_e32 v3, vcc, 0, v3, vcc
	v_mov_b32_e32 v6, s13
	v_add_co_u32_e32 v33, vcc, s12, v2
	v_addc_co_u32_e32 v36, vcc, v6, v3, vcc
	v_mov_b32_e32 v2, 0
	v_mov_b32_e32 v3, 0x3ff00000
	buffer_store_dword v4, off, s[56:59], 0 offset:40 ; 4-byte Folded Spill
	s_nop 0
	buffer_store_dword v5, off, s[56:59], 0 offset:44 ; 4-byte Folded Spill
	s_branch .LBB119_4
.LBB119_3:                              ;   in Loop: Header=BB119_4 Depth=1
	s_or_b64 exec, exec, s[8:9]
	s_add_i32 s7, s54, s7
	s_cmp_le_i32 s7, s33
	s_waitcnt vmcnt(1)
	v_add_u32_e32 v20, s55, v20
	s_cbranch_scc0 .LBB119_63
.LBB119_4:                              ; =>This Loop Header: Depth=1
                                        ;     Child Loop BB119_7 Depth 2
	v_lshl_add_u32 v4, s7, 5, v1
	v_mov_b32_e32 v46, 0
	v_mov_b32_e32 v48, 0
	;; [unrolled: 1-line block ×8, first 2 shown]
	buffer_store_dword v20, off, s[56:59], 0 offset:28 ; 4-byte Folded Spill
	s_waitcnt vmcnt(1)
	buffer_store_dword v21, off, s[56:59], 0 offset:32 ; 4-byte Folded Spill
	v_mov_b32_e32 v47, 0
	s_andn2_b64 vcc, exec, s[34:35]
	v_mov_b32_e32 v49, 0
	v_mov_b32_e32 v17, 0
	;; [unrolled: 1-line block ×7, first 2 shown]
	buffer_store_dword v4, off, s[56:59], 0 offset:24 ; 4-byte Folded Spill
	v_ashrrev_i32_e32 v4, 31, v4
	buffer_store_dword v4, off, s[56:59], 0 offset:36 ; 4-byte Folded Spill
	s_cbranch_vccnz .LBB119_55
; %bb.5:                                ;   in Loop: Header=BB119_4 Depth=1
	buffer_load_dword v4, off, s[56:59], 0 offset:28 ; 4-byte Folded Reload
	buffer_load_dword v5, off, s[56:59], 0 offset:32 ; 4-byte Folded Reload
	;; [unrolled: 1-line block ×4, first 2 shown]
	v_mov_b32_e32 v14, 0
	v_mov_b32_e32 v52, 0
	;; [unrolled: 1-line block ×7, first 2 shown]
	s_mov_b64 s[22:23], 0
	v_mov_b32_e32 v15, 0
	v_mov_b32_e32 v53, 0
	;; [unrolled: 1-line block ×7, first 2 shown]
	s_mov_b64 s[26:27], 0
	s_waitcnt vmcnt(3)
	v_mov_b32_e32 v11, v4
	v_ashrrev_i32_e32 v12, 31, v11
	buffer_store_dword v4, off, s[56:59], 0 offset:28 ; 4-byte Folded Spill
	s_waitcnt vmcnt(3)
	buffer_store_dword v5, off, s[56:59], 0 offset:32 ; 4-byte Folded Spill
	s_waitcnt vmcnt(2)
	v_mad_u64_u32 v[42:43], s[8:9], s20, v11, v[9:10]
	v_mul_lo_u32 v6, s21, v11
	v_mul_lo_u32 v7, s20, v12
	v_lshlrev_b64 v[4:5], 4, v[11:12]
	v_mov_b32_e32 v12, 0
	v_add_co_u32_e32 v4, vcc, 0x100, v4
	v_mul_lo_u32 v8, s25, v4
	v_mad_u64_u32 v[44:45], s[8:9], s24, v4, v[9:10]
	buffer_load_dword v4, off, s[56:59], 0 offset:24 ; 4-byte Folded Reload
	v_add3_u32 v43, v6, v43, v7
	buffer_load_dword v6, off, s[56:59], 0 offset:36 ; 4-byte Folded Reload
	v_addc_co_u32_e32 v5, vcc, 0, v5, vcc
	v_mul_lo_u32 v5, s24, v5
	v_mov_b32_e32 v13, 0
	v_add3_u32 v45, v8, v45, v5
	v_mov_b32_e32 v5, s6
	s_waitcnt vmcnt(1)
	v_sub_co_u32_e32 v4, vcc, s46, v4
	s_waitcnt vmcnt(0)
	v_subb_co_u32_e32 v5, vcc, v5, v6, vcc
	v_cmp_lt_i64_e32 vcc, 0, v[4:5]
	v_cmp_lt_i64_e64 s[8:9], 16, v[4:5]
	s_branch .LBB119_7
.LBB119_6:                              ;   in Loop: Header=BB119_7 Depth=2
	s_or_b64 exec, exec, s[10:11]
	s_waitcnt lgkmcnt(0)
	s_barrier
	ds_read_b128 v[54:57], v32
	ds_read_b128 v[20:23], v32 offset:16
	ds_read_b128 v[8:11], v32 offset:32
	;; [unrolled: 1-line block ×3, first 2 shown]
	ds_read_b128 v[58:61], v34
	s_add_u32 s26, s26, 32
	s_addc_u32 s27, s27, 0
	s_sub_i32 s10, s26, 32
	s_add_u32 s22, s22, 0x200
	s_waitcnt lgkmcnt(0)
	v_mul_f64 v[40:41], v[56:57], v[60:61]
	v_mul_f64 v[62:63], v[54:55], v[60:61]
	s_addc_u32 s23, s23, 0
	s_cmp_ge_i32 s10, s53
	v_fma_f64 v[40:41], v[54:55], v[58:59], -v[40:41]
	v_fma_f64 v[62:63], v[56:57], v[58:59], v[62:63]
	v_add_f64 v[40:41], v[46:47], v[40:41]
	v_add_f64 v[62:63], v[62:63], v[48:49]
	ds_read_b128 v[46:49], v34 offset:256
	s_waitcnt lgkmcnt(0)
	v_mul_f64 v[26:27], v[56:57], v[48:49]
	v_fma_f64 v[26:27], v[54:55], v[46:47], -v[26:27]
	v_mul_f64 v[54:55], v[54:55], v[48:49]
	v_add_f64 v[26:27], v[16:17], v[26:27]
	v_fma_f64 v[54:55], v[56:57], v[46:47], v[54:55]
	v_add_f64 v[30:31], v[54:55], v[18:19]
	ds_read_b128 v[16:19], v32 offset:8192
	s_waitcnt lgkmcnt(0)
	v_mul_f64 v[54:55], v[18:19], v[60:61]
	v_mul_f64 v[56:57], v[16:17], v[60:61]
	v_fma_f64 v[54:55], v[16:17], v[58:59], -v[54:55]
	v_fma_f64 v[56:57], v[18:19], v[58:59], v[56:57]
	v_add_f64 v[58:59], v[50:51], v[54:55]
	v_mul_f64 v[50:51], v[18:19], v[48:49]
	v_add_f64 v[60:61], v[56:57], v[52:53]
	v_fma_f64 v[50:51], v[16:17], v[46:47], -v[50:51]
	v_mul_f64 v[16:17], v[16:17], v[48:49]
	v_add_f64 v[54:55], v[14:15], v[50:51]
	v_fma_f64 v[16:17], v[18:19], v[46:47], v[16:17]
	v_add_f64 v[56:57], v[16:17], v[12:13]
	ds_read_b128 v[16:19], v34 offset:512
	s_waitcnt lgkmcnt(0)
	v_mul_f64 v[12:13], v[22:23], v[18:19]
	v_mul_f64 v[14:15], v[20:21], v[18:19]
	v_fma_f64 v[12:13], v[20:21], v[16:17], -v[12:13]
	v_fma_f64 v[14:15], v[22:23], v[16:17], v[14:15]
	v_add_f64 v[50:51], v[40:41], v[12:13]
	v_add_f64 v[52:53], v[14:15], v[62:63]
	ds_read_b128 v[12:15], v34 offset:768
	s_waitcnt lgkmcnt(0)
	v_mul_f64 v[40:41], v[22:23], v[14:15]
	v_fma_f64 v[40:41], v[20:21], v[12:13], -v[40:41]
	v_mul_f64 v[20:21], v[20:21], v[14:15]
	v_add_f64 v[46:47], v[26:27], v[40:41]
	v_fma_f64 v[20:21], v[22:23], v[12:13], v[20:21]
	v_add_f64 v[48:49], v[20:21], v[30:31]
	ds_read_b128 v[20:23], v32 offset:8208
	s_waitcnt lgkmcnt(0)
	v_mul_f64 v[26:27], v[22:23], v[18:19]
	v_mul_f64 v[18:19], v[20:21], v[18:19]
	v_fma_f64 v[26:27], v[20:21], v[16:17], -v[26:27]
	v_fma_f64 v[18:19], v[22:23], v[16:17], v[18:19]
	v_add_f64 v[16:17], v[58:59], v[26:27]
	v_mul_f64 v[26:27], v[22:23], v[14:15]
	v_mul_f64 v[14:15], v[20:21], v[14:15]
	v_add_f64 v[18:19], v[18:19], v[60:61]
	v_fma_f64 v[26:27], v[20:21], v[12:13], -v[26:27]
	v_fma_f64 v[14:15], v[22:23], v[12:13], v[14:15]
	ds_read_b128 v[20:23], v34 offset:1024
	s_waitcnt lgkmcnt(0)
	v_mul_f64 v[30:31], v[8:9], v[22:23]
	v_add_f64 v[12:13], v[54:55], v[26:27]
	v_mul_f64 v[26:27], v[10:11], v[22:23]
	v_add_f64 v[14:15], v[14:15], v[56:57]
	v_fma_f64 v[30:31], v[10:11], v[20:21], v[30:31]
	v_fma_f64 v[26:27], v[8:9], v[20:21], -v[26:27]
	v_add_f64 v[30:31], v[30:31], v[52:53]
	v_add_f64 v[26:27], v[50:51], v[26:27]
	ds_read_b128 v[50:53], v34 offset:1280
	s_waitcnt lgkmcnt(0)
	v_mul_f64 v[40:41], v[10:11], v[52:53]
	v_fma_f64 v[40:41], v[8:9], v[50:51], -v[40:41]
	v_mul_f64 v[8:9], v[8:9], v[52:53]
	v_add_f64 v[40:41], v[46:47], v[40:41]
	v_fma_f64 v[8:9], v[10:11], v[50:51], v[8:9]
	v_add_f64 v[54:55], v[8:9], v[48:49]
	ds_read_b128 v[8:11], v32 offset:8224
	s_waitcnt lgkmcnt(0)
	v_mul_f64 v[46:47], v[10:11], v[22:23]
	v_mul_f64 v[22:23], v[8:9], v[22:23]
	v_fma_f64 v[46:47], v[8:9], v[20:21], -v[46:47]
	v_fma_f64 v[20:21], v[10:11], v[20:21], v[22:23]
	v_add_f64 v[46:47], v[16:17], v[46:47]
	v_mul_f64 v[16:17], v[10:11], v[52:53]
	v_add_f64 v[48:49], v[20:21], v[18:19]
	v_fma_f64 v[16:17], v[8:9], v[50:51], -v[16:17]
	v_mul_f64 v[8:9], v[8:9], v[52:53]
	v_add_f64 v[20:21], v[12:13], v[16:17]
	v_fma_f64 v[8:9], v[10:11], v[50:51], v[8:9]
	ds_read_b128 v[50:53], v32 offset:8240
	v_add_f64 v[22:23], v[8:9], v[14:15]
	ds_read_b128 v[12:15], v34 offset:1536
	s_waitcnt lgkmcnt(0)
	v_mul_f64 v[8:9], v[6:7], v[14:15]
	v_mul_f64 v[10:11], v[4:5], v[14:15]
	v_fma_f64 v[8:9], v[4:5], v[12:13], -v[8:9]
	v_fma_f64 v[10:11], v[6:7], v[12:13], v[10:11]
	v_add_f64 v[16:17], v[26:27], v[8:9]
	v_add_f64 v[18:19], v[10:11], v[30:31]
	ds_read_b128 v[8:11], v34 offset:1792
	s_waitcnt lgkmcnt(0)
	v_mul_f64 v[26:27], v[6:7], v[10:11]
	v_fma_f64 v[26:27], v[4:5], v[8:9], -v[26:27]
	v_mul_f64 v[4:5], v[4:5], v[10:11]
	v_fma_f64 v[6:7], v[6:7], v[8:9], v[4:5]
	v_add_f64 v[4:5], v[40:41], v[26:27]
	v_mul_f64 v[26:27], v[52:53], v[14:15]
	v_mul_f64 v[14:15], v[50:51], v[14:15]
	v_add_f64 v[6:7], v[6:7], v[54:55]
	v_fma_f64 v[26:27], v[50:51], v[12:13], -v[26:27]
	v_fma_f64 v[14:15], v[52:53], v[12:13], v[14:15]
	v_add_f64 v[12:13], v[46:47], v[26:27]
	v_mul_f64 v[26:27], v[52:53], v[10:11]
	v_mul_f64 v[10:11], v[50:51], v[10:11]
	v_add_f64 v[14:15], v[14:15], v[48:49]
	v_fma_f64 v[26:27], v[50:51], v[8:9], -v[26:27]
	v_fma_f64 v[8:9], v[52:53], v[8:9], v[10:11]
	v_add_f64 v[26:27], v[20:21], v[26:27]
	v_add_f64 v[30:31], v[8:9], v[22:23]
	ds_read_b128 v[8:11], v32 offset:64
	ds_read_b128 v[20:23], v34 offset:2048
	s_waitcnt lgkmcnt(0)
	v_mul_f64 v[46:47], v[8:9], v[22:23]
	v_mul_f64 v[40:41], v[10:11], v[22:23]
	v_fma_f64 v[46:47], v[10:11], v[20:21], v[46:47]
	v_fma_f64 v[40:41], v[8:9], v[20:21], -v[40:41]
	v_add_f64 v[18:19], v[46:47], v[18:19]
	ds_read_b128 v[46:49], v34 offset:2304
	v_add_f64 v[16:17], v[16:17], v[40:41]
	s_waitcnt lgkmcnt(0)
	v_mul_f64 v[40:41], v[10:11], v[48:49]
	v_fma_f64 v[40:41], v[8:9], v[46:47], -v[40:41]
	v_mul_f64 v[8:9], v[8:9], v[48:49]
	v_add_f64 v[40:41], v[4:5], v[40:41]
	v_fma_f64 v[8:9], v[10:11], v[46:47], v[8:9]
	v_add_f64 v[54:55], v[8:9], v[6:7]
	ds_read_b128 v[4:7], v32 offset:8256
	s_waitcnt lgkmcnt(0)
	v_mul_f64 v[8:9], v[6:7], v[22:23]
	v_mul_f64 v[10:11], v[4:5], v[22:23]
	v_fma_f64 v[8:9], v[4:5], v[20:21], -v[8:9]
	v_fma_f64 v[10:11], v[6:7], v[20:21], v[10:11]
	v_add_f64 v[20:21], v[12:13], v[8:9]
	v_mul_f64 v[8:9], v[6:7], v[48:49]
	v_add_f64 v[22:23], v[10:11], v[14:15]
	v_fma_f64 v[8:9], v[4:5], v[46:47], -v[8:9]
	v_mul_f64 v[4:5], v[4:5], v[48:49]
	v_add_f64 v[12:13], v[26:27], v[8:9]
	v_fma_f64 v[4:5], v[6:7], v[46:47], v[4:5]
	ds_read_b128 v[50:53], v32 offset:80
	ds_read_b128 v[8:11], v34 offset:2560
	s_waitcnt lgkmcnt(0)
	v_mul_f64 v[6:7], v[50:51], v[10:11]
	v_add_f64 v[14:15], v[4:5], v[30:31]
	v_mul_f64 v[4:5], v[52:53], v[10:11]
	v_fma_f64 v[6:7], v[52:53], v[8:9], v[6:7]
	v_fma_f64 v[4:5], v[50:51], v[8:9], -v[4:5]
	v_add_f64 v[48:49], v[6:7], v[18:19]
	v_add_f64 v[46:47], v[16:17], v[4:5]
	ds_read_b128 v[4:7], v34 offset:2816
	s_waitcnt lgkmcnt(0)
	v_mul_f64 v[16:17], v[52:53], v[6:7]
	v_mul_f64 v[18:19], v[50:51], v[6:7]
	v_fma_f64 v[16:17], v[50:51], v[4:5], -v[16:17]
	v_fma_f64 v[18:19], v[52:53], v[4:5], v[18:19]
	ds_read_b128 v[50:53], v32 offset:8272
	s_waitcnt lgkmcnt(0)
	v_mul_f64 v[26:27], v[52:53], v[10:11]
	v_mul_f64 v[10:11], v[50:51], v[10:11]
	v_add_f64 v[16:17], v[40:41], v[16:17]
	v_add_f64 v[18:19], v[18:19], v[54:55]
	v_fma_f64 v[26:27], v[50:51], v[8:9], -v[26:27]
	v_fma_f64 v[10:11], v[52:53], v[8:9], v[10:11]
	v_add_f64 v[8:9], v[20:21], v[26:27]
	v_mul_f64 v[20:21], v[52:53], v[6:7]
	v_mul_f64 v[6:7], v[50:51], v[6:7]
	v_add_f64 v[10:11], v[10:11], v[22:23]
	v_fma_f64 v[20:21], v[50:51], v[4:5], -v[20:21]
	v_fma_f64 v[4:5], v[52:53], v[4:5], v[6:7]
	v_add_f64 v[26:27], v[12:13], v[20:21]
	v_add_f64 v[30:31], v[4:5], v[14:15]
	ds_read_b128 v[12:15], v32 offset:96
	ds_read_b128 v[20:23], v34 offset:3072
	s_waitcnt lgkmcnt(0)
	v_mul_f64 v[4:5], v[14:15], v[22:23]
	v_mul_f64 v[6:7], v[12:13], v[22:23]
	v_fma_f64 v[4:5], v[12:13], v[20:21], -v[4:5]
	v_fma_f64 v[6:7], v[14:15], v[20:21], v[6:7]
	v_add_f64 v[4:5], v[46:47], v[4:5]
	v_add_f64 v[6:7], v[6:7], v[48:49]
	ds_read_b128 v[46:49], v34 offset:3328
	s_waitcnt lgkmcnt(0)
	v_mul_f64 v[40:41], v[14:15], v[48:49]
	v_fma_f64 v[40:41], v[12:13], v[46:47], -v[40:41]
	v_mul_f64 v[12:13], v[12:13], v[48:49]
	v_add_f64 v[40:41], v[16:17], v[40:41]
	v_fma_f64 v[12:13], v[14:15], v[46:47], v[12:13]
	v_add_f64 v[50:51], v[12:13], v[18:19]
	ds_read_b128 v[12:15], v32 offset:8288
	s_waitcnt lgkmcnt(0)
	v_mul_f64 v[16:17], v[14:15], v[22:23]
	v_mul_f64 v[18:19], v[12:13], v[22:23]
	v_fma_f64 v[16:17], v[12:13], v[20:21], -v[16:17]
	v_fma_f64 v[18:19], v[14:15], v[20:21], v[18:19]
	v_add_f64 v[20:21], v[8:9], v[16:17]
	v_add_f64 v[22:23], v[18:19], v[10:11]
	v_mul_f64 v[8:9], v[14:15], v[48:49]
	v_mul_f64 v[10:11], v[12:13], v[48:49]
	v_fma_f64 v[8:9], v[12:13], v[46:47], -v[8:9]
	v_fma_f64 v[10:11], v[14:15], v[46:47], v[10:11]
	v_add_f64 v[12:13], v[26:27], v[8:9]
	v_add_f64 v[14:15], v[10:11], v[30:31]
	ds_read_b128 v[16:19], v32 offset:112
	ds_read_b128 v[8:11], v34 offset:3584
	s_waitcnt lgkmcnt(0)
	v_mul_f64 v[26:27], v[18:19], v[10:11]
	v_mul_f64 v[30:31], v[16:17], v[10:11]
	v_fma_f64 v[26:27], v[16:17], v[8:9], -v[26:27]
	v_fma_f64 v[30:31], v[18:19], v[8:9], v[30:31]
	v_add_f64 v[46:47], v[4:5], v[26:27]
	v_add_f64 v[48:49], v[30:31], v[6:7]
	ds_read_b128 v[4:7], v34 offset:3840
	s_waitcnt lgkmcnt(0)
	v_mul_f64 v[26:27], v[18:19], v[6:7]
	v_fma_f64 v[26:27], v[16:17], v[4:5], -v[26:27]
	v_mul_f64 v[16:17], v[16:17], v[6:7]
	v_fma_f64 v[18:19], v[18:19], v[4:5], v[16:17]
	v_add_f64 v[16:17], v[40:41], v[26:27]
	v_add_f64 v[18:19], v[18:19], v[50:51]
	ds_read_b128 v[50:53], v32 offset:8304
	s_waitcnt lgkmcnt(0)
	v_mul_f64 v[26:27], v[52:53], v[10:11]
	v_mul_f64 v[10:11], v[50:51], v[10:11]
	v_fma_f64 v[26:27], v[50:51], v[8:9], -v[26:27]
	v_fma_f64 v[10:11], v[52:53], v[8:9], v[10:11]
	v_add_f64 v[8:9], v[20:21], v[26:27]
	v_mul_f64 v[20:21], v[52:53], v[6:7]
	v_mul_f64 v[6:7], v[50:51], v[6:7]
	v_add_f64 v[10:11], v[10:11], v[22:23]
	v_fma_f64 v[20:21], v[50:51], v[4:5], -v[20:21]
	v_fma_f64 v[4:5], v[52:53], v[4:5], v[6:7]
	v_add_f64 v[26:27], v[12:13], v[20:21]
	v_add_f64 v[30:31], v[4:5], v[14:15]
	ds_read_b128 v[12:15], v32 offset:128
	ds_read_b128 v[20:23], v34 offset:4096
	s_waitcnt lgkmcnt(0)
	v_mul_f64 v[4:5], v[14:15], v[22:23]
	v_mul_f64 v[6:7], v[12:13], v[22:23]
	v_fma_f64 v[4:5], v[12:13], v[20:21], -v[4:5]
	v_fma_f64 v[6:7], v[14:15], v[20:21], v[6:7]
	v_add_f64 v[4:5], v[46:47], v[4:5]
	v_add_f64 v[6:7], v[6:7], v[48:49]
	ds_read_b128 v[46:49], v34 offset:4352
	s_waitcnt lgkmcnt(0)
	v_mul_f64 v[40:41], v[14:15], v[48:49]
	v_fma_f64 v[40:41], v[12:13], v[46:47], -v[40:41]
	v_mul_f64 v[12:13], v[12:13], v[48:49]
	v_add_f64 v[40:41], v[16:17], v[40:41]
	v_fma_f64 v[12:13], v[14:15], v[46:47], v[12:13]
	v_add_f64 v[50:51], v[12:13], v[18:19]
	ds_read_b128 v[12:15], v32 offset:8320
	s_waitcnt lgkmcnt(0)
	v_mul_f64 v[16:17], v[14:15], v[22:23]
	v_mul_f64 v[18:19], v[12:13], v[22:23]
	v_fma_f64 v[16:17], v[12:13], v[20:21], -v[16:17]
	v_fma_f64 v[18:19], v[14:15], v[20:21], v[18:19]
	v_add_f64 v[20:21], v[8:9], v[16:17]
	v_add_f64 v[22:23], v[18:19], v[10:11]
	v_mul_f64 v[8:9], v[14:15], v[48:49]
	v_mul_f64 v[10:11], v[12:13], v[48:49]
	v_fma_f64 v[8:9], v[12:13], v[46:47], -v[8:9]
	v_fma_f64 v[10:11], v[14:15], v[46:47], v[10:11]
	v_add_f64 v[12:13], v[26:27], v[8:9]
	v_add_f64 v[14:15], v[10:11], v[30:31]
	ds_read_b128 v[16:19], v32 offset:144
	ds_read_b128 v[8:11], v34 offset:4608
	s_waitcnt lgkmcnt(0)
	v_mul_f64 v[26:27], v[18:19], v[10:11]
	v_mul_f64 v[30:31], v[16:17], v[10:11]
	v_fma_f64 v[26:27], v[16:17], v[8:9], -v[26:27]
	v_fma_f64 v[30:31], v[18:19], v[8:9], v[30:31]
	v_add_f64 v[46:47], v[4:5], v[26:27]
	v_add_f64 v[48:49], v[30:31], v[6:7]
	ds_read_b128 v[4:7], v34 offset:4864
	s_waitcnt lgkmcnt(0)
	v_mul_f64 v[26:27], v[18:19], v[6:7]
	v_fma_f64 v[26:27], v[16:17], v[4:5], -v[26:27]
	v_mul_f64 v[16:17], v[16:17], v[6:7]
	v_fma_f64 v[18:19], v[18:19], v[4:5], v[16:17]
	v_add_f64 v[16:17], v[40:41], v[26:27]
	v_add_f64 v[18:19], v[18:19], v[50:51]
	ds_read_b128 v[50:53], v32 offset:8336
	s_waitcnt lgkmcnt(0)
	v_mul_f64 v[26:27], v[52:53], v[10:11]
	v_mul_f64 v[10:11], v[50:51], v[10:11]
	v_fma_f64 v[26:27], v[50:51], v[8:9], -v[26:27]
	v_fma_f64 v[10:11], v[52:53], v[8:9], v[10:11]
	v_add_f64 v[8:9], v[20:21], v[26:27]
	v_mul_f64 v[20:21], v[52:53], v[6:7]
	v_mul_f64 v[6:7], v[50:51], v[6:7]
	v_add_f64 v[10:11], v[10:11], v[22:23]
	v_fma_f64 v[20:21], v[50:51], v[4:5], -v[20:21]
	v_fma_f64 v[4:5], v[52:53], v[4:5], v[6:7]
	v_add_f64 v[26:27], v[12:13], v[20:21]
	v_add_f64 v[30:31], v[4:5], v[14:15]
	ds_read_b128 v[12:15], v32 offset:160
	ds_read_b128 v[20:23], v34 offset:5120
	s_waitcnt lgkmcnt(0)
	v_mul_f64 v[4:5], v[14:15], v[22:23]
	v_mul_f64 v[6:7], v[12:13], v[22:23]
	v_fma_f64 v[4:5], v[12:13], v[20:21], -v[4:5]
	v_fma_f64 v[6:7], v[14:15], v[20:21], v[6:7]
	v_add_f64 v[4:5], v[46:47], v[4:5]
	v_add_f64 v[6:7], v[6:7], v[48:49]
	ds_read_b128 v[46:49], v34 offset:5376
	s_waitcnt lgkmcnt(0)
	v_mul_f64 v[40:41], v[14:15], v[48:49]
	v_fma_f64 v[40:41], v[12:13], v[46:47], -v[40:41]
	v_mul_f64 v[12:13], v[12:13], v[48:49]
	v_add_f64 v[40:41], v[16:17], v[40:41]
	v_fma_f64 v[12:13], v[14:15], v[46:47], v[12:13]
	v_add_f64 v[50:51], v[12:13], v[18:19]
	ds_read_b128 v[12:15], v32 offset:8352
	s_waitcnt lgkmcnt(0)
	v_mul_f64 v[16:17], v[14:15], v[22:23]
	v_mul_f64 v[18:19], v[12:13], v[22:23]
	v_fma_f64 v[16:17], v[12:13], v[20:21], -v[16:17]
	v_fma_f64 v[18:19], v[14:15], v[20:21], v[18:19]
	v_add_f64 v[20:21], v[8:9], v[16:17]
	v_add_f64 v[22:23], v[18:19], v[10:11]
	v_mul_f64 v[8:9], v[14:15], v[48:49]
	v_mul_f64 v[10:11], v[12:13], v[48:49]
	v_fma_f64 v[8:9], v[12:13], v[46:47], -v[8:9]
	v_fma_f64 v[10:11], v[14:15], v[46:47], v[10:11]
	v_add_f64 v[12:13], v[26:27], v[8:9]
	v_add_f64 v[14:15], v[10:11], v[30:31]
	ds_read_b128 v[16:19], v32 offset:176
	ds_read_b128 v[8:11], v34 offset:5632
	s_waitcnt lgkmcnt(0)
	v_mul_f64 v[26:27], v[18:19], v[10:11]
	v_mul_f64 v[30:31], v[16:17], v[10:11]
	v_fma_f64 v[26:27], v[16:17], v[8:9], -v[26:27]
	v_fma_f64 v[30:31], v[18:19], v[8:9], v[30:31]
	v_add_f64 v[46:47], v[4:5], v[26:27]
	v_add_f64 v[48:49], v[30:31], v[6:7]
	ds_read_b128 v[4:7], v34 offset:5888
	s_waitcnt lgkmcnt(0)
	v_mul_f64 v[26:27], v[18:19], v[6:7]
	v_fma_f64 v[26:27], v[16:17], v[4:5], -v[26:27]
	v_mul_f64 v[16:17], v[16:17], v[6:7]
	v_fma_f64 v[18:19], v[18:19], v[4:5], v[16:17]
	v_add_f64 v[16:17], v[40:41], v[26:27]
	v_add_f64 v[18:19], v[18:19], v[50:51]
	ds_read_b128 v[50:53], v32 offset:8368
	s_waitcnt lgkmcnt(0)
	v_mul_f64 v[26:27], v[52:53], v[10:11]
	v_mul_f64 v[10:11], v[50:51], v[10:11]
	v_fma_f64 v[26:27], v[50:51], v[8:9], -v[26:27]
	v_fma_f64 v[10:11], v[52:53], v[8:9], v[10:11]
	v_add_f64 v[8:9], v[20:21], v[26:27]
	v_mul_f64 v[20:21], v[52:53], v[6:7]
	v_mul_f64 v[6:7], v[50:51], v[6:7]
	v_add_f64 v[10:11], v[10:11], v[22:23]
	v_fma_f64 v[20:21], v[50:51], v[4:5], -v[20:21]
	v_fma_f64 v[4:5], v[52:53], v[4:5], v[6:7]
	v_add_f64 v[26:27], v[12:13], v[20:21]
	v_add_f64 v[30:31], v[4:5], v[14:15]
	ds_read_b128 v[12:15], v32 offset:192
	ds_read_b128 v[20:23], v34 offset:6144
	s_waitcnt lgkmcnt(0)
	v_mul_f64 v[4:5], v[14:15], v[22:23]
	v_mul_f64 v[6:7], v[12:13], v[22:23]
	v_fma_f64 v[4:5], v[12:13], v[20:21], -v[4:5]
	v_fma_f64 v[6:7], v[14:15], v[20:21], v[6:7]
	v_add_f64 v[4:5], v[46:47], v[4:5]
	v_add_f64 v[6:7], v[6:7], v[48:49]
	ds_read_b128 v[46:49], v34 offset:6400
	s_waitcnt lgkmcnt(0)
	v_mul_f64 v[40:41], v[14:15], v[48:49]
	v_fma_f64 v[40:41], v[12:13], v[46:47], -v[40:41]
	v_mul_f64 v[12:13], v[12:13], v[48:49]
	v_add_f64 v[40:41], v[16:17], v[40:41]
	v_fma_f64 v[12:13], v[14:15], v[46:47], v[12:13]
	v_add_f64 v[50:51], v[12:13], v[18:19]
	ds_read_b128 v[12:15], v32 offset:8384
	s_waitcnt lgkmcnt(0)
	v_mul_f64 v[16:17], v[14:15], v[22:23]
	v_mul_f64 v[18:19], v[12:13], v[22:23]
	v_fma_f64 v[16:17], v[12:13], v[20:21], -v[16:17]
	v_fma_f64 v[18:19], v[14:15], v[20:21], v[18:19]
	v_add_f64 v[20:21], v[8:9], v[16:17]
	v_add_f64 v[22:23], v[18:19], v[10:11]
	v_mul_f64 v[8:9], v[14:15], v[48:49]
	v_mul_f64 v[10:11], v[12:13], v[48:49]
	v_fma_f64 v[8:9], v[12:13], v[46:47], -v[8:9]
	v_fma_f64 v[10:11], v[14:15], v[46:47], v[10:11]
	v_add_f64 v[12:13], v[26:27], v[8:9]
	v_add_f64 v[14:15], v[10:11], v[30:31]
	ds_read_b128 v[16:19], v32 offset:208
	ds_read_b128 v[8:11], v34 offset:6656
	s_waitcnt lgkmcnt(0)
	v_mul_f64 v[26:27], v[18:19], v[10:11]
	v_mul_f64 v[30:31], v[16:17], v[10:11]
	v_fma_f64 v[26:27], v[16:17], v[8:9], -v[26:27]
	v_fma_f64 v[30:31], v[18:19], v[8:9], v[30:31]
	v_add_f64 v[46:47], v[4:5], v[26:27]
	v_add_f64 v[48:49], v[30:31], v[6:7]
	ds_read_b128 v[4:7], v34 offset:6912
	s_waitcnt lgkmcnt(0)
	v_mul_f64 v[26:27], v[18:19], v[6:7]
	v_fma_f64 v[26:27], v[16:17], v[4:5], -v[26:27]
	v_mul_f64 v[16:17], v[16:17], v[6:7]
	v_fma_f64 v[18:19], v[18:19], v[4:5], v[16:17]
	v_add_f64 v[16:17], v[40:41], v[26:27]
	v_add_f64 v[18:19], v[18:19], v[50:51]
	ds_read_b128 v[50:53], v32 offset:8400
	s_waitcnt lgkmcnt(0)
	v_mul_f64 v[26:27], v[52:53], v[10:11]
	v_mul_f64 v[10:11], v[50:51], v[10:11]
	v_fma_f64 v[26:27], v[50:51], v[8:9], -v[26:27]
	v_fma_f64 v[10:11], v[52:53], v[8:9], v[10:11]
	v_add_f64 v[8:9], v[20:21], v[26:27]
	v_mul_f64 v[20:21], v[52:53], v[6:7]
	v_mul_f64 v[6:7], v[50:51], v[6:7]
	v_add_f64 v[10:11], v[10:11], v[22:23]
	v_fma_f64 v[20:21], v[50:51], v[4:5], -v[20:21]
	v_fma_f64 v[4:5], v[52:53], v[4:5], v[6:7]
	v_add_f64 v[26:27], v[12:13], v[20:21]
	v_add_f64 v[30:31], v[4:5], v[14:15]
	ds_read_b128 v[12:15], v32 offset:224
	ds_read_b128 v[20:23], v34 offset:7168
	s_waitcnt lgkmcnt(0)
	v_mul_f64 v[4:5], v[14:15], v[22:23]
	v_mul_f64 v[6:7], v[12:13], v[22:23]
	v_fma_f64 v[4:5], v[12:13], v[20:21], -v[4:5]
	v_fma_f64 v[6:7], v[14:15], v[20:21], v[6:7]
	v_add_f64 v[4:5], v[46:47], v[4:5]
	v_add_f64 v[6:7], v[6:7], v[48:49]
	ds_read_b128 v[46:49], v34 offset:7424
	s_waitcnt lgkmcnt(0)
	v_mul_f64 v[40:41], v[14:15], v[48:49]
	v_fma_f64 v[40:41], v[12:13], v[46:47], -v[40:41]
	v_mul_f64 v[12:13], v[12:13], v[48:49]
	v_add_f64 v[40:41], v[16:17], v[40:41]
	v_fma_f64 v[12:13], v[14:15], v[46:47], v[12:13]
	v_add_f64 v[50:51], v[12:13], v[18:19]
	ds_read_b128 v[12:15], v32 offset:8416
	s_waitcnt lgkmcnt(0)
	v_mul_f64 v[16:17], v[14:15], v[22:23]
	v_mul_f64 v[18:19], v[12:13], v[22:23]
	v_fma_f64 v[16:17], v[12:13], v[20:21], -v[16:17]
	v_fma_f64 v[18:19], v[14:15], v[20:21], v[18:19]
	v_add_f64 v[20:21], v[8:9], v[16:17]
	v_add_f64 v[22:23], v[18:19], v[10:11]
	v_mul_f64 v[8:9], v[14:15], v[48:49]
	v_mul_f64 v[10:11], v[12:13], v[48:49]
	v_fma_f64 v[8:9], v[12:13], v[46:47], -v[8:9]
	v_fma_f64 v[10:11], v[14:15], v[46:47], v[10:11]
	v_add_f64 v[12:13], v[26:27], v[8:9]
	v_add_f64 v[14:15], v[10:11], v[30:31]
	ds_read_b128 v[16:19], v32 offset:240
	ds_read_b128 v[8:11], v34 offset:7680
	s_waitcnt lgkmcnt(0)
	v_mul_f64 v[26:27], v[18:19], v[10:11]
	v_mul_f64 v[30:31], v[16:17], v[10:11]
	v_fma_f64 v[26:27], v[16:17], v[8:9], -v[26:27]
	v_fma_f64 v[30:31], v[18:19], v[8:9], v[30:31]
	v_add_f64 v[46:47], v[4:5], v[26:27]
	v_add_f64 v[48:49], v[30:31], v[6:7]
	ds_read_b128 v[4:7], v34 offset:7936
	s_waitcnt lgkmcnt(0)
	v_mul_f64 v[26:27], v[18:19], v[6:7]
	v_fma_f64 v[26:27], v[16:17], v[4:5], -v[26:27]
	v_mul_f64 v[16:17], v[16:17], v[6:7]
	v_fma_f64 v[18:19], v[18:19], v[4:5], v[16:17]
	v_add_f64 v[16:17], v[40:41], v[26:27]
	v_add_f64 v[18:19], v[18:19], v[50:51]
	ds_read_b128 v[50:53], v32 offset:8432
	s_waitcnt lgkmcnt(0)
	v_mul_f64 v[26:27], v[52:53], v[10:11]
	v_mul_f64 v[10:11], v[50:51], v[10:11]
	v_fma_f64 v[26:27], v[50:51], v[8:9], -v[26:27]
	v_fma_f64 v[10:11], v[52:53], v[8:9], v[10:11]
	v_add_f64 v[8:9], v[20:21], v[26:27]
	v_mul_f64 v[20:21], v[52:53], v[6:7]
	v_mul_f64 v[6:7], v[50:51], v[6:7]
	v_add_f64 v[10:11], v[10:11], v[22:23]
	v_fma_f64 v[20:21], v[50:51], v[4:5], -v[20:21]
	v_fma_f64 v[4:5], v[52:53], v[4:5], v[6:7]
	v_add_f64 v[26:27], v[12:13], v[20:21]
	v_add_f64 v[30:31], v[4:5], v[14:15]
	ds_read_b128 v[12:15], v32 offset:256
	ds_read_b128 v[20:23], v34 offset:8192
	s_waitcnt lgkmcnt(0)
	v_mul_f64 v[4:5], v[14:15], v[22:23]
	v_mul_f64 v[6:7], v[12:13], v[22:23]
	v_fma_f64 v[4:5], v[12:13], v[20:21], -v[4:5]
	v_fma_f64 v[6:7], v[14:15], v[20:21], v[6:7]
	v_add_f64 v[4:5], v[46:47], v[4:5]
	v_add_f64 v[6:7], v[6:7], v[48:49]
	ds_read_b128 v[46:49], v34 offset:8448
	s_waitcnt lgkmcnt(0)
	v_mul_f64 v[40:41], v[14:15], v[48:49]
	v_fma_f64 v[40:41], v[12:13], v[46:47], -v[40:41]
	v_mul_f64 v[12:13], v[12:13], v[48:49]
	v_add_f64 v[40:41], v[16:17], v[40:41]
	v_fma_f64 v[12:13], v[14:15], v[46:47], v[12:13]
	v_add_f64 v[50:51], v[12:13], v[18:19]
	ds_read_b128 v[12:15], v32 offset:8448
	s_waitcnt lgkmcnt(0)
	v_mul_f64 v[16:17], v[14:15], v[22:23]
	v_mul_f64 v[18:19], v[12:13], v[22:23]
	v_fma_f64 v[16:17], v[12:13], v[20:21], -v[16:17]
	v_fma_f64 v[18:19], v[14:15], v[20:21], v[18:19]
	v_add_f64 v[20:21], v[8:9], v[16:17]
	v_add_f64 v[22:23], v[18:19], v[10:11]
	v_mul_f64 v[8:9], v[14:15], v[48:49]
	v_mul_f64 v[10:11], v[12:13], v[48:49]
	v_fma_f64 v[8:9], v[12:13], v[46:47], -v[8:9]
	v_fma_f64 v[10:11], v[14:15], v[46:47], v[10:11]
	v_add_f64 v[12:13], v[26:27], v[8:9]
	v_add_f64 v[14:15], v[10:11], v[30:31]
	ds_read_b128 v[16:19], v32 offset:272
	ds_read_b128 v[8:11], v34 offset:8704
	s_waitcnt lgkmcnt(0)
	v_mul_f64 v[26:27], v[18:19], v[10:11]
	v_mul_f64 v[30:31], v[16:17], v[10:11]
	v_fma_f64 v[26:27], v[16:17], v[8:9], -v[26:27]
	v_fma_f64 v[30:31], v[18:19], v[8:9], v[30:31]
	v_add_f64 v[46:47], v[4:5], v[26:27]
	v_add_f64 v[48:49], v[30:31], v[6:7]
	ds_read_b128 v[4:7], v34 offset:8960
	s_waitcnt lgkmcnt(0)
	v_mul_f64 v[26:27], v[18:19], v[6:7]
	v_fma_f64 v[26:27], v[16:17], v[4:5], -v[26:27]
	v_mul_f64 v[16:17], v[16:17], v[6:7]
	v_fma_f64 v[18:19], v[18:19], v[4:5], v[16:17]
	v_add_f64 v[16:17], v[40:41], v[26:27]
	v_add_f64 v[18:19], v[18:19], v[50:51]
	ds_read_b128 v[50:53], v32 offset:8464
	s_waitcnt lgkmcnt(0)
	v_mul_f64 v[26:27], v[52:53], v[10:11]
	v_mul_f64 v[10:11], v[50:51], v[10:11]
	v_fma_f64 v[26:27], v[50:51], v[8:9], -v[26:27]
	v_fma_f64 v[10:11], v[52:53], v[8:9], v[10:11]
	v_add_f64 v[8:9], v[20:21], v[26:27]
	v_mul_f64 v[20:21], v[52:53], v[6:7]
	v_mul_f64 v[6:7], v[50:51], v[6:7]
	v_add_f64 v[10:11], v[10:11], v[22:23]
	v_fma_f64 v[20:21], v[50:51], v[4:5], -v[20:21]
	v_fma_f64 v[4:5], v[52:53], v[4:5], v[6:7]
	v_add_f64 v[26:27], v[12:13], v[20:21]
	v_add_f64 v[30:31], v[4:5], v[14:15]
	ds_read_b128 v[12:15], v32 offset:288
	ds_read_b128 v[20:23], v34 offset:9216
	s_waitcnt lgkmcnt(0)
	v_mul_f64 v[4:5], v[14:15], v[22:23]
	v_mul_f64 v[6:7], v[12:13], v[22:23]
	v_fma_f64 v[4:5], v[12:13], v[20:21], -v[4:5]
	v_fma_f64 v[6:7], v[14:15], v[20:21], v[6:7]
	v_add_f64 v[4:5], v[46:47], v[4:5]
	v_add_f64 v[6:7], v[6:7], v[48:49]
	ds_read_b128 v[46:49], v34 offset:9472
	s_waitcnt lgkmcnt(0)
	v_mul_f64 v[40:41], v[14:15], v[48:49]
	v_fma_f64 v[40:41], v[12:13], v[46:47], -v[40:41]
	v_mul_f64 v[12:13], v[12:13], v[48:49]
	v_add_f64 v[40:41], v[16:17], v[40:41]
	v_fma_f64 v[12:13], v[14:15], v[46:47], v[12:13]
	v_add_f64 v[50:51], v[12:13], v[18:19]
	ds_read_b128 v[12:15], v32 offset:8480
	s_waitcnt lgkmcnt(0)
	v_mul_f64 v[16:17], v[14:15], v[22:23]
	v_mul_f64 v[18:19], v[12:13], v[22:23]
	v_fma_f64 v[16:17], v[12:13], v[20:21], -v[16:17]
	v_fma_f64 v[18:19], v[14:15], v[20:21], v[18:19]
	v_add_f64 v[20:21], v[8:9], v[16:17]
	v_add_f64 v[22:23], v[18:19], v[10:11]
	v_mul_f64 v[8:9], v[14:15], v[48:49]
	v_mul_f64 v[10:11], v[12:13], v[48:49]
	v_fma_f64 v[8:9], v[12:13], v[46:47], -v[8:9]
	v_fma_f64 v[10:11], v[14:15], v[46:47], v[10:11]
	v_add_f64 v[12:13], v[26:27], v[8:9]
	v_add_f64 v[14:15], v[10:11], v[30:31]
	ds_read_b128 v[16:19], v32 offset:304
	ds_read_b128 v[8:11], v34 offset:9728
	s_waitcnt lgkmcnt(0)
	v_mul_f64 v[26:27], v[18:19], v[10:11]
	v_mul_f64 v[30:31], v[16:17], v[10:11]
	v_fma_f64 v[26:27], v[16:17], v[8:9], -v[26:27]
	v_fma_f64 v[30:31], v[18:19], v[8:9], v[30:31]
	v_add_f64 v[46:47], v[4:5], v[26:27]
	v_add_f64 v[48:49], v[30:31], v[6:7]
	ds_read_b128 v[4:7], v34 offset:9984
	s_waitcnt lgkmcnt(0)
	v_mul_f64 v[26:27], v[18:19], v[6:7]
	v_fma_f64 v[26:27], v[16:17], v[4:5], -v[26:27]
	v_mul_f64 v[16:17], v[16:17], v[6:7]
	v_fma_f64 v[18:19], v[18:19], v[4:5], v[16:17]
	v_add_f64 v[16:17], v[40:41], v[26:27]
	v_add_f64 v[18:19], v[18:19], v[50:51]
	ds_read_b128 v[50:53], v32 offset:8496
	s_waitcnt lgkmcnt(0)
	v_mul_f64 v[26:27], v[52:53], v[10:11]
	v_mul_f64 v[10:11], v[50:51], v[10:11]
	v_fma_f64 v[26:27], v[50:51], v[8:9], -v[26:27]
	v_fma_f64 v[10:11], v[52:53], v[8:9], v[10:11]
	v_add_f64 v[8:9], v[20:21], v[26:27]
	v_mul_f64 v[20:21], v[52:53], v[6:7]
	v_mul_f64 v[6:7], v[50:51], v[6:7]
	v_add_f64 v[10:11], v[10:11], v[22:23]
	v_fma_f64 v[20:21], v[50:51], v[4:5], -v[20:21]
	v_fma_f64 v[4:5], v[52:53], v[4:5], v[6:7]
	v_add_f64 v[26:27], v[12:13], v[20:21]
	v_add_f64 v[30:31], v[4:5], v[14:15]
	ds_read_b128 v[12:15], v32 offset:320
	ds_read_b128 v[20:23], v34 offset:10240
	s_waitcnt lgkmcnt(0)
	v_mul_f64 v[4:5], v[14:15], v[22:23]
	v_mul_f64 v[6:7], v[12:13], v[22:23]
	v_fma_f64 v[4:5], v[12:13], v[20:21], -v[4:5]
	v_fma_f64 v[6:7], v[14:15], v[20:21], v[6:7]
	v_add_f64 v[4:5], v[46:47], v[4:5]
	v_add_f64 v[6:7], v[6:7], v[48:49]
	ds_read_b128 v[46:49], v34 offset:10496
	s_waitcnt lgkmcnt(0)
	v_mul_f64 v[40:41], v[14:15], v[48:49]
	v_fma_f64 v[40:41], v[12:13], v[46:47], -v[40:41]
	v_mul_f64 v[12:13], v[12:13], v[48:49]
	v_add_f64 v[40:41], v[16:17], v[40:41]
	v_fma_f64 v[12:13], v[14:15], v[46:47], v[12:13]
	v_add_f64 v[50:51], v[12:13], v[18:19]
	ds_read_b128 v[12:15], v32 offset:8512
	s_waitcnt lgkmcnt(0)
	v_mul_f64 v[16:17], v[14:15], v[22:23]
	v_mul_f64 v[18:19], v[12:13], v[22:23]
	v_fma_f64 v[16:17], v[12:13], v[20:21], -v[16:17]
	v_fma_f64 v[18:19], v[14:15], v[20:21], v[18:19]
	v_add_f64 v[20:21], v[8:9], v[16:17]
	v_add_f64 v[22:23], v[18:19], v[10:11]
	v_mul_f64 v[8:9], v[14:15], v[48:49]
	v_mul_f64 v[10:11], v[12:13], v[48:49]
	v_fma_f64 v[8:9], v[12:13], v[46:47], -v[8:9]
	v_fma_f64 v[10:11], v[14:15], v[46:47], v[10:11]
	v_add_f64 v[12:13], v[26:27], v[8:9]
	v_add_f64 v[14:15], v[10:11], v[30:31]
	ds_read_b128 v[16:19], v32 offset:336
	ds_read_b128 v[8:11], v34 offset:10752
	s_waitcnt lgkmcnt(0)
	v_mul_f64 v[26:27], v[18:19], v[10:11]
	v_mul_f64 v[30:31], v[16:17], v[10:11]
	v_fma_f64 v[26:27], v[16:17], v[8:9], -v[26:27]
	v_fma_f64 v[30:31], v[18:19], v[8:9], v[30:31]
	v_add_f64 v[46:47], v[4:5], v[26:27]
	v_add_f64 v[48:49], v[30:31], v[6:7]
	ds_read_b128 v[4:7], v34 offset:11008
	s_waitcnt lgkmcnt(0)
	v_mul_f64 v[26:27], v[18:19], v[6:7]
	v_fma_f64 v[26:27], v[16:17], v[4:5], -v[26:27]
	v_mul_f64 v[16:17], v[16:17], v[6:7]
	v_fma_f64 v[18:19], v[18:19], v[4:5], v[16:17]
	v_add_f64 v[16:17], v[40:41], v[26:27]
	v_add_f64 v[18:19], v[18:19], v[50:51]
	ds_read_b128 v[50:53], v32 offset:8528
	s_waitcnt lgkmcnt(0)
	v_mul_f64 v[26:27], v[52:53], v[10:11]
	v_mul_f64 v[10:11], v[50:51], v[10:11]
	v_fma_f64 v[26:27], v[50:51], v[8:9], -v[26:27]
	v_fma_f64 v[10:11], v[52:53], v[8:9], v[10:11]
	v_add_f64 v[8:9], v[20:21], v[26:27]
	v_mul_f64 v[20:21], v[52:53], v[6:7]
	v_mul_f64 v[6:7], v[50:51], v[6:7]
	v_add_f64 v[10:11], v[10:11], v[22:23]
	v_fma_f64 v[20:21], v[50:51], v[4:5], -v[20:21]
	v_fma_f64 v[4:5], v[52:53], v[4:5], v[6:7]
	v_add_f64 v[26:27], v[12:13], v[20:21]
	v_add_f64 v[30:31], v[4:5], v[14:15]
	ds_read_b128 v[12:15], v32 offset:352
	ds_read_b128 v[20:23], v34 offset:11264
	s_waitcnt lgkmcnt(0)
	v_mul_f64 v[4:5], v[14:15], v[22:23]
	v_mul_f64 v[6:7], v[12:13], v[22:23]
	v_fma_f64 v[4:5], v[12:13], v[20:21], -v[4:5]
	v_fma_f64 v[6:7], v[14:15], v[20:21], v[6:7]
	v_add_f64 v[4:5], v[46:47], v[4:5]
	v_add_f64 v[6:7], v[6:7], v[48:49]
	ds_read_b128 v[46:49], v34 offset:11520
	s_waitcnt lgkmcnt(0)
	v_mul_f64 v[40:41], v[14:15], v[48:49]
	v_fma_f64 v[40:41], v[12:13], v[46:47], -v[40:41]
	v_mul_f64 v[12:13], v[12:13], v[48:49]
	v_add_f64 v[40:41], v[16:17], v[40:41]
	v_fma_f64 v[12:13], v[14:15], v[46:47], v[12:13]
	v_add_f64 v[50:51], v[12:13], v[18:19]
	ds_read_b128 v[12:15], v32 offset:8544
	s_waitcnt lgkmcnt(0)
	v_mul_f64 v[16:17], v[14:15], v[22:23]
	v_mul_f64 v[18:19], v[12:13], v[22:23]
	v_fma_f64 v[16:17], v[12:13], v[20:21], -v[16:17]
	v_fma_f64 v[18:19], v[14:15], v[20:21], v[18:19]
	v_add_f64 v[20:21], v[8:9], v[16:17]
	v_add_f64 v[22:23], v[18:19], v[10:11]
	v_mul_f64 v[8:9], v[14:15], v[48:49]
	v_mul_f64 v[10:11], v[12:13], v[48:49]
	v_fma_f64 v[8:9], v[12:13], v[46:47], -v[8:9]
	v_fma_f64 v[10:11], v[14:15], v[46:47], v[10:11]
	v_add_f64 v[12:13], v[26:27], v[8:9]
	v_add_f64 v[14:15], v[10:11], v[30:31]
	ds_read_b128 v[16:19], v32 offset:368
	ds_read_b128 v[8:11], v34 offset:11776
	s_waitcnt lgkmcnt(0)
	v_mul_f64 v[26:27], v[18:19], v[10:11]
	v_mul_f64 v[30:31], v[16:17], v[10:11]
	v_fma_f64 v[26:27], v[16:17], v[8:9], -v[26:27]
	v_fma_f64 v[30:31], v[18:19], v[8:9], v[30:31]
	v_add_f64 v[46:47], v[4:5], v[26:27]
	v_add_f64 v[48:49], v[30:31], v[6:7]
	ds_read_b128 v[4:7], v34 offset:12032
	s_waitcnt lgkmcnt(0)
	v_mul_f64 v[26:27], v[18:19], v[6:7]
	v_fma_f64 v[26:27], v[16:17], v[4:5], -v[26:27]
	v_mul_f64 v[16:17], v[16:17], v[6:7]
	v_fma_f64 v[18:19], v[18:19], v[4:5], v[16:17]
	v_add_f64 v[16:17], v[40:41], v[26:27]
	v_add_f64 v[18:19], v[18:19], v[50:51]
	ds_read_b128 v[50:53], v32 offset:8560
	s_waitcnt lgkmcnt(0)
	v_mul_f64 v[26:27], v[52:53], v[10:11]
	v_mul_f64 v[10:11], v[50:51], v[10:11]
	v_fma_f64 v[26:27], v[50:51], v[8:9], -v[26:27]
	v_fma_f64 v[10:11], v[52:53], v[8:9], v[10:11]
	v_add_f64 v[8:9], v[20:21], v[26:27]
	v_mul_f64 v[20:21], v[52:53], v[6:7]
	v_mul_f64 v[6:7], v[50:51], v[6:7]
	v_add_f64 v[10:11], v[10:11], v[22:23]
	v_fma_f64 v[20:21], v[50:51], v[4:5], -v[20:21]
	v_fma_f64 v[4:5], v[52:53], v[4:5], v[6:7]
	v_add_f64 v[26:27], v[12:13], v[20:21]
	v_add_f64 v[30:31], v[4:5], v[14:15]
	ds_read_b128 v[12:15], v32 offset:384
	ds_read_b128 v[20:23], v34 offset:12288
	s_waitcnt lgkmcnt(0)
	v_mul_f64 v[4:5], v[14:15], v[22:23]
	v_mul_f64 v[6:7], v[12:13], v[22:23]
	v_fma_f64 v[4:5], v[12:13], v[20:21], -v[4:5]
	v_fma_f64 v[6:7], v[14:15], v[20:21], v[6:7]
	v_add_f64 v[4:5], v[46:47], v[4:5]
	v_add_f64 v[6:7], v[6:7], v[48:49]
	ds_read_b128 v[46:49], v34 offset:12544
	s_waitcnt lgkmcnt(0)
	v_mul_f64 v[40:41], v[14:15], v[48:49]
	v_fma_f64 v[40:41], v[12:13], v[46:47], -v[40:41]
	v_mul_f64 v[12:13], v[12:13], v[48:49]
	v_add_f64 v[40:41], v[16:17], v[40:41]
	v_fma_f64 v[12:13], v[14:15], v[46:47], v[12:13]
	v_add_f64 v[50:51], v[12:13], v[18:19]
	ds_read_b128 v[12:15], v32 offset:8576
	s_waitcnt lgkmcnt(0)
	v_mul_f64 v[16:17], v[14:15], v[22:23]
	v_mul_f64 v[18:19], v[12:13], v[22:23]
	v_fma_f64 v[16:17], v[12:13], v[20:21], -v[16:17]
	v_fma_f64 v[18:19], v[14:15], v[20:21], v[18:19]
	v_add_f64 v[20:21], v[8:9], v[16:17]
	v_add_f64 v[22:23], v[18:19], v[10:11]
	v_mul_f64 v[8:9], v[14:15], v[48:49]
	v_mul_f64 v[10:11], v[12:13], v[48:49]
	v_fma_f64 v[8:9], v[12:13], v[46:47], -v[8:9]
	v_fma_f64 v[10:11], v[14:15], v[46:47], v[10:11]
	v_add_f64 v[12:13], v[26:27], v[8:9]
	v_add_f64 v[14:15], v[10:11], v[30:31]
	ds_read_b128 v[16:19], v32 offset:400
	ds_read_b128 v[8:11], v34 offset:12800
	s_waitcnt lgkmcnt(0)
	v_mul_f64 v[26:27], v[18:19], v[10:11]
	v_mul_f64 v[30:31], v[16:17], v[10:11]
	v_fma_f64 v[26:27], v[16:17], v[8:9], -v[26:27]
	v_fma_f64 v[30:31], v[18:19], v[8:9], v[30:31]
	v_add_f64 v[46:47], v[4:5], v[26:27]
	v_add_f64 v[48:49], v[30:31], v[6:7]
	ds_read_b128 v[4:7], v34 offset:13056
	s_waitcnt lgkmcnt(0)
	v_mul_f64 v[26:27], v[18:19], v[6:7]
	v_fma_f64 v[26:27], v[16:17], v[4:5], -v[26:27]
	v_mul_f64 v[16:17], v[16:17], v[6:7]
	v_fma_f64 v[18:19], v[18:19], v[4:5], v[16:17]
	v_add_f64 v[16:17], v[40:41], v[26:27]
	v_add_f64 v[18:19], v[18:19], v[50:51]
	ds_read_b128 v[50:53], v32 offset:8592
	s_waitcnt lgkmcnt(0)
	v_mul_f64 v[26:27], v[52:53], v[10:11]
	v_mul_f64 v[10:11], v[50:51], v[10:11]
	v_fma_f64 v[26:27], v[50:51], v[8:9], -v[26:27]
	v_fma_f64 v[10:11], v[52:53], v[8:9], v[10:11]
	v_add_f64 v[8:9], v[20:21], v[26:27]
	v_mul_f64 v[20:21], v[52:53], v[6:7]
	v_mul_f64 v[6:7], v[50:51], v[6:7]
	v_add_f64 v[10:11], v[10:11], v[22:23]
	v_fma_f64 v[20:21], v[50:51], v[4:5], -v[20:21]
	v_fma_f64 v[4:5], v[52:53], v[4:5], v[6:7]
	v_add_f64 v[26:27], v[12:13], v[20:21]
	v_add_f64 v[30:31], v[4:5], v[14:15]
	ds_read_b128 v[12:15], v32 offset:416
	ds_read_b128 v[20:23], v34 offset:13312
	s_waitcnt lgkmcnt(0)
	v_mul_f64 v[4:5], v[14:15], v[22:23]
	v_mul_f64 v[6:7], v[12:13], v[22:23]
	v_fma_f64 v[4:5], v[12:13], v[20:21], -v[4:5]
	v_fma_f64 v[6:7], v[14:15], v[20:21], v[6:7]
	v_add_f64 v[4:5], v[46:47], v[4:5]
	v_add_f64 v[6:7], v[6:7], v[48:49]
	ds_read_b128 v[46:49], v34 offset:13568
	s_waitcnt lgkmcnt(0)
	v_mul_f64 v[40:41], v[14:15], v[48:49]
	v_fma_f64 v[40:41], v[12:13], v[46:47], -v[40:41]
	v_mul_f64 v[12:13], v[12:13], v[48:49]
	v_add_f64 v[40:41], v[16:17], v[40:41]
	v_fma_f64 v[12:13], v[14:15], v[46:47], v[12:13]
	v_add_f64 v[50:51], v[12:13], v[18:19]
	ds_read_b128 v[12:15], v32 offset:8608
	s_waitcnt lgkmcnt(0)
	v_mul_f64 v[16:17], v[14:15], v[22:23]
	v_mul_f64 v[18:19], v[12:13], v[22:23]
	v_fma_f64 v[16:17], v[12:13], v[20:21], -v[16:17]
	v_fma_f64 v[18:19], v[14:15], v[20:21], v[18:19]
	v_add_f64 v[16:17], v[8:9], v[16:17]
	v_add_f64 v[18:19], v[18:19], v[10:11]
	v_mul_f64 v[8:9], v[14:15], v[48:49]
	v_mul_f64 v[10:11], v[12:13], v[48:49]
	v_fma_f64 v[8:9], v[12:13], v[46:47], -v[8:9]
	v_fma_f64 v[10:11], v[14:15], v[46:47], v[10:11]
	v_add_f64 v[12:13], v[26:27], v[8:9]
	v_add_f64 v[14:15], v[10:11], v[30:31]
	ds_read_b128 v[20:23], v32 offset:432
	ds_read_b128 v[8:11], v34 offset:13824
	s_waitcnt lgkmcnt(0)
	v_mul_f64 v[26:27], v[22:23], v[10:11]
	v_mul_f64 v[30:31], v[20:21], v[10:11]
	v_fma_f64 v[26:27], v[20:21], v[8:9], -v[26:27]
	v_fma_f64 v[30:31], v[22:23], v[8:9], v[30:31]
	v_add_f64 v[46:47], v[4:5], v[26:27]
	v_add_f64 v[48:49], v[30:31], v[6:7]
	ds_read_b128 v[4:7], v34 offset:14080
	s_waitcnt lgkmcnt(0)
	v_mul_f64 v[26:27], v[22:23], v[6:7]
	v_fma_f64 v[26:27], v[20:21], v[4:5], -v[26:27]
	v_mul_f64 v[20:21], v[20:21], v[6:7]
	v_fma_f64 v[22:23], v[22:23], v[4:5], v[20:21]
	v_add_f64 v[20:21], v[40:41], v[26:27]
	v_add_f64 v[22:23], v[22:23], v[50:51]
	ds_read_b128 v[50:53], v32 offset:8624
	s_waitcnt lgkmcnt(0)
	v_mul_f64 v[26:27], v[52:53], v[10:11]
	v_mul_f64 v[10:11], v[50:51], v[10:11]
	v_fma_f64 v[26:27], v[50:51], v[8:9], -v[26:27]
	v_fma_f64 v[8:9], v[52:53], v[8:9], v[10:11]
	v_add_f64 v[26:27], v[16:17], v[26:27]
	v_add_f64 v[30:31], v[8:9], v[18:19]
	v_mul_f64 v[8:9], v[52:53], v[6:7]
	v_mul_f64 v[6:7], v[50:51], v[6:7]
	v_fma_f64 v[8:9], v[50:51], v[4:5], -v[8:9]
	v_fma_f64 v[4:5], v[52:53], v[4:5], v[6:7]
	v_add_f64 v[40:41], v[12:13], v[8:9]
	v_add_f64 v[50:51], v[4:5], v[14:15]
	ds_read_b128 v[8:11], v32 offset:448
	ds_read_b128 v[12:15], v34 offset:14336
	;; [unrolled: 1-line block ×3, first 2 shown]
	s_waitcnt lgkmcnt(1)
	v_mul_f64 v[4:5], v[10:11], v[14:15]
	v_mul_f64 v[6:7], v[8:9], v[14:15]
	v_fma_f64 v[4:5], v[8:9], v[12:13], -v[4:5]
	v_fma_f64 v[6:7], v[10:11], v[12:13], v[6:7]
	v_add_f64 v[4:5], v[46:47], v[4:5]
	s_waitcnt lgkmcnt(0)
	v_mul_f64 v[46:47], v[10:11], v[18:19]
	v_add_f64 v[6:7], v[6:7], v[48:49]
	v_fma_f64 v[46:47], v[8:9], v[16:17], -v[46:47]
	v_mul_f64 v[8:9], v[8:9], v[18:19]
	v_add_f64 v[20:21], v[20:21], v[46:47]
	v_fma_f64 v[8:9], v[10:11], v[16:17], v[8:9]
	v_add_f64 v[22:23], v[8:9], v[22:23]
	ds_read_b128 v[8:11], v32 offset:8640
	s_waitcnt lgkmcnt(0)
	v_mul_f64 v[46:47], v[10:11], v[14:15]
	v_mul_f64 v[14:15], v[8:9], v[14:15]
	v_fma_f64 v[46:47], v[8:9], v[12:13], -v[46:47]
	v_fma_f64 v[12:13], v[10:11], v[12:13], v[14:15]
	v_add_f64 v[46:47], v[26:27], v[46:47]
	v_add_f64 v[48:49], v[12:13], v[30:31]
	v_mul_f64 v[12:13], v[10:11], v[18:19]
	v_fma_f64 v[12:13], v[8:9], v[16:17], -v[12:13]
	v_mul_f64 v[8:9], v[8:9], v[18:19]
	v_fma_f64 v[8:9], v[10:11], v[16:17], v[8:9]
	v_add_f64 v[16:17], v[40:41], v[12:13]
	v_add_f64 v[18:19], v[8:9], v[50:51]
	ds_read_b128 v[12:15], v32 offset:464
	ds_read_b128 v[8:11], v34 offset:14848
	s_waitcnt lgkmcnt(0)
	v_mul_f64 v[26:27], v[14:15], v[10:11]
	v_mul_f64 v[30:31], v[12:13], v[10:11]
	v_fma_f64 v[26:27], v[12:13], v[8:9], -v[26:27]
	v_fma_f64 v[30:31], v[14:15], v[8:9], v[30:31]
	v_add_f64 v[50:51], v[4:5], v[26:27]
	v_add_f64 v[52:53], v[30:31], v[6:7]
	ds_read_b128 v[4:7], v34 offset:15104
	s_waitcnt lgkmcnt(0)
	v_mul_f64 v[26:27], v[14:15], v[6:7]
	v_fma_f64 v[26:27], v[12:13], v[4:5], -v[26:27]
	v_mul_f64 v[12:13], v[12:13], v[6:7]
	v_add_f64 v[20:21], v[20:21], v[26:27]
	v_fma_f64 v[12:13], v[14:15], v[4:5], v[12:13]
	v_add_f64 v[22:23], v[12:13], v[22:23]
	ds_read_b128 v[12:15], v32 offset:8656
	s_waitcnt lgkmcnt(0)
	v_mul_f64 v[26:27], v[14:15], v[10:11]
	v_mul_f64 v[10:11], v[12:13], v[10:11]
	v_fma_f64 v[26:27], v[12:13], v[8:9], -v[26:27]
	v_fma_f64 v[10:11], v[14:15], v[8:9], v[10:11]
	v_add_f64 v[8:9], v[46:47], v[26:27]
	v_mul_f64 v[26:27], v[14:15], v[6:7]
	v_mul_f64 v[6:7], v[12:13], v[6:7]
	v_add_f64 v[10:11], v[10:11], v[48:49]
	v_fma_f64 v[26:27], v[12:13], v[4:5], -v[26:27]
	v_fma_f64 v[4:5], v[14:15], v[4:5], v[6:7]
	v_add_f64 v[26:27], v[16:17], v[26:27]
	v_add_f64 v[30:31], v[4:5], v[18:19]
	ds_read_b128 v[12:15], v32 offset:480
	ds_read_b128 v[16:19], v34 offset:15360
	;; [unrolled: 1-line block ×3, first 2 shown]
	s_waitcnt lgkmcnt(1)
	v_mul_f64 v[4:5], v[14:15], v[18:19]
	s_waitcnt lgkmcnt(0)
	v_mul_f64 v[40:41], v[14:15], v[48:49]
	v_mul_f64 v[6:7], v[12:13], v[18:19]
	v_fma_f64 v[4:5], v[12:13], v[16:17], -v[4:5]
	v_fma_f64 v[40:41], v[12:13], v[46:47], -v[40:41]
	v_mul_f64 v[12:13], v[12:13], v[48:49]
	v_fma_f64 v[6:7], v[14:15], v[16:17], v[6:7]
	v_add_f64 v[4:5], v[50:51], v[4:5]
	v_add_f64 v[40:41], v[20:21], v[40:41]
	v_fma_f64 v[12:13], v[14:15], v[46:47], v[12:13]
	v_add_f64 v[6:7], v[6:7], v[52:53]
	v_add_f64 v[54:55], v[12:13], v[22:23]
	ds_read_b128 v[12:15], v32 offset:8672
	s_waitcnt lgkmcnt(0)
	v_mul_f64 v[20:21], v[14:15], v[18:19]
	v_mul_f64 v[18:19], v[12:13], v[18:19]
	v_fma_f64 v[20:21], v[12:13], v[16:17], -v[20:21]
	v_fma_f64 v[16:17], v[14:15], v[16:17], v[18:19]
	v_add_f64 v[50:51], v[8:9], v[20:21]
	v_add_f64 v[52:53], v[16:17], v[10:11]
	v_mul_f64 v[8:9], v[14:15], v[48:49]
	v_mul_f64 v[10:11], v[12:13], v[48:49]
	v_fma_f64 v[8:9], v[12:13], v[46:47], -v[8:9]
	v_fma_f64 v[10:11], v[14:15], v[46:47], v[10:11]
	v_add_f64 v[20:21], v[26:27], v[8:9]
	v_add_f64 v[22:23], v[10:11], v[30:31]
	ds_read_b128 v[12:15], v32 offset:496
	ds_read_b128 v[8:11], v34 offset:15872
	s_waitcnt lgkmcnt(0)
	v_mul_f64 v[16:17], v[14:15], v[10:11]
	v_mul_f64 v[18:19], v[12:13], v[10:11]
	v_fma_f64 v[16:17], v[12:13], v[8:9], -v[16:17]
	v_fma_f64 v[18:19], v[14:15], v[8:9], v[18:19]
	v_add_f64 v[46:47], v[4:5], v[16:17]
	v_add_f64 v[48:49], v[18:19], v[6:7]
	ds_read_b128 v[4:7], v34 offset:16128
	s_waitcnt lgkmcnt(0)
	v_mul_f64 v[16:17], v[14:15], v[6:7]
	v_fma_f64 v[16:17], v[12:13], v[4:5], -v[16:17]
	v_mul_f64 v[12:13], v[12:13], v[6:7]
	v_add_f64 v[16:17], v[40:41], v[16:17]
	v_fma_f64 v[12:13], v[14:15], v[4:5], v[12:13]
	v_add_f64 v[18:19], v[12:13], v[54:55]
	ds_read_b128 v[12:15], v32 offset:8688
	s_waitcnt lgkmcnt(0)
	s_barrier
	v_mul_f64 v[26:27], v[14:15], v[10:11]
	v_mul_f64 v[10:11], v[12:13], v[10:11]
	v_fma_f64 v[26:27], v[12:13], v[8:9], -v[26:27]
	v_fma_f64 v[8:9], v[14:15], v[8:9], v[10:11]
	v_add_f64 v[50:51], v[50:51], v[26:27]
	v_add_f64 v[52:53], v[8:9], v[52:53]
	v_mul_f64 v[8:9], v[14:15], v[6:7]
	v_mul_f64 v[6:7], v[12:13], v[6:7]
	v_fma_f64 v[8:9], v[12:13], v[4:5], -v[8:9]
	v_fma_f64 v[4:5], v[14:15], v[4:5], v[6:7]
	v_add_f64 v[14:15], v[20:21], v[8:9]
	v_add_f64 v[12:13], v[4:5], v[22:23]
	s_cbranch_scc1 .LBB119_55
.LBB119_7:                              ;   Parent Loop BB119_4 Depth=1
                                        ; =>  This Inner Loop Header: Depth=2
	buffer_load_dword v5, off, s[56:59], 0  ; 4-byte Folded Reload
	v_mov_b32_e32 v4, s27
	v_add_co_u32_e64 v8, s[10:11], s26, v1
	v_addc_co_u32_e64 v9, s[10:11], 0, v4, s[10:11]
	v_mov_b32_e32 v4, s23
	v_cmp_le_i64_e64 s[12:13], s[38:39], v[8:9]
	v_cmp_eq_u64_e64 s[16:17], s[26:27], v[37:38]
	s_and_b64 s[48:49], s[36:37], s[16:17]
	s_waitcnt vmcnt(0)
	v_add_co_u32_e64 v6, s[10:11], s22, v5
	buffer_load_dword v5, off, s[56:59], 0 offset:4 ; 4-byte Folded Reload
	s_waitcnt vmcnt(0)
	v_addc_co_u32_e64 v7, s[10:11], v5, v4, s[10:11]
	v_cmp_gt_i64_e64 s[10:11], v[8:9], v[24:25]
	s_or_b64 s[16:17], s[12:13], s[10:11]
	s_or_b64 s[16:17], s[16:17], s[48:49]
	s_nor_b64 s[16:17], s[0:1], s[16:17]
	s_and_saveexec_b64 s[18:19], s[16:17]
	s_xor_b64 s[16:17], exec, s[18:19]
	s_cbranch_execz .LBB119_9
; %bb.8:                                ;   in Loop: Header=BB119_7 Depth=2
	global_load_dwordx4 v[20:23], v[6:7], off
	s_waitcnt vmcnt(0)
	v_xor_b32_e32 v23, 0x80000000, v23
	ds_write_b128 v35, v[20:23]
.LBB119_9:                              ;   in Loop: Header=BB119_7 Depth=2
	s_or_saveexec_b64 s[16:17], s[16:17]
	s_xor_b64 s[44:45], s[48:49], -1
	s_xor_b64 exec, exec, s[16:17]
	s_cbranch_execz .LBB119_15
; %bb.10:                               ;   in Loop: Header=BB119_7 Depth=2
	s_and_saveexec_b64 s[18:19], s[44:45]
	s_xor_b64 s[18:19], exec, s[18:19]
; %bb.11:                               ;   in Loop: Header=BB119_7 Depth=2
	v_mov_b32_e32 v20, v2
	v_mov_b32_e32 v21, v2
	;; [unrolled: 1-line block ×4, first 2 shown]
	ds_write_b128 v35, v[20:23]
; %bb.12:                               ;   in Loop: Header=BB119_7 Depth=2
	s_andn2_saveexec_b64 s[18:19], s[18:19]
; %bb.13:                               ;   in Loop: Header=BB119_7 Depth=2
	v_mov_b32_e32 v4, v2
	v_mov_b32_e32 v5, v2
	ds_write_b128 v35, v[2:5]
; %bb.14:                               ;   in Loop: Header=BB119_7 Depth=2
	s_or_b64 exec, exec, s[18:19]
.LBB119_15:                             ;   in Loop: Header=BB119_7 Depth=2
	s_or_b64 exec, exec, s[16:17]
	buffer_load_dword v4, off, s[56:59], 0 offset:16 ; 4-byte Folded Reload
	buffer_load_dword v5, off, s[56:59], 0 offset:20 ; 4-byte Folded Reload
	s_waitcnt vmcnt(0)
	v_cmp_eq_u64_e64 s[16:17], s[26:27], v[4:5]
	buffer_load_dword v4, off, s[56:59], 0 offset:8 ; 4-byte Folded Reload
	buffer_load_dword v5, off, s[56:59], 0 offset:12 ; 4-byte Folded Reload
	s_and_b64 s[16:17], s[36:37], s[16:17]
	s_waitcnt vmcnt(0)
	v_cmp_lt_i64_e64 s[18:19], v[4:5], v[8:9]
	s_or_b64 s[12:13], s[12:13], s[18:19]
	s_or_b64 s[12:13], s[12:13], s[16:17]
	s_nor_b64 s[12:13], s[2:3], s[12:13]
	s_and_saveexec_b64 s[18:19], s[12:13]
	s_xor_b64 s[18:19], exec, s[18:19]
	s_cbranch_execz .LBB119_17
; %bb.16:                               ;   in Loop: Header=BB119_7 Depth=2
	v_mov_b32_e32 v5, s23
	v_add_co_u32_e64 v4, s[12:13], s22, v33
	v_addc_co_u32_e64 v5, s[12:13], v36, v5, s[12:13]
	global_load_dwordx4 v[20:23], v[4:5], off
	s_waitcnt vmcnt(0)
	v_xor_b32_e32 v23, 0x80000000, v23
	ds_write_b128 v35, v[20:23] offset:256
.LBB119_17:                             ;   in Loop: Header=BB119_7 Depth=2
	s_andn2_saveexec_b64 s[12:13], s[18:19]
	s_cbranch_execz .LBB119_23
; %bb.18:                               ;   in Loop: Header=BB119_7 Depth=2
	s_xor_b64 s[16:17], s[16:17], -1
	s_and_saveexec_b64 s[18:19], s[16:17]
	s_xor_b64 s[16:17], exec, s[18:19]
; %bb.19:                               ;   in Loop: Header=BB119_7 Depth=2
	v_mov_b32_e32 v20, v2
	v_mov_b32_e32 v21, v2
	;; [unrolled: 1-line block ×4, first 2 shown]
	ds_write_b128 v35, v[20:23] offset:256
; %bb.20:                               ;   in Loop: Header=BB119_7 Depth=2
	s_andn2_saveexec_b64 s[16:17], s[16:17]
; %bb.21:                               ;   in Loop: Header=BB119_7 Depth=2
	v_mov_b32_e32 v4, v2
	v_mov_b32_e32 v5, v2
	ds_write_b128 v35, v[2:5] offset:256
; %bb.22:                               ;   in Loop: Header=BB119_7 Depth=2
	s_or_b64 exec, exec, s[16:17]
.LBB119_23:                             ;   in Loop: Header=BB119_7 Depth=2
	s_or_b64 exec, exec, s[12:13]
	v_add_co_u32_e64 v4, s[12:13], 16, v8
	v_addc_co_u32_e64 v5, s[12:13], 0, v9, s[12:13]
	v_cmp_le_i64_e64 s[12:13], s[38:39], v[4:5]
	v_cmp_eq_u64_e64 s[16:17], s[26:27], v[28:29]
	v_cmp_gt_i64_e64 s[18:19], v[4:5], v[24:25]
	s_and_b64 s[50:51], s[36:37], s[16:17]
	s_or_b64 s[16:17], s[12:13], s[18:19]
	s_or_b64 s[16:17], s[16:17], s[50:51]
	s_nor_b64 s[16:17], s[0:1], s[16:17]
	s_and_saveexec_b64 s[18:19], s[16:17]
	s_xor_b64 s[16:17], exec, s[18:19]
	s_cbranch_execz .LBB119_25
; %bb.24:                               ;   in Loop: Header=BB119_7 Depth=2
	global_load_dwordx4 v[4:7], v[6:7], off offset:256
	s_waitcnt vmcnt(0)
	v_xor_b32_e32 v7, 0x80000000, v7
	ds_write_b128 v35, v[4:7] offset:8192
.LBB119_25:                             ;   in Loop: Header=BB119_7 Depth=2
	s_andn2_saveexec_b64 s[16:17], s[16:17]
	s_cbranch_execz .LBB119_31
; %bb.26:                               ;   in Loop: Header=BB119_7 Depth=2
	s_xor_b64 s[18:19], s[50:51], -1
	s_and_saveexec_b64 s[50:51], s[18:19]
	s_xor_b64 s[18:19], exec, s[50:51]
; %bb.27:                               ;   in Loop: Header=BB119_7 Depth=2
	v_mov_b32_e32 v4, v2
	v_mov_b32_e32 v5, v2
	;; [unrolled: 1-line block ×4, first 2 shown]
	ds_write_b128 v35, v[4:7] offset:8192
; %bb.28:                               ;   in Loop: Header=BB119_7 Depth=2
	s_andn2_saveexec_b64 s[18:19], s[18:19]
; %bb.29:                               ;   in Loop: Header=BB119_7 Depth=2
	v_mov_b32_e32 v4, v2
	v_mov_b32_e32 v5, v2
	ds_write_b128 v35, v[2:5] offset:8192
; %bb.30:                               ;   in Loop: Header=BB119_7 Depth=2
	s_or_b64 exec, exec, s[18:19]
.LBB119_31:                             ;   in Loop: Header=BB119_7 Depth=2
	s_or_b64 exec, exec, s[16:17]
	s_or_b64 s[10:11], s[12:13], s[10:11]
	s_or_b64 s[10:11], s[10:11], s[48:49]
	s_nor_b64 s[10:11], s[2:3], s[10:11]
	s_and_saveexec_b64 s[12:13], s[10:11]
	s_xor_b64 s[12:13], exec, s[12:13]
	s_cbranch_execz .LBB119_33
; %bb.32:                               ;   in Loop: Header=BB119_7 Depth=2
	v_mov_b32_e32 v5, s23
	v_add_co_u32_e64 v4, s[10:11], s22, v33
	v_addc_co_u32_e64 v5, s[10:11], v36, v5, s[10:11]
	global_load_dwordx4 v[4:7], v[4:5], off offset:256
	s_waitcnt vmcnt(0)
	v_xor_b32_e32 v7, 0x80000000, v7
	ds_write_b128 v35, v[4:7] offset:8448
.LBB119_33:                             ;   in Loop: Header=BB119_7 Depth=2
	s_andn2_saveexec_b64 s[10:11], s[12:13]
	s_cbranch_execz .LBB119_39
; %bb.34:                               ;   in Loop: Header=BB119_7 Depth=2
	s_and_saveexec_b64 s[12:13], s[44:45]
	s_xor_b64 s[12:13], exec, s[12:13]
; %bb.35:                               ;   in Loop: Header=BB119_7 Depth=2
	v_mov_b32_e32 v4, v2
	v_mov_b32_e32 v5, v2
	;; [unrolled: 1-line block ×4, first 2 shown]
	ds_write_b128 v35, v[4:7] offset:8448
; %bb.36:                               ;   in Loop: Header=BB119_7 Depth=2
	s_andn2_saveexec_b64 s[12:13], s[12:13]
; %bb.37:                               ;   in Loop: Header=BB119_7 Depth=2
	v_mov_b32_e32 v4, v2
	v_mov_b32_e32 v5, v2
	ds_write_b128 v35, v[2:5] offset:8448
; %bb.38:                               ;   in Loop: Header=BB119_7 Depth=2
	s_or_b64 exec, exec, s[12:13]
.LBB119_39:                             ;   in Loop: Header=BB119_7 Depth=2
	s_or_b64 exec, exec, s[10:11]
	v_mov_b32_e32 v5, s27
	v_add_co_u32_e64 v4, s[10:11], s26, v0
	v_addc_co_u32_e64 v5, s[10:11], 0, v5, s[10:11]
	v_cmp_gt_i64_e64 s[10:11], s[38:39], v[4:5]
	s_and_b64 s[12:13], vcc, s[10:11]
	s_xor_b64 s[12:13], s[12:13], -1
	s_and_saveexec_b64 s[16:17], s[12:13]
	s_xor_b64 s[12:13], exec, s[16:17]
; %bb.40:                               ;   in Loop: Header=BB119_7 Depth=2
	v_mov_b32_e32 v6, v2
	v_mov_b32_e32 v7, v2
	;; [unrolled: 1-line block ×4, first 2 shown]
	ds_write_b128 v39, v[6:9]
; %bb.41:                               ;   in Loop: Header=BB119_7 Depth=2
	s_or_saveexec_b64 s[16:17], s[12:13]
	v_mov_b32_e32 v7, s23
	v_add_co_u32_e64 v6, s[12:13], s22, v42
	v_addc_co_u32_e64 v7, s[12:13], v43, v7, s[12:13]
	s_xor_b64 exec, exec, s[16:17]
	s_cbranch_execz .LBB119_43
; %bb.42:                               ;   in Loop: Header=BB119_7 Depth=2
	global_load_dwordx4 v[8:11], v[6:7], off offset:-256
	s_waitcnt vmcnt(0)
	ds_write2_b64 v39, v[8:9], v[10:11] offset1:1
.LBB119_43:                             ;   in Loop: Header=BB119_7 Depth=2
	s_or_b64 exec, exec, s[16:17]
	v_cmp_gt_i64_e64 s[12:13], s[42:43], v[4:5]
	s_and_b64 s[16:17], vcc, s[12:13]
	s_xor_b64 s[16:17], s[16:17], -1
	s_and_saveexec_b64 s[18:19], s[16:17]
	s_xor_b64 s[16:17], exec, s[18:19]
; %bb.44:                               ;   in Loop: Header=BB119_7 Depth=2
	v_mov_b32_e32 v4, v2
	v_mov_b32_e32 v5, v2
	;; [unrolled: 1-line block ×4, first 2 shown]
	ds_write_b128 v39, v[4:7] offset:256
                                        ; implicit-def: $vgpr6_vgpr7
; %bb.45:                               ;   in Loop: Header=BB119_7 Depth=2
	s_andn2_saveexec_b64 s[16:17], s[16:17]
	s_cbranch_execz .LBB119_47
; %bb.46:                               ;   in Loop: Header=BB119_7 Depth=2
	global_load_dwordx4 v[4:7], v[6:7], off
	v_add_u32_e32 v8, 0x100, v39
	s_waitcnt vmcnt(0)
	ds_write2_b64 v8, v[4:5], v[6:7] offset1:1
.LBB119_47:                             ;   in Loop: Header=BB119_7 Depth=2
	s_or_b64 exec, exec, s[16:17]
	s_and_b64 s[10:11], s[8:9], s[10:11]
	s_xor_b64 s[10:11], s[10:11], -1
	s_and_saveexec_b64 s[16:17], s[10:11]
	s_xor_b64 s[10:11], exec, s[16:17]
; %bb.48:                               ;   in Loop: Header=BB119_7 Depth=2
	v_mov_b32_e32 v4, v2
	v_mov_b32_e32 v5, v2
	v_mov_b32_e32 v6, v2
	v_mov_b32_e32 v7, v2
	ds_write_b128 v39, v[4:7] offset:8192
; %bb.49:                               ;   in Loop: Header=BB119_7 Depth=2
	s_or_saveexec_b64 s[16:17], s[10:11]
	v_mov_b32_e32 v5, s23
	v_add_co_u32_e64 v4, s[10:11], s22, v44
	v_addc_co_u32_e64 v5, s[10:11], v45, v5, s[10:11]
	s_xor_b64 exec, exec, s[16:17]
	s_cbranch_execz .LBB119_51
; %bb.50:                               ;   in Loop: Header=BB119_7 Depth=2
	global_load_dwordx4 v[6:9], v[4:5], off offset:-256
	v_add_u32_e32 v10, 0x2000, v39
	s_waitcnt vmcnt(0)
	ds_write2_b64 v10, v[6:7], v[8:9] offset1:1
.LBB119_51:                             ;   in Loop: Header=BB119_7 Depth=2
	s_or_b64 exec, exec, s[16:17]
	s_and_b64 s[10:11], s[8:9], s[12:13]
	s_xor_b64 s[10:11], s[10:11], -1
	s_and_saveexec_b64 s[12:13], s[10:11]
	s_xor_b64 s[10:11], exec, s[12:13]
; %bb.52:                               ;   in Loop: Header=BB119_7 Depth=2
	v_mov_b32_e32 v4, v2
	v_mov_b32_e32 v5, v2
	;; [unrolled: 1-line block ×4, first 2 shown]
	ds_write_b128 v39, v[4:7] offset:8448
                                        ; implicit-def: $vgpr4_vgpr5
; %bb.53:                               ;   in Loop: Header=BB119_7 Depth=2
	s_andn2_saveexec_b64 s[10:11], s[10:11]
	s_cbranch_execz .LBB119_6
; %bb.54:                               ;   in Loop: Header=BB119_7 Depth=2
	global_load_dwordx4 v[4:7], v[4:5], off
	v_add_u32_e32 v8, 0x2100, v39
	s_waitcnt vmcnt(0)
	ds_write2_b64 v8, v[4:5], v[6:7] offset1:1
	s_branch .LBB119_6
.LBB119_55:                             ;   in Loop: Header=BB119_4 Depth=1
	buffer_load_dword v8, off, s[56:59], 0 offset:24 ; 4-byte Folded Reload
	buffer_load_dword v4, off, s[56:59], 0 offset:36 ; 4-byte Folded Reload
	s_waitcnt vmcnt(1)
	v_mul_lo_u32 v6, s41, v8
	s_waitcnt vmcnt(0)
	v_mul_lo_u32 v7, s40, v4
	v_mad_u64_u32 v[4:5], s[8:9], s40, v8, 0
	v_cmp_gt_i32_e32 vcc, s46, v8
	v_add3_u32 v5, v5, v7, v6
	v_lshlrev_b64 v[4:5], 4, v[4:5]
	v_mov_b32_e32 v6, s52
	v_add_co_u32_e64 v4, s[8:9], s47, v4
	v_addc_co_u32_e64 v5, s[8:9], v6, v5, s[8:9]
	s_and_b64 s[8:9], s[4:5], vcc
	s_and_saveexec_b64 s[10:11], s[8:9]
	s_cbranch_execz .LBB119_57
; %bb.56:                               ;   in Loop: Header=BB119_4 Depth=1
	v_lshlrev_b64 v[6:7], 4, v[24:25]
	v_mul_f64 v[20:21], s[30:31], v[48:49]
	v_add_co_u32_e64 v10, s[8:9], v4, v6
	v_addc_co_u32_e64 v11, s[8:9], v5, v7, s[8:9]
	global_load_dwordx4 v[6:9], v[10:11], off
	v_mul_f64 v[22:23], s[28:29], v[48:49]
	v_fma_f64 v[20:21], s[28:29], v[46:47], -v[20:21]
	v_fma_f64 v[22:23], s[30:31], v[46:47], v[22:23]
	s_waitcnt vmcnt(0)
	v_add_f64 v[6:7], v[6:7], v[20:21]
	v_add_f64 v[8:9], v[22:23], v[8:9]
	global_store_dwordx4 v[10:11], v[6:9], off
.LBB119_57:                             ;   in Loop: Header=BB119_4 Depth=1
	s_or_b64 exec, exec, s[10:11]
	s_and_b64 s[10:11], s[14:15], vcc
	s_and_saveexec_b64 s[8:9], s[10:11]
	s_cbranch_execz .LBB119_59
; %bb.58:                               ;   in Loop: Header=BB119_4 Depth=1
	buffer_load_dword v6, off, s[56:59], 0 offset:40 ; 4-byte Folded Reload
	buffer_load_dword v7, off, s[56:59], 0 offset:44 ; 4-byte Folded Reload
	v_mul_f64 v[10:11], s[30:31], v[18:19]
	v_mul_f64 v[18:19], s[28:29], v[18:19]
	v_fma_f64 v[10:11], s[28:29], v[16:17], -v[10:11]
	v_fma_f64 v[16:17], s[30:31], v[16:17], v[18:19]
	s_waitcnt vmcnt(1)
	v_add_co_u32_e32 v8, vcc, v4, v6
	s_waitcnt vmcnt(0)
	v_addc_co_u32_e32 v9, vcc, v5, v7, vcc
	global_load_dwordx4 v[4:7], v[8:9], off
	s_waitcnt vmcnt(0)
	v_add_f64 v[4:5], v[4:5], v[10:11]
	v_add_f64 v[6:7], v[16:17], v[6:7]
	global_store_dwordx4 v[8:9], v[4:7], off
.LBB119_59:                             ;   in Loop: Header=BB119_4 Depth=1
	s_or_b64 exec, exec, s[8:9]
	buffer_load_dword v4, off, s[56:59], 0 offset:24 ; 4-byte Folded Reload
	s_waitcnt vmcnt(0)
	v_add_u32_e32 v6, 16, v4
	v_ashrrev_i32_e32 v4, 31, v6
	v_mul_lo_u32 v7, s40, v4
	v_mul_lo_u32 v8, s41, v6
	v_mad_u64_u32 v[4:5], s[8:9], s40, v6, 0
	v_cmp_gt_i32_e32 vcc, s46, v6
	v_mov_b32_e32 v6, s52
	v_add3_u32 v5, v5, v7, v8
	v_lshlrev_b64 v[4:5], 4, v[4:5]
	v_add_co_u32_e64 v4, s[8:9], s47, v4
	v_addc_co_u32_e64 v5, s[8:9], v6, v5, s[8:9]
	s_and_b64 s[8:9], s[4:5], vcc
	s_mov_b64 s[10:11], exec
	buffer_load_dword v20, off, s[56:59], 0 offset:28 ; 4-byte Folded Reload
	buffer_load_dword v21, off, s[56:59], 0 offset:32 ; 4-byte Folded Reload
	s_and_b64 s[8:9], s[10:11], s[8:9]
	s_mov_b64 exec, s[8:9]
	s_cbranch_execz .LBB119_61
; %bb.60:                               ;   in Loop: Header=BB119_4 Depth=1
	v_lshlrev_b64 v[6:7], 4, v[24:25]
	v_mul_f64 v[16:17], s[30:31], v[52:53]
	v_add_co_u32_e64 v10, s[8:9], v4, v6
	v_addc_co_u32_e64 v11, s[8:9], v5, v7, s[8:9]
	global_load_dwordx4 v[6:9], v[10:11], off
	v_mul_f64 v[18:19], s[28:29], v[52:53]
	v_fma_f64 v[16:17], s[28:29], v[50:51], -v[16:17]
	v_fma_f64 v[18:19], s[30:31], v[50:51], v[18:19]
	s_waitcnt vmcnt(0)
	v_add_f64 v[6:7], v[6:7], v[16:17]
	v_add_f64 v[8:9], v[18:19], v[8:9]
	global_store_dwordx4 v[10:11], v[6:9], off
.LBB119_61:                             ;   in Loop: Header=BB119_4 Depth=1
	s_or_b64 exec, exec, s[10:11]
	s_and_b64 s[10:11], s[14:15], vcc
	s_and_saveexec_b64 s[8:9], s[10:11]
	s_cbranch_execz .LBB119_3
; %bb.62:                               ;   in Loop: Header=BB119_4 Depth=1
	buffer_load_dword v6, off, s[56:59], 0 offset:40 ; 4-byte Folded Reload
	buffer_load_dword v7, off, s[56:59], 0 offset:44 ; 4-byte Folded Reload
	v_mul_f64 v[10:11], s[30:31], v[12:13]
	v_mul_f64 v[12:13], s[28:29], v[12:13]
	v_fma_f64 v[10:11], s[28:29], v[14:15], -v[10:11]
	v_fma_f64 v[12:13], s[30:31], v[14:15], v[12:13]
	s_waitcnt vmcnt(1)
	v_add_co_u32_e32 v8, vcc, v4, v6
	s_waitcnt vmcnt(0)
	v_addc_co_u32_e32 v9, vcc, v5, v7, vcc
	global_load_dwordx4 v[4:7], v[8:9], off
	s_waitcnt vmcnt(0)
	v_add_f64 v[4:5], v[4:5], v[10:11]
	v_add_f64 v[6:7], v[12:13], v[6:7]
	global_store_dwordx4 v[8:9], v[4:7], off
	s_branch .LBB119_3
.LBB119_63:
	s_endpgm
	.section	.rodata,"a",@progbits
	.p2align	6, 0x0
	.amdhsa_kernel _ZL30rocblas_trmm_outofplace_kernelI19rocblas_complex_numIdELi32ELi2ELb1ELb1ELb1ELb1ES1_KS1_S1_Ev17rocblas_diagonal_iiT6_lPT7_lllS6_lllPT8_llli
		.amdhsa_group_segment_fixed_size 32768
		.amdhsa_private_segment_fixed_size 60
		.amdhsa_kernarg_size 400
		.amdhsa_user_sgpr_count 6
		.amdhsa_user_sgpr_private_segment_buffer 1
		.amdhsa_user_sgpr_dispatch_ptr 0
		.amdhsa_user_sgpr_queue_ptr 0
		.amdhsa_user_sgpr_kernarg_segment_ptr 1
		.amdhsa_user_sgpr_dispatch_id 0
		.amdhsa_user_sgpr_flat_scratch_init 0
		.amdhsa_user_sgpr_private_segment_size 0
		.amdhsa_uses_dynamic_stack 0
		.amdhsa_system_sgpr_private_segment_wavefront_offset 1
		.amdhsa_system_sgpr_workgroup_id_x 1
		.amdhsa_system_sgpr_workgroup_id_y 1
		.amdhsa_system_sgpr_workgroup_id_z 1
		.amdhsa_system_sgpr_workgroup_info 0
		.amdhsa_system_vgpr_workitem_id 1
		.amdhsa_next_free_vgpr 64
		.amdhsa_next_free_sgpr 61
		.amdhsa_reserve_vcc 1
		.amdhsa_reserve_flat_scratch 0
		.amdhsa_float_round_mode_32 0
		.amdhsa_float_round_mode_16_64 0
		.amdhsa_float_denorm_mode_32 3
		.amdhsa_float_denorm_mode_16_64 3
		.amdhsa_dx10_clamp 1
		.amdhsa_ieee_mode 1
		.amdhsa_fp16_overflow 0
		.amdhsa_exception_fp_ieee_invalid_op 0
		.amdhsa_exception_fp_denorm_src 0
		.amdhsa_exception_fp_ieee_div_zero 0
		.amdhsa_exception_fp_ieee_overflow 0
		.amdhsa_exception_fp_ieee_underflow 0
		.amdhsa_exception_fp_ieee_inexact 0
		.amdhsa_exception_int_div_zero 0
	.end_amdhsa_kernel
	.section	.text._ZL30rocblas_trmm_outofplace_kernelI19rocblas_complex_numIdELi32ELi2ELb1ELb1ELb1ELb1ES1_KS1_S1_Ev17rocblas_diagonal_iiT6_lPT7_lllS6_lllPT8_llli,"axG",@progbits,_ZL30rocblas_trmm_outofplace_kernelI19rocblas_complex_numIdELi32ELi2ELb1ELb1ELb1ELb1ES1_KS1_S1_Ev17rocblas_diagonal_iiT6_lPT7_lllS6_lllPT8_llli,comdat
.Lfunc_end119:
	.size	_ZL30rocblas_trmm_outofplace_kernelI19rocblas_complex_numIdELi32ELi2ELb1ELb1ELb1ELb1ES1_KS1_S1_Ev17rocblas_diagonal_iiT6_lPT7_lllS6_lllPT8_llli, .Lfunc_end119-_ZL30rocblas_trmm_outofplace_kernelI19rocblas_complex_numIdELi32ELi2ELb1ELb1ELb1ELb1ES1_KS1_S1_Ev17rocblas_diagonal_iiT6_lPT7_lllS6_lllPT8_llli
                                        ; -- End function
	.set _ZL30rocblas_trmm_outofplace_kernelI19rocblas_complex_numIdELi32ELi2ELb1ELb1ELb1ELb1ES1_KS1_S1_Ev17rocblas_diagonal_iiT6_lPT7_lllS6_lllPT8_llli.num_vgpr, 64
	.set _ZL30rocblas_trmm_outofplace_kernelI19rocblas_complex_numIdELi32ELi2ELb1ELb1ELb1ELb1ES1_KS1_S1_Ev17rocblas_diagonal_iiT6_lPT7_lllS6_lllPT8_llli.num_agpr, 0
	.set _ZL30rocblas_trmm_outofplace_kernelI19rocblas_complex_numIdELi32ELi2ELb1ELb1ELb1ELb1ES1_KS1_S1_Ev17rocblas_diagonal_iiT6_lPT7_lllS6_lllPT8_llli.numbered_sgpr, 60
	.set _ZL30rocblas_trmm_outofplace_kernelI19rocblas_complex_numIdELi32ELi2ELb1ELb1ELb1ELb1ES1_KS1_S1_Ev17rocblas_diagonal_iiT6_lPT7_lllS6_lllPT8_llli.num_named_barrier, 0
	.set _ZL30rocblas_trmm_outofplace_kernelI19rocblas_complex_numIdELi32ELi2ELb1ELb1ELb1ELb1ES1_KS1_S1_Ev17rocblas_diagonal_iiT6_lPT7_lllS6_lllPT8_llli.private_seg_size, 60
	.set _ZL30rocblas_trmm_outofplace_kernelI19rocblas_complex_numIdELi32ELi2ELb1ELb1ELb1ELb1ES1_KS1_S1_Ev17rocblas_diagonal_iiT6_lPT7_lllS6_lllPT8_llli.uses_vcc, 1
	.set _ZL30rocblas_trmm_outofplace_kernelI19rocblas_complex_numIdELi32ELi2ELb1ELb1ELb1ELb1ES1_KS1_S1_Ev17rocblas_diagonal_iiT6_lPT7_lllS6_lllPT8_llli.uses_flat_scratch, 0
	.set _ZL30rocblas_trmm_outofplace_kernelI19rocblas_complex_numIdELi32ELi2ELb1ELb1ELb1ELb1ES1_KS1_S1_Ev17rocblas_diagonal_iiT6_lPT7_lllS6_lllPT8_llli.has_dyn_sized_stack, 0
	.set _ZL30rocblas_trmm_outofplace_kernelI19rocblas_complex_numIdELi32ELi2ELb1ELb1ELb1ELb1ES1_KS1_S1_Ev17rocblas_diagonal_iiT6_lPT7_lllS6_lllPT8_llli.has_recursion, 0
	.set _ZL30rocblas_trmm_outofplace_kernelI19rocblas_complex_numIdELi32ELi2ELb1ELb1ELb1ELb1ES1_KS1_S1_Ev17rocblas_diagonal_iiT6_lPT7_lllS6_lllPT8_llli.has_indirect_call, 0
	.section	.AMDGPU.csdata,"",@progbits
; Kernel info:
; codeLenInByte = 10496
; TotalNumSgprs: 64
; NumVgprs: 64
; ScratchSize: 60
; MemoryBound: 0
; FloatMode: 240
; IeeeMode: 1
; LDSByteSize: 32768 bytes/workgroup (compile time only)
; SGPRBlocks: 8
; VGPRBlocks: 15
; NumSGPRsForWavesPerEU: 65
; NumVGPRsForWavesPerEU: 64
; Occupancy: 4
; WaveLimiterHint : 0
; COMPUTE_PGM_RSRC2:SCRATCH_EN: 1
; COMPUTE_PGM_RSRC2:USER_SGPR: 6
; COMPUTE_PGM_RSRC2:TRAP_HANDLER: 0
; COMPUTE_PGM_RSRC2:TGID_X_EN: 1
; COMPUTE_PGM_RSRC2:TGID_Y_EN: 1
; COMPUTE_PGM_RSRC2:TGID_Z_EN: 1
; COMPUTE_PGM_RSRC2:TIDIG_COMP_CNT: 1
	.section	.text._ZL30rocblas_trmm_outofplace_kernelI19rocblas_complex_numIdELi32ELi2ELb0ELb0ELb0ELb0EPKS1_S2_S1_Ev17rocblas_diagonal_iiT6_lPT7_lllS7_lllPT8_llli,"axG",@progbits,_ZL30rocblas_trmm_outofplace_kernelI19rocblas_complex_numIdELi32ELi2ELb0ELb0ELb0ELb0EPKS1_S2_S1_Ev17rocblas_diagonal_iiT6_lPT7_lllS7_lllPT8_llli,comdat
	.globl	_ZL30rocblas_trmm_outofplace_kernelI19rocblas_complex_numIdELi32ELi2ELb0ELb0ELb0ELb0EPKS1_S2_S1_Ev17rocblas_diagonal_iiT6_lPT7_lllS7_lllPT8_llli ; -- Begin function _ZL30rocblas_trmm_outofplace_kernelI19rocblas_complex_numIdELi32ELi2ELb0ELb0ELb0ELb0EPKS1_S2_S1_Ev17rocblas_diagonal_iiT6_lPT7_lllS7_lllPT8_llli
	.p2align	8
	.type	_ZL30rocblas_trmm_outofplace_kernelI19rocblas_complex_numIdELi32ELi2ELb0ELb0ELb0ELb0EPKS1_S2_S1_Ev17rocblas_diagonal_iiT6_lPT7_lllS7_lllPT8_llli,@function
_ZL30rocblas_trmm_outofplace_kernelI19rocblas_complex_numIdELi32ELi2ELb0ELb0ELb0ELb0EPKS1_S2_S1_Ev17rocblas_diagonal_iiT6_lPT7_lllS7_lllPT8_llli: ; @_ZL30rocblas_trmm_outofplace_kernelI19rocblas_complex_numIdELi32ELi2ELb0ELb0ELb0ELb0EPKS1_S2_S1_Ev17rocblas_diagonal_iiT6_lPT7_lllS7_lllPT8_llli
; %bb.0:
	s_load_dwordx16 s[16:31], s[4:5], 0x10
	s_mov_b64 s[66:67], s[2:3]
	s_mov_b64 s[64:65], s[0:1]
	s_add_u32 s64, s64, s9
	s_addc_u32 s65, s65, 0
	s_waitcnt lgkmcnt(0)
	s_mul_i32 s0, s19, s8
	s_mul_hi_u32 s1, s18, s8
	s_add_i32 s1, s1, s0
	s_mul_i32 s0, s18, s8
	s_lshl_b64 s[0:1], s[0:1], 4
	s_add_u32 s0, s16, s0
	s_addc_u32 s1, s17, s1
	s_load_dwordx4 s[44:47], s[0:1], 0x0
	buffer_store_dword v1, off, s[64:67], 0 offset:64 ; 4-byte Folded Spill
	s_waitcnt lgkmcnt(0)
	v_cmp_eq_f64_e64 s[0:1], s[44:45], 0
	v_cmp_eq_f64_e64 s[2:3], s[46:47], 0
	s_and_b64 s[0:1], s[0:1], s[2:3]
	s_and_b64 vcc, exec, s[0:1]
	s_cbranch_vccnz .LBB120_64
; %bb.1:
	s_load_dwordx4 s[48:51], s[4:5], 0x0
	s_waitcnt lgkmcnt(0)
	s_add_i32 s0, s50, -1
	s_ashr_i32 s1, s0, 31
	s_lshr_b32 s1, s1, 27
	s_add_i32 s0, s0, s1
	s_ashr_i32 s33, s0, 5
	s_cmp_gt_i32 s7, s33
	s_cbranch_scc1 .LBB120_64
; %bb.2:
	s_load_dwordx4 s[52:55], s[4:5], 0x70
	s_load_dwordx8 s[36:43], s[4:5], 0x50
	s_load_dword s58, s[4:5], 0x8c
	buffer_load_dword v6, off, s[64:67], 0 offset:64 ; 4-byte Folded Reload
	v_lshl_add_u32 v1, s6, 5, v0
	s_waitcnt lgkmcnt(0)
	s_mul_i32 s1, s55, s8
	s_mul_hi_u32 s2, s54, s8
	s_mul_i32 s0, s54, s8
	s_add_i32 s1, s2, s1
	s_lshl_b64 s[0:1], s[0:1], 4
	s_add_u32 s2, s40, s0
	s_addc_u32 s3, s41, s1
	s_lshl_b64 s[0:1], s[42:43], 4
	s_add_u32 s59, s2, s0
	s_addc_u32 s60, s3, s1
	s_cmpk_eq_i32 s48, 0x84
	s_cselect_b64 s[34:35], -1, 0
	s_ashr_i32 s51, s50, 31
	s_ashr_i32 s0, s49, 31
	s_lshl_b64 s[40:41], s[36:37], 9
	v_ashrrev_i32_e32 v2, 31, v1
	v_mov_b32_e32 v4, s0
	v_sub_co_u32_e32 v3, vcc, s49, v1
	s_add_u32 s42, s50, -16
	v_subb_co_u32_e32 v4, vcc, v4, v2, vcc
	s_addc_u32 s43, s51, -1
	s_lshl_b32 s9, s7, 5
	s_lshl_b32 s6, s58, 5
	v_cmp_gt_i64_e64 s[0:1], 1, v[3:4]
	v_cmp_gt_i64_e64 s[2:3], 17, v[3:4]
	v_add_u32_e32 v3, 16, v1
	v_add_u32_e32 v18, s9, v0
	s_add_u32 s48, s28, 0x100
	s_mul_hi_u32 s10, s38, s8
	v_cmp_gt_i32_e64 s[4:5], s49, v1
	v_cmp_gt_i32_e64 s[16:17], s49, v3
	s_addc_u32 s49, s29, 0
	v_ashrrev_i32_e32 v4, 31, v3
	s_lshl_b64 s[54:55], s[36:37], 4
	s_lshl_b64 s[12:13], s[30:31], 4
	v_lshlrev_b64 v[1:2], 4, v[1:2]
	buffer_store_dword v3, off, s[64:67], 0 offset:68 ; 4-byte Folded Spill
	s_nop 0
	buffer_store_dword v4, off, s[64:67], 0 offset:72 ; 4-byte Folded Spill
	v_lshlrev_b32_e32 v5, 4, v0
	v_or_b32_e32 v52, 0x4000, v5
	s_waitcnt vmcnt(2)
	v_add_u32_e32 v28, s9, v6
	s_mul_i32 s9, s39, s8
	s_add_i32 s11, s10, s9
	s_mul_i32 s10, s38, s8
	s_lshl_b64 s[10:11], s[10:11], 4
	s_add_u32 s9, s10, s12
	v_add_co_u32_e32 v3, vcc, s9, v1
	buffer_store_dword v1, off, s[64:67], 0 offset:76 ; 4-byte Folded Spill
	s_nop 0
	buffer_store_dword v2, off, s[64:67], 0 offset:80 ; 4-byte Folded Spill
	s_addc_u32 s10, s11, s13
	v_mov_b32_e32 v0, s10
	s_mul_i32 s9, s27, s8
	s_mul_hi_u32 s10, s26, s8
	s_add_i32 s9, s10, s9
	s_mul_i32 s8, s26, s8
	s_lshl_b64 s[8:9], s[8:9], 4
	s_lshl_b64 s[10:11], s[22:23], 4
	s_add_u32 s8, s8, s10
	s_addc_u32 s9, s9, s11
	s_add_u32 s8, s20, s8
	s_addc_u32 s9, s21, s9
	v_lshlrev_b32_e32 v50, 9, v6
	s_add_u32 s22, s8, 0x100
	v_add_u32_e32 v51, v50, v5
	v_add_u32_e32 v53, v52, v50
	s_addc_u32 s23, s9, 0
	s_lshl_b64 s[26:27], s[24:25], 4
	v_addc_co_u32_e32 v4, vcc, v0, v2, vcc
	buffer_store_dword v3, off, s[64:67], 0 offset:84 ; 4-byte Folded Spill
	s_nop 0
	buffer_store_dword v4, off, s[64:67], 0 offset:88 ; 4-byte Folded Spill
	v_mov_b32_e32 v2, 0
	v_mov_b32_e32 v3, 0x3ff00000
	s_branch .LBB120_4
.LBB120_3:                              ;   in Loop: Header=BB120_4 Depth=1
	s_or_b64 exec, exec, s[8:9]
	s_add_i32 s7, s58, s7
	s_waitcnt vmcnt(1)
	v_add_u32_e32 v18, s6, v18
	s_cmp_le_i32 s7, s33
	v_add_u32_e32 v28, s6, v28
	s_cbranch_scc0 .LBB120_64
.LBB120_4:                              ; =>This Loop Header: Depth=1
                                        ;     Child Loop BB120_7 Depth 2
	buffer_load_dword v0, off, s[64:67], 0 offset:64 ; 4-byte Folded Reload
	s_lshl_b32 s8, s7, 5
	s_sub_i32 s61, s50, s8
	s_waitcnt vmcnt(1)
	v_ashrrev_i32_e32 v19, 31, v18
	v_ashrrev_i32_e32 v29, 31, v28
	s_cmp_lt_i32 s61, 1
	buffer_store_dword v18, off, s[64:67], 0 offset:8 ; 4-byte Folded Spill
	s_nop 0
	buffer_store_dword v19, off, s[64:67], 0 offset:12 ; 4-byte Folded Spill
	s_waitcnt vmcnt(2)
	v_add_u32_e32 v34, s8, v0
	v_ashrrev_i32_e32 v35, 31, v34
	s_cbranch_scc1 .LBB120_55
; %bb.5:                                ;   in Loop: Header=BB120_4 Depth=1
	v_mov_b32_e32 v0, s48
	v_mov_b32_e32 v1, s49
	v_mad_u64_u32 v[4:5], s[8:9], s54, v28, v[0:1]
	v_mul_lo_u32 v0, s54, v29
	v_mul_lo_u32 v1, s55, v28
	v_sub_co_u32_e32 v11, vcc, v28, v18
	v_subb_co_u32_e32 v12, vcc, v29, v19, vcc
	v_add3_u32 v5, v1, v5, v0
	v_lshlrev_b64 v[0:1], 4, v[28:29]
	buffer_store_dword v4, off, s[64:67], 0 offset:16 ; 4-byte Folded Spill
	s_nop 0
	buffer_store_dword v5, off, s[64:67], 0 offset:20 ; 4-byte Folded Spill
	v_add_co_u32_e32 v4, vcc, 0x100, v0
	v_addc_co_u32_e32 v5, vcc, 0, v1, vcc
	v_mov_b32_e32 v0, s22
	v_mov_b32_e32 v1, s23
	v_mad_u64_u32 v[40:41], s[8:9], s24, v4, v[0:1]
	v_mad_u64_u32 v[42:43], s[8:9], s26, v28, v[0:1]
	v_mov_b32_e32 v0, s28
	v_mov_b32_e32 v1, s29
	v_mul_lo_u32 v6, s24, v5
	v_mul_lo_u32 v5, s36, v5
	v_mul_lo_u32 v10, s37, v4
	v_mad_u64_u32 v[0:1], s[8:9], s36, v4, v[0:1]
	v_lshlrev_b64 v[13:14], 4, v[18:19]
	buffer_store_dword v13, off, s[64:67], 0 ; 4-byte Folded Spill
	s_nop 0
	buffer_store_dword v14, off, s[64:67], 0 offset:4 ; 4-byte Folded Spill
	v_add3_u32 v1, v10, v1, v5
	buffer_store_dword v0, off, s[64:67], 0 offset:32 ; 4-byte Folded Spill
	s_nop 0
	buffer_store_dword v1, off, s[64:67], 0 offset:36 ; 4-byte Folded Spill
	v_add_co_u32_e32 v0, vcc, 16, v34
	v_addc_co_u32_e32 v1, vcc, 0, v35, vcc
	buffer_store_dword v0, off, s[64:67], 0 offset:40 ; 4-byte Folded Spill
	s_nop 0
	buffer_store_dword v1, off, s[64:67], 0 offset:44 ; 4-byte Folded Spill
	v_mul_lo_u32 v7, s25, v4
	v_mul_lo_u32 v8, s26, v29
	;; [unrolled: 1-line block ×3, first 2 shown]
	v_mov_b32_e32 v14, 0
	v_mov_b32_e32 v62, 0
	;; [unrolled: 1-line block ×7, first 2 shown]
	v_add3_u32 v41, v7, v41, v6
	v_add3_u32 v43, v9, v43, v8
	v_cmp_le_i32_e64 s[8:9], s50, v34
	s_mov_b64 s[30:31], 0
	v_mov_b32_e32 v15, 0
	v_mov_b32_e32 v63, 0
	;; [unrolled: 1-line block ×7, first 2 shown]
	v_cmp_le_i64_e64 s[10:11], s[50:51], v[0:1]
	v_add_co_u32_e32 v0, vcc, 16, v11
	v_addc_co_u32_e32 v1, vcc, 0, v12, vcc
	buffer_store_dword v0, off, s[64:67], 0 offset:48 ; 4-byte Folded Spill
	s_nop 0
	buffer_store_dword v1, off, s[64:67], 0 offset:52 ; 4-byte Folded Spill
	v_add_co_u32_e32 v0, vcc, -16, v11
	buffer_store_dword v11, off, s[64:67], 0 offset:24 ; 4-byte Folded Spill
	s_nop 0
	buffer_store_dword v12, off, s[64:67], 0 offset:28 ; 4-byte Folded Spill
	v_addc_co_u32_e32 v1, vcc, -1, v12, vcc
	buffer_store_dword v0, off, s[64:67], 0 offset:56 ; 4-byte Folded Spill
	s_nop 0
	buffer_store_dword v1, off, s[64:67], 0 offset:60 ; 4-byte Folded Spill
	buffer_load_dword v54, off, s[64:67], 0 offset:84 ; 4-byte Folded Reload
	buffer_load_dword v55, off, s[64:67], 0 offset:88 ; 4-byte Folded Reload
	v_mov_b32_e32 v12, 0
	v_mov_b32_e32 v13, 0
	s_branch .LBB120_7
.LBB120_6:                              ;   in Loop: Header=BB120_7 Depth=2
	s_or_b64 exec, exec, s[12:13]
	s_waitcnt lgkmcnt(0)
	s_barrier
	ds_read_b128 v[30:33], v50
	ds_read_b128 v[20:23], v50 offset:16
	ds_read_b128 v[8:11], v50 offset:32
	;; [unrolled: 1-line block ×3, first 2 shown]
	ds_read_b128 v[46:49], v52
	v_add_co_u32_e32 v54, vcc, s40, v54
	s_add_u32 s30, s30, 32
	s_addc_u32 s31, s31, 0
	s_waitcnt lgkmcnt(0)
	v_mul_f64 v[0:1], v[32:33], v[48:49]
	v_mul_f64 v[24:25], v[30:31], v[48:49]
	s_cmp_ge_i32 s30, s61
	v_fma_f64 v[0:1], v[30:31], v[46:47], -v[0:1]
	v_fma_f64 v[24:25], v[32:33], v[46:47], v[24:25]
	v_add_f64 v[38:39], v[56:57], v[0:1]
	v_add_f64 v[36:37], v[24:25], v[58:59]
	ds_read_b128 v[56:59], v52 offset:256
	s_waitcnt lgkmcnt(0)
	v_mul_f64 v[0:1], v[32:33], v[58:59]
	v_mul_f64 v[24:25], v[30:31], v[58:59]
	v_fma_f64 v[0:1], v[30:31], v[56:57], -v[0:1]
	v_fma_f64 v[24:25], v[32:33], v[56:57], v[24:25]
	v_add_f64 v[44:45], v[16:17], v[0:1]
	v_add_f64 v[26:27], v[24:25], v[18:19]
	ds_read_b128 v[16:19], v50 offset:8192
	s_waitcnt lgkmcnt(0)
	v_mul_f64 v[0:1], v[18:19], v[48:49]
	v_mul_f64 v[24:25], v[16:17], v[48:49]
	v_fma_f64 v[0:1], v[16:17], v[46:47], -v[0:1]
	v_fma_f64 v[24:25], v[18:19], v[46:47], v[24:25]
	v_add_f64 v[30:31], v[60:61], v[0:1]
	v_add_f64 v[0:1], v[24:25], v[62:63]
	v_mul_f64 v[24:25], v[18:19], v[58:59]
	v_fma_f64 v[24:25], v[16:17], v[56:57], -v[24:25]
	v_mul_f64 v[16:17], v[16:17], v[58:59]
	v_add_f64 v[32:33], v[14:15], v[24:25]
	v_fma_f64 v[16:17], v[18:19], v[56:57], v[16:17]
	v_add_f64 v[24:25], v[16:17], v[12:13]
	ds_read_b128 v[16:19], v52 offset:512
	s_waitcnt lgkmcnt(0)
	v_mul_f64 v[12:13], v[22:23], v[18:19]
	v_mul_f64 v[14:15], v[20:21], v[18:19]
	v_fma_f64 v[12:13], v[20:21], v[16:17], -v[12:13]
	v_fma_f64 v[14:15], v[22:23], v[16:17], v[14:15]
	v_add_f64 v[60:61], v[38:39], v[12:13]
	v_add_f64 v[62:63], v[14:15], v[36:37]
	ds_read_b128 v[12:15], v52 offset:768
	s_waitcnt lgkmcnt(0)
	v_mul_f64 v[36:37], v[22:23], v[14:15]
	v_fma_f64 v[36:37], v[20:21], v[12:13], -v[36:37]
	v_mul_f64 v[20:21], v[20:21], v[14:15]
	v_add_f64 v[56:57], v[44:45], v[36:37]
	v_fma_f64 v[20:21], v[22:23], v[12:13], v[20:21]
	v_add_f64 v[58:59], v[20:21], v[26:27]
	ds_read_b128 v[20:23], v50 offset:8208
	s_waitcnt lgkmcnt(0)
	v_mul_f64 v[26:27], v[22:23], v[18:19]
	v_mul_f64 v[18:19], v[20:21], v[18:19]
	v_fma_f64 v[26:27], v[20:21], v[16:17], -v[26:27]
	v_fma_f64 v[18:19], v[22:23], v[16:17], v[18:19]
	v_add_f64 v[16:17], v[30:31], v[26:27]
	v_add_f64 v[18:19], v[18:19], v[0:1]
	v_mul_f64 v[0:1], v[22:23], v[14:15]
	v_mul_f64 v[14:15], v[20:21], v[14:15]
	v_fma_f64 v[0:1], v[20:21], v[12:13], -v[0:1]
	v_fma_f64 v[14:15], v[22:23], v[12:13], v[14:15]
	ds_read_b128 v[20:23], v52 offset:1024
	v_add_f64 v[12:13], v[32:33], v[0:1]
	ds_read_b128 v[30:33], v52 offset:1280
	s_waitcnt lgkmcnt(1)
	v_mul_f64 v[0:1], v[10:11], v[22:23]
	v_add_f64 v[14:15], v[14:15], v[24:25]
	v_mul_f64 v[24:25], v[8:9], v[22:23]
	v_fma_f64 v[0:1], v[8:9], v[20:21], -v[0:1]
	v_fma_f64 v[24:25], v[10:11], v[20:21], v[24:25]
	v_add_f64 v[26:27], v[60:61], v[0:1]
	s_waitcnt lgkmcnt(0)
	v_mul_f64 v[0:1], v[10:11], v[32:33]
	v_add_f64 v[36:37], v[24:25], v[62:63]
	v_fma_f64 v[0:1], v[8:9], v[30:31], -v[0:1]
	v_mul_f64 v[8:9], v[8:9], v[32:33]
	v_add_f64 v[38:39], v[56:57], v[0:1]
	v_fma_f64 v[8:9], v[10:11], v[30:31], v[8:9]
	v_add_f64 v[44:45], v[8:9], v[58:59]
	ds_read_b128 v[8:11], v50 offset:8224
	s_waitcnt lgkmcnt(0)
	v_mul_f64 v[0:1], v[10:11], v[22:23]
	v_mul_f64 v[22:23], v[8:9], v[22:23]
	v_fma_f64 v[0:1], v[8:9], v[20:21], -v[0:1]
	v_fma_f64 v[20:21], v[10:11], v[20:21], v[22:23]
	v_add_f64 v[0:1], v[16:17], v[0:1]
	v_mul_f64 v[16:17], v[10:11], v[32:33]
	v_add_f64 v[20:21], v[20:21], v[18:19]
	v_fma_f64 v[16:17], v[8:9], v[30:31], -v[16:17]
	v_mul_f64 v[8:9], v[8:9], v[32:33]
	v_add_f64 v[22:23], v[12:13], v[16:17]
	v_fma_f64 v[8:9], v[10:11], v[30:31], v[8:9]
	ds_read_b128 v[30:33], v50 offset:8240
	v_add_f64 v[24:25], v[8:9], v[14:15]
	ds_read_b128 v[8:11], v52 offset:1536
	s_waitcnt lgkmcnt(0)
	v_mul_f64 v[12:13], v[6:7], v[10:11]
	v_mul_f64 v[14:15], v[4:5], v[10:11]
	v_fma_f64 v[12:13], v[4:5], v[8:9], -v[12:13]
	v_fma_f64 v[14:15], v[6:7], v[8:9], v[14:15]
	v_add_f64 v[16:17], v[26:27], v[12:13]
	v_add_f64 v[18:19], v[14:15], v[36:37]
	ds_read_b128 v[12:15], v52 offset:1792
	s_waitcnt lgkmcnt(0)
	v_mul_f64 v[26:27], v[6:7], v[14:15]
	v_fma_f64 v[26:27], v[4:5], v[12:13], -v[26:27]
	v_mul_f64 v[4:5], v[4:5], v[14:15]
	v_fma_f64 v[6:7], v[6:7], v[12:13], v[4:5]
	v_add_f64 v[4:5], v[38:39], v[26:27]
	v_mul_f64 v[26:27], v[32:33], v[10:11]
	v_mul_f64 v[10:11], v[30:31], v[10:11]
	v_add_f64 v[6:7], v[6:7], v[44:45]
	v_fma_f64 v[26:27], v[30:31], v[8:9], -v[26:27]
	v_fma_f64 v[8:9], v[32:33], v[8:9], v[10:11]
	v_add_f64 v[26:27], v[0:1], v[26:27]
	v_add_f64 v[36:37], v[8:9], v[20:21]
	v_mul_f64 v[8:9], v[30:31], v[14:15]
	v_mul_f64 v[0:1], v[32:33], v[14:15]
	v_fma_f64 v[8:9], v[32:33], v[12:13], v[8:9]
	v_fma_f64 v[0:1], v[30:31], v[12:13], -v[0:1]
	v_add_f64 v[32:33], v[8:9], v[24:25]
	ds_read_b128 v[8:11], v50 offset:64
	ds_read_b128 v[12:15], v52 offset:2048
	v_add_f64 v[30:31], v[22:23], v[0:1]
	ds_read_b128 v[22:25], v52 offset:2304
	s_waitcnt lgkmcnt(1)
	v_mul_f64 v[0:1], v[10:11], v[14:15]
	v_mul_f64 v[20:21], v[8:9], v[14:15]
	v_fma_f64 v[0:1], v[8:9], v[12:13], -v[0:1]
	v_fma_f64 v[20:21], v[10:11], v[12:13], v[20:21]
	v_add_f64 v[0:1], v[16:17], v[0:1]
	s_waitcnt lgkmcnt(0)
	v_mul_f64 v[16:17], v[10:11], v[24:25]
	v_add_f64 v[20:21], v[20:21], v[18:19]
	v_fma_f64 v[16:17], v[8:9], v[22:23], -v[16:17]
	v_mul_f64 v[8:9], v[8:9], v[24:25]
	v_add_f64 v[38:39], v[4:5], v[16:17]
	v_fma_f64 v[8:9], v[10:11], v[22:23], v[8:9]
	v_add_f64 v[44:45], v[8:9], v[6:7]
	ds_read_b128 v[4:7], v50 offset:8256
	s_waitcnt lgkmcnt(0)
	v_mul_f64 v[8:9], v[6:7], v[14:15]
	v_mul_f64 v[10:11], v[4:5], v[14:15]
	v_fma_f64 v[8:9], v[4:5], v[12:13], -v[8:9]
	v_fma_f64 v[10:11], v[6:7], v[12:13], v[10:11]
	v_add_f64 v[16:17], v[26:27], v[8:9]
	v_mul_f64 v[8:9], v[6:7], v[24:25]
	v_add_f64 v[18:19], v[10:11], v[36:37]
	v_fma_f64 v[8:9], v[4:5], v[22:23], -v[8:9]
	v_mul_f64 v[4:5], v[4:5], v[24:25]
	v_add_f64 v[12:13], v[30:31], v[8:9]
	v_fma_f64 v[4:5], v[6:7], v[22:23], v[4:5]
	ds_read_b128 v[46:49], v50 offset:80
	ds_read_b128 v[8:11], v52 offset:2560
	s_waitcnt lgkmcnt(0)
	v_mul_f64 v[6:7], v[46:47], v[10:11]
	v_add_f64 v[14:15], v[4:5], v[32:33]
	v_mul_f64 v[4:5], v[48:49], v[10:11]
	v_fma_f64 v[6:7], v[48:49], v[8:9], v[6:7]
	v_fma_f64 v[4:5], v[46:47], v[8:9], -v[4:5]
	v_add_f64 v[32:33], v[6:7], v[20:21]
	v_add_f64 v[24:25], v[0:1], v[4:5]
	ds_read_b128 v[4:7], v52 offset:2816
	s_waitcnt lgkmcnt(0)
	v_mul_f64 v[0:1], v[48:49], v[6:7]
	v_mul_f64 v[20:21], v[46:47], v[6:7]
	v_fma_f64 v[0:1], v[46:47], v[4:5], -v[0:1]
	v_fma_f64 v[22:23], v[48:49], v[4:5], v[20:21]
	ds_read_b128 v[46:49], v50 offset:8272
	v_add_f64 v[20:21], v[38:39], v[0:1]
	s_waitcnt lgkmcnt(0)
	v_mul_f64 v[0:1], v[48:49], v[10:11]
	v_mul_f64 v[10:11], v[46:47], v[10:11]
	v_add_f64 v[22:23], v[22:23], v[44:45]
	v_fma_f64 v[0:1], v[46:47], v[8:9], -v[0:1]
	v_fma_f64 v[8:9], v[48:49], v[8:9], v[10:11]
	v_add_f64 v[26:27], v[16:17], v[0:1]
	v_mul_f64 v[0:1], v[48:49], v[6:7]
	v_mul_f64 v[6:7], v[46:47], v[6:7]
	v_add_f64 v[18:19], v[8:9], v[18:19]
	v_fma_f64 v[0:1], v[46:47], v[4:5], -v[0:1]
	v_fma_f64 v[4:5], v[48:49], v[4:5], v[6:7]
	v_add_f64 v[30:31], v[12:13], v[0:1]
	ds_read_b128 v[6:9], v50 offset:96
	ds_read_b128 v[10:13], v52 offset:3072
	v_add_f64 v[36:37], v[4:5], v[14:15]
	ds_read_b128 v[14:17], v52 offset:3328
	s_waitcnt lgkmcnt(1)
	v_mul_f64 v[0:1], v[8:9], v[12:13]
	v_mul_f64 v[4:5], v[6:7], v[12:13]
	v_fma_f64 v[0:1], v[6:7], v[10:11], -v[0:1]
	v_fma_f64 v[4:5], v[8:9], v[10:11], v[4:5]
	v_add_f64 v[0:1], v[24:25], v[0:1]
	s_waitcnt lgkmcnt(0)
	v_mul_f64 v[24:25], v[8:9], v[16:17]
	v_add_f64 v[4:5], v[4:5], v[32:33]
	v_fma_f64 v[24:25], v[6:7], v[14:15], -v[24:25]
	v_mul_f64 v[6:7], v[6:7], v[16:17]
	v_add_f64 v[38:39], v[20:21], v[24:25]
	v_fma_f64 v[6:7], v[8:9], v[14:15], v[6:7]
	v_add_f64 v[44:45], v[6:7], v[22:23]
	ds_read_b128 v[6:9], v50 offset:8288
	s_waitcnt lgkmcnt(0)
	v_mul_f64 v[20:21], v[8:9], v[12:13]
	v_mul_f64 v[12:13], v[6:7], v[12:13]
	v_fma_f64 v[20:21], v[6:7], v[10:11], -v[20:21]
	v_fma_f64 v[10:11], v[8:9], v[10:11], v[12:13]
	v_add_f64 v[20:21], v[26:27], v[20:21]
	v_add_f64 v[22:23], v[10:11], v[18:19]
	v_mul_f64 v[10:11], v[8:9], v[16:17]
	v_fma_f64 v[10:11], v[6:7], v[14:15], -v[10:11]
	v_mul_f64 v[6:7], v[6:7], v[16:17]
	v_add_f64 v[16:17], v[30:31], v[10:11]
	v_fma_f64 v[6:7], v[8:9], v[14:15], v[6:7]
	ds_read_b128 v[12:15], v50 offset:112
	ds_read_b128 v[8:11], v52 offset:3584
	s_waitcnt lgkmcnt(0)
	v_mul_f64 v[24:25], v[12:13], v[10:11]
	v_add_f64 v[18:19], v[6:7], v[36:37]
	v_mul_f64 v[6:7], v[14:15], v[10:11]
	v_fma_f64 v[26:27], v[14:15], v[8:9], v[24:25]
	v_fma_f64 v[6:7], v[12:13], v[8:9], -v[6:7]
	v_add_f64 v[32:33], v[26:27], v[4:5]
	v_add_f64 v[24:25], v[0:1], v[6:7]
	ds_read_b128 v[4:7], v52 offset:3840
	s_waitcnt lgkmcnt(0)
	v_mul_f64 v[0:1], v[14:15], v[6:7]
	v_fma_f64 v[0:1], v[12:13], v[4:5], -v[0:1]
	v_mul_f64 v[12:13], v[12:13], v[6:7]
	v_add_f64 v[56:57], v[38:39], v[0:1]
	v_fma_f64 v[12:13], v[14:15], v[4:5], v[12:13]
	v_add_f64 v[58:59], v[12:13], v[44:45]
	ds_read_b128 v[12:15], v50 offset:8304
	s_waitcnt lgkmcnt(0)
	v_mul_f64 v[0:1], v[14:15], v[10:11]
	v_mul_f64 v[10:11], v[12:13], v[10:11]
	v_fma_f64 v[0:1], v[12:13], v[8:9], -v[0:1]
	v_fma_f64 v[8:9], v[14:15], v[8:9], v[10:11]
	v_add_f64 v[20:21], v[20:21], v[0:1]
	v_mul_f64 v[0:1], v[14:15], v[6:7]
	v_mul_f64 v[6:7], v[12:13], v[6:7]
	v_add_f64 v[22:23], v[8:9], v[22:23]
	v_fma_f64 v[0:1], v[12:13], v[4:5], -v[0:1]
	v_fma_f64 v[4:5], v[14:15], v[4:5], v[6:7]
	ds_read_b128 v[6:9], v50 offset:128
	ds_read_b128 v[10:13], v52 offset:4096
	v_add_f64 v[26:27], v[16:17], v[0:1]
	s_waitcnt lgkmcnt(0)
	v_mul_f64 v[0:1], v[8:9], v[12:13]
	ds_read_b128 v[14:17], v52 offset:4352
	v_add_f64 v[18:19], v[4:5], v[18:19]
	v_mul_f64 v[4:5], v[6:7], v[12:13]
	v_fma_f64 v[0:1], v[6:7], v[10:11], -v[0:1]
	v_fma_f64 v[4:5], v[8:9], v[10:11], v[4:5]
	v_add_f64 v[0:1], v[24:25], v[0:1]
	s_waitcnt lgkmcnt(0)
	v_mul_f64 v[24:25], v[8:9], v[16:17]
	v_add_f64 v[4:5], v[4:5], v[32:33]
	v_fma_f64 v[24:25], v[6:7], v[14:15], -v[24:25]
	v_mul_f64 v[6:7], v[6:7], v[16:17]
	v_add_f64 v[30:31], v[56:57], v[24:25]
	v_fma_f64 v[6:7], v[8:9], v[14:15], v[6:7]
	v_add_f64 v[36:37], v[6:7], v[58:59]
	ds_read_b128 v[6:9], v50 offset:8320
	s_waitcnt lgkmcnt(0)
	v_mul_f64 v[24:25], v[8:9], v[12:13]
	v_mul_f64 v[12:13], v[6:7], v[12:13]
	v_fma_f64 v[24:25], v[6:7], v[10:11], -v[24:25]
	v_fma_f64 v[10:11], v[8:9], v[10:11], v[12:13]
	v_add_f64 v[20:21], v[20:21], v[24:25]
	v_add_f64 v[22:23], v[10:11], v[22:23]
	v_mul_f64 v[10:11], v[8:9], v[16:17]
	v_fma_f64 v[10:11], v[6:7], v[14:15], -v[10:11]
	v_mul_f64 v[6:7], v[6:7], v[16:17]
	v_add_f64 v[16:17], v[26:27], v[10:11]
	v_fma_f64 v[6:7], v[8:9], v[14:15], v[6:7]
	ds_read_b128 v[12:15], v50 offset:144
	ds_read_b128 v[8:11], v52 offset:4608
	s_waitcnt lgkmcnt(0)
	v_mul_f64 v[24:25], v[12:13], v[10:11]
	v_add_f64 v[18:19], v[6:7], v[18:19]
	v_mul_f64 v[6:7], v[14:15], v[10:11]
	v_fma_f64 v[26:27], v[14:15], v[8:9], v[24:25]
	v_fma_f64 v[6:7], v[12:13], v[8:9], -v[6:7]
	v_add_f64 v[32:33], v[26:27], v[4:5]
	v_add_f64 v[24:25], v[0:1], v[6:7]
	ds_read_b128 v[4:7], v52 offset:4864
	s_waitcnt lgkmcnt(0)
	v_mul_f64 v[0:1], v[14:15], v[6:7]
	v_fma_f64 v[0:1], v[12:13], v[4:5], -v[0:1]
	v_mul_f64 v[12:13], v[12:13], v[6:7]
	v_add_f64 v[56:57], v[30:31], v[0:1]
	v_fma_f64 v[12:13], v[14:15], v[4:5], v[12:13]
	v_add_f64 v[58:59], v[12:13], v[36:37]
	ds_read_b128 v[12:15], v50 offset:8336
	s_waitcnt lgkmcnt(0)
	v_mul_f64 v[0:1], v[14:15], v[10:11]
	v_mul_f64 v[10:11], v[12:13], v[10:11]
	v_fma_f64 v[0:1], v[12:13], v[8:9], -v[0:1]
	v_fma_f64 v[8:9], v[14:15], v[8:9], v[10:11]
	v_add_f64 v[20:21], v[20:21], v[0:1]
	v_mul_f64 v[0:1], v[14:15], v[6:7]
	v_mul_f64 v[6:7], v[12:13], v[6:7]
	v_add_f64 v[22:23], v[8:9], v[22:23]
	v_fma_f64 v[0:1], v[12:13], v[4:5], -v[0:1]
	v_fma_f64 v[4:5], v[14:15], v[4:5], v[6:7]
	ds_read_b128 v[6:9], v50 offset:160
	ds_read_b128 v[10:13], v52 offset:5120
	v_add_f64 v[26:27], v[16:17], v[0:1]
	s_waitcnt lgkmcnt(0)
	v_mul_f64 v[0:1], v[8:9], v[12:13]
	ds_read_b128 v[14:17], v52 offset:5376
	v_add_f64 v[18:19], v[4:5], v[18:19]
	v_mul_f64 v[4:5], v[6:7], v[12:13]
	v_fma_f64 v[0:1], v[6:7], v[10:11], -v[0:1]
	v_fma_f64 v[4:5], v[8:9], v[10:11], v[4:5]
	v_add_f64 v[0:1], v[24:25], v[0:1]
	s_waitcnt lgkmcnt(0)
	v_mul_f64 v[24:25], v[8:9], v[16:17]
	v_add_f64 v[4:5], v[4:5], v[32:33]
	v_fma_f64 v[24:25], v[6:7], v[14:15], -v[24:25]
	v_mul_f64 v[6:7], v[6:7], v[16:17]
	v_add_f64 v[30:31], v[56:57], v[24:25]
	v_fma_f64 v[6:7], v[8:9], v[14:15], v[6:7]
	v_add_f64 v[32:33], v[6:7], v[58:59]
	ds_read_b128 v[6:9], v50 offset:8352
	s_waitcnt lgkmcnt(0)
	v_mul_f64 v[24:25], v[8:9], v[12:13]
	v_mul_f64 v[12:13], v[6:7], v[12:13]
	v_fma_f64 v[24:25], v[6:7], v[10:11], -v[24:25]
	v_fma_f64 v[10:11], v[8:9], v[10:11], v[12:13]
	v_add_f64 v[20:21], v[20:21], v[24:25]
	v_add_f64 v[22:23], v[10:11], v[22:23]
	v_mul_f64 v[10:11], v[8:9], v[16:17]
	v_fma_f64 v[10:11], v[6:7], v[14:15], -v[10:11]
	v_mul_f64 v[6:7], v[6:7], v[16:17]
	v_add_f64 v[16:17], v[26:27], v[10:11]
	v_fma_f64 v[6:7], v[8:9], v[14:15], v[6:7]
	ds_read_b128 v[12:15], v50 offset:176
	ds_read_b128 v[8:11], v52 offset:5632
	s_waitcnt lgkmcnt(0)
	v_mul_f64 v[24:25], v[12:13], v[10:11]
	v_add_f64 v[18:19], v[6:7], v[18:19]
	v_mul_f64 v[6:7], v[14:15], v[10:11]
	v_fma_f64 v[24:25], v[14:15], v[8:9], v[24:25]
	v_fma_f64 v[6:7], v[12:13], v[8:9], -v[6:7]
	v_add_f64 v[24:25], v[24:25], v[4:5]
	v_add_f64 v[0:1], v[0:1], v[6:7]
	ds_read_b128 v[4:7], v52 offset:5888
	s_waitcnt lgkmcnt(0)
	v_mul_f64 v[26:27], v[14:15], v[6:7]
	v_fma_f64 v[26:27], v[12:13], v[4:5], -v[26:27]
	v_mul_f64 v[12:13], v[12:13], v[6:7]
	v_add_f64 v[56:57], v[30:31], v[26:27]
	v_fma_f64 v[12:13], v[14:15], v[4:5], v[12:13]
	v_add_f64 v[58:59], v[12:13], v[32:33]
	ds_read_b128 v[12:15], v50 offset:8368
	s_waitcnt lgkmcnt(0)
	v_mul_f64 v[26:27], v[14:15], v[10:11]
	v_mul_f64 v[10:11], v[12:13], v[10:11]
	v_fma_f64 v[26:27], v[12:13], v[8:9], -v[26:27]
	v_fma_f64 v[8:9], v[14:15], v[8:9], v[10:11]
	v_add_f64 v[20:21], v[20:21], v[26:27]
	v_add_f64 v[22:23], v[8:9], v[22:23]
	v_mul_f64 v[8:9], v[14:15], v[6:7]
	v_mul_f64 v[6:7], v[12:13], v[6:7]
	v_fma_f64 v[8:9], v[12:13], v[4:5], -v[8:9]
	v_fma_f64 v[4:5], v[14:15], v[4:5], v[6:7]
	v_add_f64 v[26:27], v[16:17], v[8:9]
	v_add_f64 v[30:31], v[4:5], v[18:19]
	ds_read_b128 v[4:7], v50 offset:192
	ds_read_b128 v[10:13], v52 offset:6144
	;; [unrolled: 1-line block ×3, first 2 shown]
	s_waitcnt lgkmcnt(1)
	v_mul_f64 v[8:9], v[6:7], v[12:13]
	v_mul_f64 v[14:15], v[4:5], v[12:13]
	v_fma_f64 v[8:9], v[4:5], v[10:11], -v[8:9]
	v_fma_f64 v[14:15], v[6:7], v[10:11], v[14:15]
	v_add_f64 v[0:1], v[0:1], v[8:9]
	v_add_f64 v[8:9], v[14:15], v[24:25]
	s_waitcnt lgkmcnt(0)
	v_mul_f64 v[14:15], v[6:7], v[18:19]
	v_fma_f64 v[14:15], v[4:5], v[16:17], -v[14:15]
	v_mul_f64 v[4:5], v[4:5], v[18:19]
	v_add_f64 v[36:37], v[56:57], v[14:15]
	v_fma_f64 v[4:5], v[6:7], v[16:17], v[4:5]
	v_add_f64 v[38:39], v[4:5], v[58:59]
	ds_read_b128 v[4:7], v50 offset:8384
	s_waitcnt lgkmcnt(0)
	v_mul_f64 v[14:15], v[6:7], v[12:13]
	v_mul_f64 v[12:13], v[4:5], v[12:13]
	v_fma_f64 v[14:15], v[4:5], v[10:11], -v[14:15]
	v_fma_f64 v[10:11], v[6:7], v[10:11], v[12:13]
	v_add_f64 v[12:13], v[20:21], v[14:15]
	v_add_f64 v[14:15], v[10:11], v[22:23]
	v_mul_f64 v[10:11], v[6:7], v[18:19]
	v_fma_f64 v[10:11], v[4:5], v[16:17], -v[10:11]
	v_mul_f64 v[4:5], v[4:5], v[18:19]
	v_fma_f64 v[4:5], v[6:7], v[16:17], v[4:5]
	v_add_f64 v[16:17], v[26:27], v[10:11]
	v_add_f64 v[18:19], v[4:5], v[30:31]
	ds_read_b128 v[20:23], v50 offset:208
	ds_read_b128 v[4:7], v52 offset:6656
	ds_read_b128 v[46:49], v50 offset:8400
	s_waitcnt lgkmcnt(1)
	v_mul_f64 v[10:11], v[22:23], v[6:7]
	v_mul_f64 v[24:25], v[20:21], v[6:7]
	v_fma_f64 v[10:11], v[20:21], v[4:5], -v[10:11]
	v_fma_f64 v[26:27], v[22:23], v[4:5], v[24:25]
	v_add_f64 v[24:25], v[0:1], v[10:11]
	v_add_f64 v[32:33], v[26:27], v[8:9]
	ds_read_b128 v[8:11], v52 offset:6912
	s_waitcnt lgkmcnt(0)
	v_mul_f64 v[0:1], v[22:23], v[10:11]
	v_fma_f64 v[0:1], v[20:21], v[8:9], -v[0:1]
	v_mul_f64 v[20:21], v[20:21], v[10:11]
	v_fma_f64 v[22:23], v[22:23], v[8:9], v[20:21]
	v_add_f64 v[20:21], v[36:37], v[0:1]
	v_mul_f64 v[0:1], v[48:49], v[6:7]
	v_mul_f64 v[6:7], v[46:47], v[6:7]
	v_add_f64 v[22:23], v[22:23], v[38:39]
	v_fma_f64 v[0:1], v[46:47], v[4:5], -v[0:1]
	v_fma_f64 v[4:5], v[48:49], v[4:5], v[6:7]
	v_add_f64 v[26:27], v[12:13], v[0:1]
	v_add_f64 v[14:15], v[4:5], v[14:15]
	v_mul_f64 v[4:5], v[46:47], v[10:11]
	v_mul_f64 v[0:1], v[48:49], v[10:11]
	v_fma_f64 v[4:5], v[48:49], v[8:9], v[4:5]
	v_fma_f64 v[0:1], v[46:47], v[8:9], -v[0:1]
	ds_read_b128 v[6:9], v50 offset:224
	ds_read_b128 v[10:13], v52 offset:7168
	v_add_f64 v[38:39], v[4:5], v[18:19]
	s_waitcnt lgkmcnt(0)
	v_mul_f64 v[4:5], v[6:7], v[12:13]
	v_add_f64 v[36:37], v[16:17], v[0:1]
	v_mul_f64 v[0:1], v[8:9], v[12:13]
	v_fma_f64 v[4:5], v[8:9], v[10:11], v[4:5]
	v_fma_f64 v[0:1], v[6:7], v[10:11], -v[0:1]
	v_add_f64 v[4:5], v[4:5], v[32:33]
	ds_read_b128 v[30:33], v52 offset:7424
	v_add_f64 v[0:1], v[24:25], v[0:1]
	s_waitcnt lgkmcnt(0)
	v_mul_f64 v[16:17], v[8:9], v[32:33]
	v_fma_f64 v[16:17], v[6:7], v[30:31], -v[16:17]
	v_mul_f64 v[6:7], v[6:7], v[32:33]
	v_add_f64 v[44:45], v[20:21], v[16:17]
	v_fma_f64 v[6:7], v[8:9], v[30:31], v[6:7]
	v_add_f64 v[46:47], v[6:7], v[22:23]
	ds_read_b128 v[6:9], v50 offset:8416
	s_waitcnt lgkmcnt(0)
	v_mul_f64 v[16:17], v[8:9], v[12:13]
	v_mul_f64 v[12:13], v[6:7], v[12:13]
	v_fma_f64 v[16:17], v[6:7], v[10:11], -v[16:17]
	v_fma_f64 v[10:11], v[8:9], v[10:11], v[12:13]
	v_add_f64 v[16:17], v[26:27], v[16:17]
	v_add_f64 v[18:19], v[10:11], v[14:15]
	v_mul_f64 v[10:11], v[8:9], v[32:33]
	v_fma_f64 v[10:11], v[6:7], v[30:31], -v[10:11]
	v_mul_f64 v[6:7], v[6:7], v[32:33]
	v_add_f64 v[12:13], v[36:37], v[10:11]
	v_fma_f64 v[6:7], v[8:9], v[30:31], v[6:7]
	ds_read_b128 v[20:23], v50 offset:240
	ds_read_b128 v[8:11], v52 offset:7680
	s_waitcnt lgkmcnt(0)
	v_mul_f64 v[24:25], v[20:21], v[10:11]
	v_add_f64 v[14:15], v[6:7], v[38:39]
	v_mul_f64 v[6:7], v[22:23], v[10:11]
	v_fma_f64 v[26:27], v[22:23], v[8:9], v[24:25]
	v_fma_f64 v[6:7], v[20:21], v[8:9], -v[6:7]
	v_add_f64 v[32:33], v[26:27], v[4:5]
	v_add_f64 v[24:25], v[0:1], v[6:7]
	ds_read_b128 v[4:7], v52 offset:7936
	s_waitcnt lgkmcnt(0)
	v_mul_f64 v[0:1], v[22:23], v[6:7]
	v_fma_f64 v[0:1], v[20:21], v[4:5], -v[0:1]
	v_mul_f64 v[20:21], v[20:21], v[6:7]
	v_fma_f64 v[22:23], v[22:23], v[4:5], v[20:21]
	v_add_f64 v[20:21], v[44:45], v[0:1]
	v_add_f64 v[22:23], v[22:23], v[46:47]
	ds_read_b128 v[46:49], v50 offset:8432
	s_waitcnt lgkmcnt(0)
	v_mul_f64 v[0:1], v[48:49], v[10:11]
	v_mul_f64 v[10:11], v[46:47], v[10:11]
	v_fma_f64 v[0:1], v[46:47], v[8:9], -v[0:1]
	v_fma_f64 v[8:9], v[48:49], v[8:9], v[10:11]
	v_add_f64 v[26:27], v[16:17], v[0:1]
	v_mul_f64 v[0:1], v[48:49], v[6:7]
	v_mul_f64 v[6:7], v[46:47], v[6:7]
	v_add_f64 v[18:19], v[8:9], v[18:19]
	v_fma_f64 v[0:1], v[46:47], v[4:5], -v[0:1]
	v_fma_f64 v[4:5], v[48:49], v[4:5], v[6:7]
	v_add_f64 v[30:31], v[12:13], v[0:1]
	ds_read_b128 v[6:9], v50 offset:256
	ds_read_b128 v[10:13], v52 offset:8192
	v_add_f64 v[36:37], v[4:5], v[14:15]
	ds_read_b128 v[14:17], v52 offset:8448
	s_waitcnt lgkmcnt(1)
	v_mul_f64 v[0:1], v[8:9], v[12:13]
	v_mul_f64 v[4:5], v[6:7], v[12:13]
	v_fma_f64 v[0:1], v[6:7], v[10:11], -v[0:1]
	v_fma_f64 v[4:5], v[8:9], v[10:11], v[4:5]
	v_add_f64 v[0:1], v[24:25], v[0:1]
	s_waitcnt lgkmcnt(0)
	v_mul_f64 v[24:25], v[8:9], v[16:17]
	v_add_f64 v[4:5], v[4:5], v[32:33]
	v_fma_f64 v[24:25], v[6:7], v[14:15], -v[24:25]
	v_mul_f64 v[6:7], v[6:7], v[16:17]
	v_add_f64 v[38:39], v[20:21], v[24:25]
	v_fma_f64 v[6:7], v[8:9], v[14:15], v[6:7]
	v_add_f64 v[44:45], v[6:7], v[22:23]
	ds_read_b128 v[6:9], v50 offset:8448
	s_waitcnt lgkmcnt(0)
	v_mul_f64 v[20:21], v[8:9], v[12:13]
	v_mul_f64 v[12:13], v[6:7], v[12:13]
	v_fma_f64 v[20:21], v[6:7], v[10:11], -v[20:21]
	v_fma_f64 v[10:11], v[8:9], v[10:11], v[12:13]
	v_add_f64 v[20:21], v[26:27], v[20:21]
	v_add_f64 v[22:23], v[10:11], v[18:19]
	v_mul_f64 v[10:11], v[8:9], v[16:17]
	v_fma_f64 v[10:11], v[6:7], v[14:15], -v[10:11]
	v_mul_f64 v[6:7], v[6:7], v[16:17]
	v_add_f64 v[16:17], v[30:31], v[10:11]
	v_fma_f64 v[6:7], v[8:9], v[14:15], v[6:7]
	ds_read_b128 v[12:15], v50 offset:272
	ds_read_b128 v[8:11], v52 offset:8704
	s_waitcnt lgkmcnt(0)
	v_mul_f64 v[24:25], v[12:13], v[10:11]
	v_add_f64 v[18:19], v[6:7], v[36:37]
	v_mul_f64 v[6:7], v[14:15], v[10:11]
	v_fma_f64 v[26:27], v[14:15], v[8:9], v[24:25]
	v_fma_f64 v[6:7], v[12:13], v[8:9], -v[6:7]
	v_add_f64 v[32:33], v[26:27], v[4:5]
	v_add_f64 v[24:25], v[0:1], v[6:7]
	ds_read_b128 v[4:7], v52 offset:8960
	s_waitcnt lgkmcnt(0)
	v_mul_f64 v[0:1], v[14:15], v[6:7]
	v_fma_f64 v[0:1], v[12:13], v[4:5], -v[0:1]
	v_mul_f64 v[12:13], v[12:13], v[6:7]
	v_add_f64 v[56:57], v[38:39], v[0:1]
	v_fma_f64 v[12:13], v[14:15], v[4:5], v[12:13]
	v_add_f64 v[58:59], v[12:13], v[44:45]
	ds_read_b128 v[12:15], v50 offset:8464
	s_waitcnt lgkmcnt(0)
	v_mul_f64 v[0:1], v[14:15], v[10:11]
	v_mul_f64 v[10:11], v[12:13], v[10:11]
	v_fma_f64 v[0:1], v[12:13], v[8:9], -v[0:1]
	v_fma_f64 v[8:9], v[14:15], v[8:9], v[10:11]
	v_add_f64 v[20:21], v[20:21], v[0:1]
	v_mul_f64 v[0:1], v[14:15], v[6:7]
	v_mul_f64 v[6:7], v[12:13], v[6:7]
	v_add_f64 v[22:23], v[8:9], v[22:23]
	v_fma_f64 v[0:1], v[12:13], v[4:5], -v[0:1]
	v_fma_f64 v[4:5], v[14:15], v[4:5], v[6:7]
	ds_read_b128 v[6:9], v50 offset:288
	ds_read_b128 v[10:13], v52 offset:9216
	v_add_f64 v[26:27], v[16:17], v[0:1]
	s_waitcnt lgkmcnt(0)
	v_mul_f64 v[0:1], v[8:9], v[12:13]
	ds_read_b128 v[14:17], v52 offset:9472
	v_add_f64 v[18:19], v[4:5], v[18:19]
	v_mul_f64 v[4:5], v[6:7], v[12:13]
	v_fma_f64 v[0:1], v[6:7], v[10:11], -v[0:1]
	v_fma_f64 v[4:5], v[8:9], v[10:11], v[4:5]
	v_add_f64 v[0:1], v[24:25], v[0:1]
	s_waitcnt lgkmcnt(0)
	v_mul_f64 v[24:25], v[8:9], v[16:17]
	v_add_f64 v[4:5], v[4:5], v[32:33]
	v_fma_f64 v[24:25], v[6:7], v[14:15], -v[24:25]
	v_mul_f64 v[6:7], v[6:7], v[16:17]
	v_add_f64 v[30:31], v[56:57], v[24:25]
	v_fma_f64 v[6:7], v[8:9], v[14:15], v[6:7]
	v_add_f64 v[36:37], v[6:7], v[58:59]
	ds_read_b128 v[6:9], v50 offset:8480
	s_waitcnt lgkmcnt(0)
	v_mul_f64 v[24:25], v[8:9], v[12:13]
	v_mul_f64 v[12:13], v[6:7], v[12:13]
	v_fma_f64 v[24:25], v[6:7], v[10:11], -v[24:25]
	v_fma_f64 v[10:11], v[8:9], v[10:11], v[12:13]
	v_add_f64 v[20:21], v[20:21], v[24:25]
	v_add_f64 v[22:23], v[10:11], v[22:23]
	v_mul_f64 v[10:11], v[8:9], v[16:17]
	v_fma_f64 v[10:11], v[6:7], v[14:15], -v[10:11]
	v_mul_f64 v[6:7], v[6:7], v[16:17]
	v_add_f64 v[16:17], v[26:27], v[10:11]
	v_fma_f64 v[6:7], v[8:9], v[14:15], v[6:7]
	ds_read_b128 v[12:15], v50 offset:304
	ds_read_b128 v[8:11], v52 offset:9728
	s_waitcnt lgkmcnt(0)
	v_mul_f64 v[24:25], v[12:13], v[10:11]
	v_add_f64 v[18:19], v[6:7], v[18:19]
	v_mul_f64 v[6:7], v[14:15], v[10:11]
	v_fma_f64 v[26:27], v[14:15], v[8:9], v[24:25]
	v_fma_f64 v[6:7], v[12:13], v[8:9], -v[6:7]
	v_add_f64 v[32:33], v[26:27], v[4:5]
	v_add_f64 v[24:25], v[0:1], v[6:7]
	ds_read_b128 v[4:7], v52 offset:9984
	s_waitcnt lgkmcnt(0)
	v_mul_f64 v[0:1], v[14:15], v[6:7]
	v_fma_f64 v[0:1], v[12:13], v[4:5], -v[0:1]
	v_mul_f64 v[12:13], v[12:13], v[6:7]
	v_add_f64 v[56:57], v[30:31], v[0:1]
	v_fma_f64 v[12:13], v[14:15], v[4:5], v[12:13]
	v_add_f64 v[58:59], v[12:13], v[36:37]
	ds_read_b128 v[12:15], v50 offset:8496
	s_waitcnt lgkmcnt(0)
	v_mul_f64 v[0:1], v[14:15], v[10:11]
	v_mul_f64 v[10:11], v[12:13], v[10:11]
	v_fma_f64 v[0:1], v[12:13], v[8:9], -v[0:1]
	v_fma_f64 v[8:9], v[14:15], v[8:9], v[10:11]
	v_add_f64 v[20:21], v[20:21], v[0:1]
	v_mul_f64 v[0:1], v[14:15], v[6:7]
	v_mul_f64 v[6:7], v[12:13], v[6:7]
	v_add_f64 v[22:23], v[8:9], v[22:23]
	v_fma_f64 v[0:1], v[12:13], v[4:5], -v[0:1]
	v_fma_f64 v[4:5], v[14:15], v[4:5], v[6:7]
	ds_read_b128 v[6:9], v50 offset:320
	ds_read_b128 v[10:13], v52 offset:10240
	v_add_f64 v[26:27], v[16:17], v[0:1]
	s_waitcnt lgkmcnt(0)
	v_mul_f64 v[0:1], v[8:9], v[12:13]
	ds_read_b128 v[14:17], v52 offset:10496
	v_add_f64 v[18:19], v[4:5], v[18:19]
	v_mul_f64 v[4:5], v[6:7], v[12:13]
	v_fma_f64 v[0:1], v[6:7], v[10:11], -v[0:1]
	v_fma_f64 v[4:5], v[8:9], v[10:11], v[4:5]
	v_add_f64 v[0:1], v[24:25], v[0:1]
	s_waitcnt lgkmcnt(0)
	v_mul_f64 v[24:25], v[8:9], v[16:17]
	v_add_f64 v[4:5], v[4:5], v[32:33]
	v_fma_f64 v[24:25], v[6:7], v[14:15], -v[24:25]
	v_mul_f64 v[6:7], v[6:7], v[16:17]
	v_add_f64 v[30:31], v[56:57], v[24:25]
	v_fma_f64 v[6:7], v[8:9], v[14:15], v[6:7]
	v_add_f64 v[32:33], v[6:7], v[58:59]
	ds_read_b128 v[6:9], v50 offset:8512
	s_waitcnt lgkmcnt(0)
	v_mul_f64 v[24:25], v[8:9], v[12:13]
	v_mul_f64 v[12:13], v[6:7], v[12:13]
	v_fma_f64 v[24:25], v[6:7], v[10:11], -v[24:25]
	v_fma_f64 v[10:11], v[8:9], v[10:11], v[12:13]
	v_add_f64 v[20:21], v[20:21], v[24:25]
	v_add_f64 v[22:23], v[10:11], v[22:23]
	v_mul_f64 v[10:11], v[8:9], v[16:17]
	v_fma_f64 v[10:11], v[6:7], v[14:15], -v[10:11]
	v_mul_f64 v[6:7], v[6:7], v[16:17]
	v_add_f64 v[16:17], v[26:27], v[10:11]
	v_fma_f64 v[6:7], v[8:9], v[14:15], v[6:7]
	ds_read_b128 v[12:15], v50 offset:336
	ds_read_b128 v[8:11], v52 offset:10752
	s_waitcnt lgkmcnt(0)
	v_mul_f64 v[24:25], v[12:13], v[10:11]
	v_add_f64 v[18:19], v[6:7], v[18:19]
	v_mul_f64 v[6:7], v[14:15], v[10:11]
	v_fma_f64 v[24:25], v[14:15], v[8:9], v[24:25]
	v_fma_f64 v[6:7], v[12:13], v[8:9], -v[6:7]
	v_add_f64 v[24:25], v[24:25], v[4:5]
	v_add_f64 v[0:1], v[0:1], v[6:7]
	ds_read_b128 v[4:7], v52 offset:11008
	s_waitcnt lgkmcnt(0)
	v_mul_f64 v[26:27], v[14:15], v[6:7]
	v_fma_f64 v[26:27], v[12:13], v[4:5], -v[26:27]
	v_mul_f64 v[12:13], v[12:13], v[6:7]
	v_add_f64 v[56:57], v[30:31], v[26:27]
	v_fma_f64 v[12:13], v[14:15], v[4:5], v[12:13]
	v_add_f64 v[58:59], v[12:13], v[32:33]
	ds_read_b128 v[12:15], v50 offset:8528
	s_waitcnt lgkmcnt(0)
	v_mul_f64 v[26:27], v[14:15], v[10:11]
	v_mul_f64 v[10:11], v[12:13], v[10:11]
	v_fma_f64 v[26:27], v[12:13], v[8:9], -v[26:27]
	v_fma_f64 v[8:9], v[14:15], v[8:9], v[10:11]
	v_add_f64 v[20:21], v[20:21], v[26:27]
	v_add_f64 v[22:23], v[8:9], v[22:23]
	v_mul_f64 v[8:9], v[14:15], v[6:7]
	v_mul_f64 v[6:7], v[12:13], v[6:7]
	v_fma_f64 v[8:9], v[12:13], v[4:5], -v[8:9]
	v_fma_f64 v[4:5], v[14:15], v[4:5], v[6:7]
	v_add_f64 v[26:27], v[16:17], v[8:9]
	v_add_f64 v[30:31], v[4:5], v[18:19]
	ds_read_b128 v[4:7], v50 offset:352
	ds_read_b128 v[10:13], v52 offset:11264
	;; [unrolled: 1-line block ×3, first 2 shown]
	s_waitcnt lgkmcnt(1)
	v_mul_f64 v[8:9], v[6:7], v[12:13]
	v_mul_f64 v[14:15], v[4:5], v[12:13]
	v_fma_f64 v[8:9], v[4:5], v[10:11], -v[8:9]
	v_fma_f64 v[14:15], v[6:7], v[10:11], v[14:15]
	v_add_f64 v[0:1], v[0:1], v[8:9]
	v_add_f64 v[8:9], v[14:15], v[24:25]
	s_waitcnt lgkmcnt(0)
	v_mul_f64 v[14:15], v[6:7], v[18:19]
	v_fma_f64 v[14:15], v[4:5], v[16:17], -v[14:15]
	v_mul_f64 v[4:5], v[4:5], v[18:19]
	v_add_f64 v[36:37], v[56:57], v[14:15]
	v_fma_f64 v[4:5], v[6:7], v[16:17], v[4:5]
	v_add_f64 v[38:39], v[4:5], v[58:59]
	ds_read_b128 v[4:7], v50 offset:8544
	s_waitcnt lgkmcnt(0)
	v_mul_f64 v[14:15], v[6:7], v[12:13]
	v_mul_f64 v[12:13], v[4:5], v[12:13]
	v_fma_f64 v[14:15], v[4:5], v[10:11], -v[14:15]
	v_fma_f64 v[10:11], v[6:7], v[10:11], v[12:13]
	v_add_f64 v[12:13], v[20:21], v[14:15]
	v_add_f64 v[14:15], v[10:11], v[22:23]
	v_mul_f64 v[10:11], v[6:7], v[18:19]
	v_fma_f64 v[10:11], v[4:5], v[16:17], -v[10:11]
	v_mul_f64 v[4:5], v[4:5], v[18:19]
	v_fma_f64 v[4:5], v[6:7], v[16:17], v[4:5]
	v_add_f64 v[16:17], v[26:27], v[10:11]
	v_add_f64 v[18:19], v[4:5], v[30:31]
	ds_read_b128 v[20:23], v50 offset:368
	ds_read_b128 v[4:7], v52 offset:11776
	;; [unrolled: 1-line block ×3, first 2 shown]
	s_waitcnt lgkmcnt(1)
	v_mul_f64 v[10:11], v[22:23], v[6:7]
	v_mul_f64 v[24:25], v[20:21], v[6:7]
	v_fma_f64 v[10:11], v[20:21], v[4:5], -v[10:11]
	v_fma_f64 v[26:27], v[22:23], v[4:5], v[24:25]
	v_add_f64 v[24:25], v[0:1], v[10:11]
	v_add_f64 v[32:33], v[26:27], v[8:9]
	ds_read_b128 v[8:11], v52 offset:12032
	s_waitcnt lgkmcnt(0)
	v_mul_f64 v[0:1], v[22:23], v[10:11]
	v_fma_f64 v[0:1], v[20:21], v[8:9], -v[0:1]
	v_mul_f64 v[20:21], v[20:21], v[10:11]
	v_fma_f64 v[22:23], v[22:23], v[8:9], v[20:21]
	v_add_f64 v[20:21], v[36:37], v[0:1]
	v_mul_f64 v[0:1], v[48:49], v[6:7]
	v_mul_f64 v[6:7], v[46:47], v[6:7]
	v_add_f64 v[22:23], v[22:23], v[38:39]
	v_fma_f64 v[0:1], v[46:47], v[4:5], -v[0:1]
	v_fma_f64 v[4:5], v[48:49], v[4:5], v[6:7]
	v_add_f64 v[26:27], v[12:13], v[0:1]
	v_add_f64 v[14:15], v[4:5], v[14:15]
	v_mul_f64 v[4:5], v[46:47], v[10:11]
	v_mul_f64 v[0:1], v[48:49], v[10:11]
	v_fma_f64 v[4:5], v[48:49], v[8:9], v[4:5]
	v_fma_f64 v[0:1], v[46:47], v[8:9], -v[0:1]
	ds_read_b128 v[6:9], v50 offset:384
	ds_read_b128 v[10:13], v52 offset:12288
	v_add_f64 v[38:39], v[4:5], v[18:19]
	s_waitcnt lgkmcnt(0)
	v_mul_f64 v[4:5], v[6:7], v[12:13]
	v_add_f64 v[36:37], v[16:17], v[0:1]
	v_mul_f64 v[0:1], v[8:9], v[12:13]
	v_fma_f64 v[4:5], v[8:9], v[10:11], v[4:5]
	v_fma_f64 v[0:1], v[6:7], v[10:11], -v[0:1]
	v_add_f64 v[4:5], v[4:5], v[32:33]
	ds_read_b128 v[30:33], v52 offset:12544
	v_add_f64 v[0:1], v[24:25], v[0:1]
	s_waitcnt lgkmcnt(0)
	v_mul_f64 v[16:17], v[8:9], v[32:33]
	v_fma_f64 v[16:17], v[6:7], v[30:31], -v[16:17]
	v_mul_f64 v[6:7], v[6:7], v[32:33]
	v_add_f64 v[44:45], v[20:21], v[16:17]
	v_fma_f64 v[6:7], v[8:9], v[30:31], v[6:7]
	v_add_f64 v[46:47], v[6:7], v[22:23]
	ds_read_b128 v[6:9], v50 offset:8576
	s_waitcnt lgkmcnt(0)
	v_mul_f64 v[16:17], v[8:9], v[12:13]
	v_mul_f64 v[12:13], v[6:7], v[12:13]
	v_fma_f64 v[16:17], v[6:7], v[10:11], -v[16:17]
	v_fma_f64 v[10:11], v[8:9], v[10:11], v[12:13]
	v_add_f64 v[16:17], v[26:27], v[16:17]
	v_add_f64 v[18:19], v[10:11], v[14:15]
	v_mul_f64 v[10:11], v[8:9], v[32:33]
	v_fma_f64 v[10:11], v[6:7], v[30:31], -v[10:11]
	v_mul_f64 v[6:7], v[6:7], v[32:33]
	v_add_f64 v[12:13], v[36:37], v[10:11]
	v_fma_f64 v[6:7], v[8:9], v[30:31], v[6:7]
	ds_read_b128 v[20:23], v50 offset:400
	ds_read_b128 v[8:11], v52 offset:12800
	s_waitcnt lgkmcnt(0)
	v_mul_f64 v[24:25], v[20:21], v[10:11]
	v_add_f64 v[14:15], v[6:7], v[38:39]
	v_mul_f64 v[6:7], v[22:23], v[10:11]
	v_fma_f64 v[26:27], v[22:23], v[8:9], v[24:25]
	v_fma_f64 v[6:7], v[20:21], v[8:9], -v[6:7]
	v_add_f64 v[32:33], v[26:27], v[4:5]
	v_add_f64 v[24:25], v[0:1], v[6:7]
	ds_read_b128 v[4:7], v52 offset:13056
	s_waitcnt lgkmcnt(0)
	v_mul_f64 v[0:1], v[22:23], v[6:7]
	v_fma_f64 v[0:1], v[20:21], v[4:5], -v[0:1]
	v_mul_f64 v[20:21], v[20:21], v[6:7]
	v_fma_f64 v[22:23], v[22:23], v[4:5], v[20:21]
	v_add_f64 v[20:21], v[44:45], v[0:1]
	v_add_f64 v[22:23], v[22:23], v[46:47]
	ds_read_b128 v[46:49], v50 offset:8592
	s_waitcnt lgkmcnt(0)
	v_mul_f64 v[0:1], v[48:49], v[10:11]
	v_mul_f64 v[10:11], v[46:47], v[10:11]
	v_fma_f64 v[0:1], v[46:47], v[8:9], -v[0:1]
	v_fma_f64 v[8:9], v[48:49], v[8:9], v[10:11]
	v_add_f64 v[26:27], v[16:17], v[0:1]
	v_mul_f64 v[0:1], v[48:49], v[6:7]
	v_mul_f64 v[6:7], v[46:47], v[6:7]
	v_add_f64 v[18:19], v[8:9], v[18:19]
	v_fma_f64 v[0:1], v[46:47], v[4:5], -v[0:1]
	v_fma_f64 v[4:5], v[48:49], v[4:5], v[6:7]
	v_add_f64 v[30:31], v[12:13], v[0:1]
	ds_read_b128 v[6:9], v50 offset:416
	ds_read_b128 v[10:13], v52 offset:13312
	v_add_f64 v[36:37], v[4:5], v[14:15]
	ds_read_b128 v[14:17], v52 offset:13568
	s_waitcnt lgkmcnt(1)
	v_mul_f64 v[0:1], v[8:9], v[12:13]
	v_mul_f64 v[4:5], v[6:7], v[12:13]
	v_fma_f64 v[0:1], v[6:7], v[10:11], -v[0:1]
	v_fma_f64 v[4:5], v[8:9], v[10:11], v[4:5]
	v_add_f64 v[0:1], v[24:25], v[0:1]
	s_waitcnt lgkmcnt(0)
	v_mul_f64 v[24:25], v[8:9], v[16:17]
	v_add_f64 v[4:5], v[4:5], v[32:33]
	v_fma_f64 v[24:25], v[6:7], v[14:15], -v[24:25]
	v_mul_f64 v[6:7], v[6:7], v[16:17]
	v_add_f64 v[38:39], v[20:21], v[24:25]
	v_fma_f64 v[6:7], v[8:9], v[14:15], v[6:7]
	v_add_f64 v[44:45], v[6:7], v[22:23]
	ds_read_b128 v[6:9], v50 offset:8608
	s_waitcnt lgkmcnt(0)
	v_mul_f64 v[20:21], v[8:9], v[12:13]
	v_mul_f64 v[12:13], v[6:7], v[12:13]
	v_fma_f64 v[20:21], v[6:7], v[10:11], -v[20:21]
	v_fma_f64 v[10:11], v[8:9], v[10:11], v[12:13]
	v_add_f64 v[20:21], v[26:27], v[20:21]
	v_add_f64 v[22:23], v[10:11], v[18:19]
	v_mul_f64 v[10:11], v[8:9], v[16:17]
	v_fma_f64 v[10:11], v[6:7], v[14:15], -v[10:11]
	v_mul_f64 v[6:7], v[6:7], v[16:17]
	v_add_f64 v[16:17], v[30:31], v[10:11]
	v_fma_f64 v[6:7], v[8:9], v[14:15], v[6:7]
	ds_read_b128 v[12:15], v50 offset:432
	ds_read_b128 v[8:11], v52 offset:13824
	s_waitcnt lgkmcnt(0)
	v_mul_f64 v[24:25], v[12:13], v[10:11]
	v_add_f64 v[18:19], v[6:7], v[36:37]
	v_mul_f64 v[6:7], v[14:15], v[10:11]
	v_fma_f64 v[26:27], v[14:15], v[8:9], v[24:25]
	v_fma_f64 v[6:7], v[12:13], v[8:9], -v[6:7]
	v_add_f64 v[32:33], v[26:27], v[4:5]
	v_add_f64 v[24:25], v[0:1], v[6:7]
	ds_read_b128 v[4:7], v52 offset:14080
	s_waitcnt lgkmcnt(0)
	v_mul_f64 v[0:1], v[14:15], v[6:7]
	v_fma_f64 v[0:1], v[12:13], v[4:5], -v[0:1]
	v_mul_f64 v[12:13], v[12:13], v[6:7]
	v_add_f64 v[56:57], v[38:39], v[0:1]
	v_fma_f64 v[12:13], v[14:15], v[4:5], v[12:13]
	v_add_f64 v[58:59], v[12:13], v[44:45]
	ds_read_b128 v[12:15], v50 offset:8624
	s_waitcnt lgkmcnt(0)
	v_mul_f64 v[0:1], v[14:15], v[10:11]
	v_mul_f64 v[10:11], v[12:13], v[10:11]
	v_fma_f64 v[0:1], v[12:13], v[8:9], -v[0:1]
	v_fma_f64 v[8:9], v[14:15], v[8:9], v[10:11]
	v_add_f64 v[20:21], v[20:21], v[0:1]
	v_mul_f64 v[0:1], v[14:15], v[6:7]
	v_mul_f64 v[6:7], v[12:13], v[6:7]
	v_add_f64 v[22:23], v[8:9], v[22:23]
	v_fma_f64 v[0:1], v[12:13], v[4:5], -v[0:1]
	v_fma_f64 v[4:5], v[14:15], v[4:5], v[6:7]
	ds_read_b128 v[6:9], v50 offset:448
	ds_read_b128 v[10:13], v52 offset:14336
	v_add_f64 v[26:27], v[16:17], v[0:1]
	s_waitcnt lgkmcnt(0)
	v_mul_f64 v[0:1], v[8:9], v[12:13]
	ds_read_b128 v[14:17], v52 offset:14592
	v_add_f64 v[18:19], v[4:5], v[18:19]
	v_mul_f64 v[4:5], v[6:7], v[12:13]
	v_fma_f64 v[0:1], v[6:7], v[10:11], -v[0:1]
	v_fma_f64 v[4:5], v[8:9], v[10:11], v[4:5]
	v_add_f64 v[0:1], v[24:25], v[0:1]
	s_waitcnt lgkmcnt(0)
	v_mul_f64 v[24:25], v[8:9], v[16:17]
	v_add_f64 v[4:5], v[4:5], v[32:33]
	v_fma_f64 v[24:25], v[6:7], v[14:15], -v[24:25]
	v_mul_f64 v[6:7], v[6:7], v[16:17]
	v_add_f64 v[30:31], v[56:57], v[24:25]
	v_fma_f64 v[6:7], v[8:9], v[14:15], v[6:7]
	v_add_f64 v[36:37], v[6:7], v[58:59]
	ds_read_b128 v[6:9], v50 offset:8640
	s_waitcnt lgkmcnt(0)
	v_mul_f64 v[24:25], v[8:9], v[12:13]
	v_mul_f64 v[12:13], v[6:7], v[12:13]
	v_fma_f64 v[24:25], v[6:7], v[10:11], -v[24:25]
	v_fma_f64 v[10:11], v[8:9], v[10:11], v[12:13]
	v_add_f64 v[20:21], v[20:21], v[24:25]
	v_add_f64 v[22:23], v[10:11], v[22:23]
	v_mul_f64 v[10:11], v[8:9], v[16:17]
	v_fma_f64 v[10:11], v[6:7], v[14:15], -v[10:11]
	v_mul_f64 v[6:7], v[6:7], v[16:17]
	v_add_f64 v[16:17], v[26:27], v[10:11]
	v_fma_f64 v[6:7], v[8:9], v[14:15], v[6:7]
	ds_read_b128 v[12:15], v50 offset:464
	ds_read_b128 v[8:11], v52 offset:14848
	s_waitcnt lgkmcnt(0)
	v_mul_f64 v[24:25], v[12:13], v[10:11]
	v_add_f64 v[18:19], v[6:7], v[18:19]
	v_mul_f64 v[6:7], v[14:15], v[10:11]
	v_fma_f64 v[26:27], v[14:15], v[8:9], v[24:25]
	v_fma_f64 v[6:7], v[12:13], v[8:9], -v[6:7]
	v_add_f64 v[32:33], v[26:27], v[4:5]
	v_add_f64 v[24:25], v[0:1], v[6:7]
	ds_read_b128 v[4:7], v52 offset:15104
	s_waitcnt lgkmcnt(0)
	v_mul_f64 v[0:1], v[14:15], v[6:7]
	v_fma_f64 v[0:1], v[12:13], v[4:5], -v[0:1]
	v_mul_f64 v[12:13], v[12:13], v[6:7]
	v_add_f64 v[56:57], v[30:31], v[0:1]
	v_fma_f64 v[12:13], v[14:15], v[4:5], v[12:13]
	v_add_f64 v[58:59], v[12:13], v[36:37]
	ds_read_b128 v[12:15], v50 offset:8656
	s_waitcnt lgkmcnt(0)
	v_mul_f64 v[0:1], v[14:15], v[10:11]
	v_mul_f64 v[10:11], v[12:13], v[10:11]
	v_fma_f64 v[0:1], v[12:13], v[8:9], -v[0:1]
	v_fma_f64 v[8:9], v[14:15], v[8:9], v[10:11]
	v_add_f64 v[20:21], v[20:21], v[0:1]
	v_mul_f64 v[0:1], v[14:15], v[6:7]
	v_mul_f64 v[6:7], v[12:13], v[6:7]
	v_add_f64 v[22:23], v[8:9], v[22:23]
	v_fma_f64 v[0:1], v[12:13], v[4:5], -v[0:1]
	v_fma_f64 v[4:5], v[14:15], v[4:5], v[6:7]
	ds_read_b128 v[6:9], v50 offset:480
	ds_read_b128 v[10:13], v52 offset:15360
	v_add_f64 v[26:27], v[16:17], v[0:1]
	s_waitcnt lgkmcnt(0)
	v_mul_f64 v[0:1], v[8:9], v[12:13]
	ds_read_b128 v[14:17], v52 offset:15616
	v_add_f64 v[18:19], v[4:5], v[18:19]
	v_mul_f64 v[4:5], v[6:7], v[12:13]
	v_fma_f64 v[0:1], v[6:7], v[10:11], -v[0:1]
	v_fma_f64 v[4:5], v[8:9], v[10:11], v[4:5]
	v_add_f64 v[0:1], v[24:25], v[0:1]
	s_waitcnt lgkmcnt(0)
	v_mul_f64 v[24:25], v[8:9], v[16:17]
	v_add_f64 v[4:5], v[4:5], v[32:33]
	v_fma_f64 v[24:25], v[6:7], v[14:15], -v[24:25]
	v_mul_f64 v[6:7], v[6:7], v[16:17]
	v_add_f64 v[24:25], v[56:57], v[24:25]
	v_fma_f64 v[6:7], v[8:9], v[14:15], v[6:7]
	v_add_f64 v[30:31], v[6:7], v[58:59]
	ds_read_b128 v[6:9], v50 offset:8672
	s_waitcnt lgkmcnt(0)
	v_mul_f64 v[32:33], v[8:9], v[12:13]
	v_mul_f64 v[12:13], v[6:7], v[12:13]
	v_fma_f64 v[32:33], v[6:7], v[10:11], -v[32:33]
	v_fma_f64 v[10:11], v[8:9], v[10:11], v[12:13]
	v_add_f64 v[60:61], v[20:21], v[32:33]
	v_add_f64 v[62:63], v[10:11], v[22:23]
	v_mul_f64 v[10:11], v[8:9], v[16:17]
	v_fma_f64 v[10:11], v[6:7], v[14:15], -v[10:11]
	v_mul_f64 v[6:7], v[6:7], v[16:17]
	v_add_f64 v[20:21], v[26:27], v[10:11]
	v_fma_f64 v[6:7], v[8:9], v[14:15], v[6:7]
	ds_read_b128 v[12:15], v50 offset:496
	ds_read_b128 v[8:11], v52 offset:15872
	s_waitcnt lgkmcnt(0)
	v_mul_f64 v[16:17], v[12:13], v[10:11]
	v_add_f64 v[22:23], v[6:7], v[18:19]
	v_mul_f64 v[6:7], v[14:15], v[10:11]
	v_fma_f64 v[16:17], v[14:15], v[8:9], v[16:17]
	v_fma_f64 v[6:7], v[12:13], v[8:9], -v[6:7]
	v_add_f64 v[58:59], v[16:17], v[4:5]
	v_add_f64 v[56:57], v[0:1], v[6:7]
	ds_read_b128 v[4:7], v52 offset:16128
	s_waitcnt lgkmcnt(0)
	v_mul_f64 v[0:1], v[14:15], v[6:7]
	v_fma_f64 v[0:1], v[12:13], v[4:5], -v[0:1]
	v_mul_f64 v[12:13], v[12:13], v[6:7]
	v_add_f64 v[16:17], v[24:25], v[0:1]
	v_fma_f64 v[12:13], v[14:15], v[4:5], v[12:13]
	v_add_f64 v[18:19], v[12:13], v[30:31]
	ds_read_b128 v[12:15], v50 offset:8688
	s_waitcnt lgkmcnt(0)
	s_barrier
	v_mul_f64 v[0:1], v[14:15], v[10:11]
	v_mul_f64 v[10:11], v[12:13], v[10:11]
	v_fma_f64 v[0:1], v[12:13], v[8:9], -v[0:1]
	v_fma_f64 v[8:9], v[14:15], v[8:9], v[10:11]
	v_add_f64 v[60:61], v[60:61], v[0:1]
	v_mul_f64 v[0:1], v[14:15], v[6:7]
	v_mul_f64 v[6:7], v[12:13], v[6:7]
	v_add_f64 v[62:63], v[8:9], v[62:63]
	v_fma_f64 v[0:1], v[12:13], v[4:5], -v[0:1]
	v_fma_f64 v[4:5], v[14:15], v[4:5], v[6:7]
	v_add_f64 v[14:15], v[20:21], v[0:1]
	v_add_f64 v[12:13], v[4:5], v[22:23]
	v_mov_b32_e32 v0, s41
	v_addc_co_u32_e32 v55, vcc, v55, v0, vcc
	v_add_co_u32_e32 v40, vcc, 0x200, v40
	v_addc_co_u32_e32 v41, vcc, 0, v41, vcc
	v_add_co_u32_e32 v42, vcc, 0x200, v42
	v_addc_co_u32_e32 v43, vcc, 0, v43, vcc
	s_cbranch_scc1 .LBB120_56
.LBB120_7:                              ;   Parent Loop BB120_4 Depth=1
                                        ; =>  This Inner Loop Header: Depth=2
	buffer_load_dword v4, off, s[64:67], 0 offset:8 ; 4-byte Folded Reload
	buffer_load_dword v5, off, s[64:67], 0 offset:12 ; 4-byte Folded Reload
	v_mov_b32_e32 v1, s31
	s_waitcnt vmcnt(1)
	v_add_co_u32_e32 v0, vcc, s30, v4
	s_waitcnt vmcnt(0)
	v_addc_co_u32_e32 v1, vcc, v5, v1, vcc
	buffer_load_dword v4, off, s[64:67], 0 offset:24 ; 4-byte Folded Reload
	buffer_load_dword v5, off, s[64:67], 0 offset:28 ; 4-byte Folded Reload
	s_waitcnt vmcnt(0)
	v_cmp_eq_u64_e32 vcc, s[30:31], v[4:5]
	buffer_load_dword v4, off, s[64:67], 0  ; 4-byte Folded Reload
	buffer_load_dword v5, off, s[64:67], 0 offset:4 ; 4-byte Folded Reload
	s_and_b64 s[56:57], s[34:35], vcc
	v_cmp_lt_i64_e32 vcc, v[0:1], v[34:35]
	s_or_b64 s[14:15], s[8:9], vcc
	s_waitcnt vmcnt(1)
	v_add_co_u32_e64 v6, s[12:13], v42, v4
	s_waitcnt vmcnt(0)
	v_addc_co_u32_e64 v7, s[12:13], v43, v5, s[12:13]
	v_cmp_le_i64_e64 s[12:13], s[50:51], v[0:1]
	s_or_b64 s[14:15], s[12:13], s[14:15]
	s_nor_b64 s[14:15], s[14:15], s[56:57]
	s_and_saveexec_b64 s[18:19], s[14:15]
	s_xor_b64 s[14:15], exec, s[18:19]
	s_cbranch_execz .LBB120_9
; %bb.8:                                ;   in Loop: Header=BB120_7 Depth=2
	global_load_dwordx4 v[8:11], v[6:7], off offset:-256
	s_waitcnt vmcnt(0)
	ds_write2_b64 v51, v[8:9], v[10:11] offset1:1
.LBB120_9:                              ;   in Loop: Header=BB120_7 Depth=2
	s_or_saveexec_b64 s[14:15], s[14:15]
	s_xor_b64 s[38:39], s[56:57], -1
	s_xor_b64 exec, exec, s[14:15]
	s_cbranch_execz .LBB120_15
; %bb.10:                               ;   in Loop: Header=BB120_7 Depth=2
	s_and_saveexec_b64 s[18:19], s[38:39]
	s_xor_b64 s[18:19], exec, s[18:19]
; %bb.11:                               ;   in Loop: Header=BB120_7 Depth=2
	v_mov_b32_e32 v8, v2
	v_mov_b32_e32 v9, v2
	;; [unrolled: 1-line block ×4, first 2 shown]
	ds_write_b128 v51, v[8:11]
; %bb.12:                               ;   in Loop: Header=BB120_7 Depth=2
	s_andn2_saveexec_b64 s[18:19], s[18:19]
; %bb.13:                               ;   in Loop: Header=BB120_7 Depth=2
	v_mov_b32_e32 v4, v2
	v_mov_b32_e32 v5, v2
	ds_write_b128 v51, v[2:5]
; %bb.14:                               ;   in Loop: Header=BB120_7 Depth=2
	s_or_b64 exec, exec, s[18:19]
.LBB120_15:                             ;   in Loop: Header=BB120_7 Depth=2
	s_or_b64 exec, exec, s[14:15]
	buffer_load_dword v4, off, s[64:67], 0 offset:56 ; 4-byte Folded Reload
	buffer_load_dword v5, off, s[64:67], 0 offset:60 ; 4-byte Folded Reload
	s_waitcnt vmcnt(0)
	v_cmp_eq_u64_e64 s[14:15], s[30:31], v[4:5]
	v_add_co_u32_e64 v4, s[18:19], 16, v0
	v_addc_co_u32_e64 v5, s[18:19], 0, v1, s[18:19]
	v_cmp_lt_i64_e64 s[18:19], v[4:5], v[34:35]
	s_and_b64 s[20:21], s[34:35], s[14:15]
	v_cmp_le_i64_e64 s[14:15], s[50:51], v[4:5]
	s_or_b64 s[18:19], s[8:9], s[18:19]
	s_or_b64 s[18:19], s[14:15], s[18:19]
	s_nor_b64 s[18:19], s[18:19], s[20:21]
	s_and_saveexec_b64 s[62:63], s[18:19]
	s_xor_b64 s[18:19], exec, s[62:63]
	s_cbranch_execz .LBB120_17
; %bb.16:                               ;   in Loop: Header=BB120_7 Depth=2
	global_load_dwordx4 v[4:7], v[6:7], off
	v_add_u32_e32 v8, 0x100, v51
	s_waitcnt vmcnt(0)
	ds_write2_b64 v8, v[4:5], v[6:7] offset1:1
.LBB120_17:                             ;   in Loop: Header=BB120_7 Depth=2
	s_andn2_saveexec_b64 s[18:19], s[18:19]
	s_cbranch_execz .LBB120_23
; %bb.18:                               ;   in Loop: Header=BB120_7 Depth=2
	s_xor_b64 s[20:21], s[20:21], -1
	s_and_saveexec_b64 s[62:63], s[20:21]
	s_xor_b64 s[20:21], exec, s[62:63]
; %bb.19:                               ;   in Loop: Header=BB120_7 Depth=2
	v_mov_b32_e32 v4, v2
	v_mov_b32_e32 v5, v2
	;; [unrolled: 1-line block ×4, first 2 shown]
	ds_write_b128 v51, v[4:7] offset:256
; %bb.20:                               ;   in Loop: Header=BB120_7 Depth=2
	s_andn2_saveexec_b64 s[20:21], s[20:21]
; %bb.21:                               ;   in Loop: Header=BB120_7 Depth=2
	v_mov_b32_e32 v4, v2
	v_mov_b32_e32 v5, v2
	ds_write_b128 v51, v[2:5] offset:256
; %bb.22:                               ;   in Loop: Header=BB120_7 Depth=2
	s_or_b64 exec, exec, s[20:21]
.LBB120_23:                             ;   in Loop: Header=BB120_7 Depth=2
	s_or_b64 exec, exec, s[18:19]
	buffer_load_dword v4, off, s[64:67], 0  ; 4-byte Folded Reload
	buffer_load_dword v5, off, s[64:67], 0 offset:4 ; 4-byte Folded Reload
	s_waitcnt vmcnt(1)
	v_add_co_u32_e64 v6, s[18:19], v40, v4
	s_waitcnt vmcnt(0)
	v_addc_co_u32_e64 v7, s[18:19], v41, v5, s[18:19]
	buffer_load_dword v4, off, s[64:67], 0 offset:48 ; 4-byte Folded Reload
	buffer_load_dword v5, off, s[64:67], 0 offset:52 ; 4-byte Folded Reload
	s_waitcnt vmcnt(0)
	v_cmp_eq_u64_e64 s[18:19], s[30:31], v[4:5]
	buffer_load_dword v4, off, s[64:67], 0 offset:40 ; 4-byte Folded Reload
	buffer_load_dword v5, off, s[64:67], 0 offset:44 ; 4-byte Folded Reload
	s_and_b64 s[18:19], s[34:35], s[18:19]
	s_waitcnt vmcnt(0)
	v_cmp_lt_i64_e64 s[20:21], v[0:1], v[4:5]
	s_or_b64 s[20:21], s[10:11], s[20:21]
	s_or_b64 s[20:21], s[20:21], s[18:19]
	s_nor_b64 s[12:13], s[12:13], s[20:21]
	s_and_saveexec_b64 s[20:21], s[12:13]
	s_xor_b64 s[12:13], exec, s[20:21]
	s_cbranch_execz .LBB120_25
; %bb.24:                               ;   in Loop: Header=BB120_7 Depth=2
	global_load_dwordx4 v[8:11], v[6:7], off offset:-256
	v_add_u32_e32 v0, 0x2000, v51
	s_waitcnt vmcnt(0)
	ds_write2_b64 v0, v[8:9], v[10:11] offset1:1
.LBB120_25:                             ;   in Loop: Header=BB120_7 Depth=2
	s_andn2_saveexec_b64 s[12:13], s[12:13]
	s_cbranch_execz .LBB120_31
; %bb.26:                               ;   in Loop: Header=BB120_7 Depth=2
	s_xor_b64 s[18:19], s[18:19], -1
	s_and_saveexec_b64 s[20:21], s[18:19]
	s_xor_b64 s[18:19], exec, s[20:21]
; %bb.27:                               ;   in Loop: Header=BB120_7 Depth=2
	v_mov_b32_e32 v8, v2
	v_mov_b32_e32 v9, v2
	;; [unrolled: 1-line block ×4, first 2 shown]
	ds_write_b128 v51, v[8:11] offset:8192
; %bb.28:                               ;   in Loop: Header=BB120_7 Depth=2
	s_andn2_saveexec_b64 s[18:19], s[18:19]
; %bb.29:                               ;   in Loop: Header=BB120_7 Depth=2
	v_mov_b32_e32 v4, v2
	v_mov_b32_e32 v5, v2
	ds_write_b128 v51, v[2:5] offset:8192
; %bb.30:                               ;   in Loop: Header=BB120_7 Depth=2
	s_or_b64 exec, exec, s[18:19]
.LBB120_31:                             ;   in Loop: Header=BB120_7 Depth=2
	s_or_b64 exec, exec, s[12:13]
	s_or_b64 s[12:13], s[10:11], vcc
	s_or_b64 s[12:13], s[14:15], s[12:13]
	s_nor_b64 s[12:13], s[12:13], s[56:57]
	s_and_saveexec_b64 s[14:15], s[12:13]
	s_xor_b64 s[12:13], exec, s[14:15]
	s_cbranch_execz .LBB120_33
; %bb.32:                               ;   in Loop: Header=BB120_7 Depth=2
	global_load_dwordx4 v[4:7], v[6:7], off
	v_add_u32_e32 v0, 0x2100, v51
	s_waitcnt vmcnt(0)
	ds_write2_b64 v0, v[4:5], v[6:7] offset1:1
.LBB120_33:                             ;   in Loop: Header=BB120_7 Depth=2
	s_andn2_saveexec_b64 s[12:13], s[12:13]
	s_cbranch_execz .LBB120_39
; %bb.34:                               ;   in Loop: Header=BB120_7 Depth=2
	s_and_saveexec_b64 s[14:15], s[38:39]
	s_xor_b64 s[14:15], exec, s[14:15]
; %bb.35:                               ;   in Loop: Header=BB120_7 Depth=2
	v_mov_b32_e32 v4, v2
	v_mov_b32_e32 v5, v2
	;; [unrolled: 1-line block ×4, first 2 shown]
	ds_write_b128 v51, v[4:7] offset:8448
; %bb.36:                               ;   in Loop: Header=BB120_7 Depth=2
	s_andn2_saveexec_b64 s[14:15], s[14:15]
; %bb.37:                               ;   in Loop: Header=BB120_7 Depth=2
	v_mov_b32_e32 v4, v2
	v_mov_b32_e32 v5, v2
	ds_write_b128 v51, v[2:5] offset:8448
; %bb.38:                               ;   in Loop: Header=BB120_7 Depth=2
	s_or_b64 exec, exec, s[14:15]
.LBB120_39:                             ;   in Loop: Header=BB120_7 Depth=2
	s_or_b64 exec, exec, s[12:13]
	buffer_load_dword v4, off, s[64:67], 0 offset:16 ; 4-byte Folded Reload
	buffer_load_dword v5, off, s[64:67], 0 offset:20 ; 4-byte Folded Reload
	v_mov_b32_e32 v1, s31
	v_add_co_u32_e32 v0, vcc, s30, v28
	v_addc_co_u32_e32 v1, vcc, v29, v1, vcc
	v_cmp_le_i64_e32 vcc, s[50:51], v[0:1]
	s_waitcnt vmcnt(1)
	v_add_co_u32_e64 v4, s[12:13], v4, v54
	s_waitcnt vmcnt(0)
	v_addc_co_u32_e64 v5, s[12:13], v5, v55, s[12:13]
	s_nor_b64 s[12:13], vcc, s[0:1]
	s_and_saveexec_b64 s[14:15], s[12:13]
	s_xor_b64 s[12:13], exec, s[14:15]
	s_cbranch_execz .LBB120_41
; %bb.40:                               ;   in Loop: Header=BB120_7 Depth=2
	global_load_dwordx4 v[6:9], v[4:5], off offset:-256
	s_waitcnt vmcnt(0)
	ds_write2_b64 v53, v[6:7], v[8:9] offset1:1
.LBB120_41:                             ;   in Loop: Header=BB120_7 Depth=2
	s_andn2_saveexec_b64 s[12:13], s[12:13]
; %bb.42:                               ;   in Loop: Header=BB120_7 Depth=2
	v_mov_b32_e32 v6, v2
	v_mov_b32_e32 v7, v2
	;; [unrolled: 1-line block ×4, first 2 shown]
	ds_write_b128 v53, v[6:9]
; %bb.43:                               ;   in Loop: Header=BB120_7 Depth=2
	s_or_b64 exec, exec, s[12:13]
	s_nor_b64 s[12:13], vcc, s[2:3]
	s_and_saveexec_b64 s[14:15], s[12:13]
	s_xor_b64 s[12:13], exec, s[14:15]
	s_cbranch_execz .LBB120_45
; %bb.44:                               ;   in Loop: Header=BB120_7 Depth=2
	global_load_dwordx4 v[4:7], v[4:5], off
	v_add_u32_e32 v8, 0x100, v53
	s_waitcnt vmcnt(0)
	ds_write2_b64 v8, v[4:5], v[6:7] offset1:1
.LBB120_45:                             ;   in Loop: Header=BB120_7 Depth=2
	s_andn2_saveexec_b64 s[12:13], s[12:13]
; %bb.46:                               ;   in Loop: Header=BB120_7 Depth=2
	v_mov_b32_e32 v4, v2
	v_mov_b32_e32 v5, v2
	;; [unrolled: 1-line block ×4, first 2 shown]
	ds_write_b128 v53, v[4:7] offset:256
; %bb.47:                               ;   in Loop: Header=BB120_7 Depth=2
	s_or_b64 exec, exec, s[12:13]
	v_cmp_le_i64_e32 vcc, s[42:43], v[0:1]
	buffer_load_dword v0, off, s[64:67], 0 offset:32 ; 4-byte Folded Reload
	buffer_load_dword v1, off, s[64:67], 0 offset:36 ; 4-byte Folded Reload
	s_waitcnt vmcnt(1)
	v_add_co_u32_e64 v0, s[12:13], v0, v54
	s_waitcnt vmcnt(0)
	v_addc_co_u32_e64 v1, s[12:13], v1, v55, s[12:13]
	s_nor_b64 s[12:13], vcc, s[0:1]
	s_and_saveexec_b64 s[14:15], s[12:13]
	s_xor_b64 s[12:13], exec, s[14:15]
	s_cbranch_execz .LBB120_49
; %bb.48:                               ;   in Loop: Header=BB120_7 Depth=2
	global_load_dwordx4 v[4:7], v[0:1], off
	v_add_u32_e32 v8, 0x2000, v53
	s_waitcnt vmcnt(0)
	ds_write2_b64 v8, v[4:5], v[6:7] offset1:1
.LBB120_49:                             ;   in Loop: Header=BB120_7 Depth=2
	s_andn2_saveexec_b64 s[12:13], s[12:13]
; %bb.50:                               ;   in Loop: Header=BB120_7 Depth=2
	v_mov_b32_e32 v4, v2
	v_mov_b32_e32 v5, v2
	;; [unrolled: 1-line block ×4, first 2 shown]
	ds_write_b128 v53, v[4:7] offset:8192
; %bb.51:                               ;   in Loop: Header=BB120_7 Depth=2
	s_or_b64 exec, exec, s[12:13]
	s_nor_b64 s[12:13], vcc, s[2:3]
	s_and_saveexec_b64 s[14:15], s[12:13]
	s_xor_b64 s[12:13], exec, s[14:15]
	s_cbranch_execz .LBB120_53
; %bb.52:                               ;   in Loop: Header=BB120_7 Depth=2
	global_load_dwordx4 v[4:7], v[0:1], off offset:256
	v_add_u32_e32 v0, 0x2100, v53
	s_waitcnt vmcnt(0)
	ds_write2_b64 v0, v[4:5], v[6:7] offset1:1
.LBB120_53:                             ;   in Loop: Header=BB120_7 Depth=2
	s_andn2_saveexec_b64 s[12:13], s[12:13]
	s_cbranch_execz .LBB120_6
; %bb.54:                               ;   in Loop: Header=BB120_7 Depth=2
	v_mov_b32_e32 v4, v2
	v_mov_b32_e32 v5, v2
	;; [unrolled: 1-line block ×4, first 2 shown]
	ds_write_b128 v53, v[4:7] offset:8448
	s_branch .LBB120_6
.LBB120_55:                             ;   in Loop: Header=BB120_4 Depth=1
	v_mov_b32_e32 v56, 0
	v_mov_b32_e32 v58, 0
	;; [unrolled: 1-line block ×16, first 2 shown]
.LBB120_56:                             ;   in Loop: Header=BB120_4 Depth=1
	v_mul_lo_u32 v4, s53, v34
	v_mul_lo_u32 v5, s52, v35
	v_mad_u64_u32 v[0:1], s[8:9], s52, v34, 0
	v_cmp_gt_i32_e32 vcc, s50, v34
	v_add3_u32 v1, v1, v5, v4
	v_lshlrev_b64 v[0:1], 4, v[0:1]
	v_mov_b32_e32 v4, s60
	v_add_co_u32_e64 v0, s[8:9], s59, v0
	v_addc_co_u32_e64 v1, s[8:9], v4, v1, s[8:9]
	s_and_b64 s[8:9], s[4:5], vcc
	s_and_saveexec_b64 s[10:11], s[8:9]
	s_cbranch_execz .LBB120_58
; %bb.57:                               ;   in Loop: Header=BB120_4 Depth=1
	buffer_load_dword v4, off, s[64:67], 0 offset:76 ; 4-byte Folded Reload
	buffer_load_dword v5, off, s[64:67], 0 offset:80 ; 4-byte Folded Reload
	v_mul_f64 v[10:11], s[46:47], v[58:59]
	v_mul_f64 v[20:21], s[44:45], v[58:59]
	v_fma_f64 v[10:11], s[44:45], v[56:57], -v[10:11]
	v_fma_f64 v[20:21], s[46:47], v[56:57], v[20:21]
	s_waitcnt vmcnt(1)
	v_add_co_u32_e64 v8, s[8:9], v0, v4
	s_waitcnt vmcnt(0)
	v_addc_co_u32_e64 v9, s[8:9], v1, v5, s[8:9]
	global_load_dwordx4 v[4:7], v[8:9], off
	s_waitcnt vmcnt(0)
	v_add_f64 v[4:5], v[4:5], v[10:11]
	v_add_f64 v[6:7], v[20:21], v[6:7]
	global_store_dwordx4 v[8:9], v[4:7], off
.LBB120_58:                             ;   in Loop: Header=BB120_4 Depth=1
	s_or_b64 exec, exec, s[10:11]
	s_and_b64 s[10:11], s[16:17], vcc
	s_and_saveexec_b64 s[8:9], s[10:11]
	s_cbranch_execz .LBB120_60
; %bb.59:                               ;   in Loop: Header=BB120_4 Depth=1
	buffer_load_dword v4, off, s[64:67], 0 offset:68 ; 4-byte Folded Reload
	buffer_load_dword v5, off, s[64:67], 0 offset:72 ; 4-byte Folded Reload
	v_mul_f64 v[8:9], s[46:47], v[18:19]
	v_mul_f64 v[10:11], s[44:45], v[18:19]
	v_fma_f64 v[8:9], s[44:45], v[16:17], -v[8:9]
	v_fma_f64 v[10:11], s[46:47], v[16:17], v[10:11]
	s_waitcnt vmcnt(0)
	v_lshlrev_b64 v[4:5], 4, v[4:5]
	v_add_co_u32_e32 v0, vcc, v0, v4
	v_addc_co_u32_e32 v1, vcc, v1, v5, vcc
	global_load_dwordx4 v[4:7], v[0:1], off
	s_waitcnt vmcnt(0)
	v_add_f64 v[4:5], v[4:5], v[8:9]
	v_add_f64 v[6:7], v[10:11], v[6:7]
	global_store_dwordx4 v[0:1], v[4:7], off
.LBB120_60:                             ;   in Loop: Header=BB120_4 Depth=1
	s_or_b64 exec, exec, s[8:9]
	v_add_u32_e32 v4, 16, v34
	v_ashrrev_i32_e32 v0, 31, v4
	v_mul_lo_u32 v5, s52, v0
	v_mul_lo_u32 v6, s53, v4
	v_mad_u64_u32 v[0:1], s[8:9], s52, v4, 0
	v_cmp_gt_i32_e32 vcc, s50, v4
	v_mov_b32_e32 v4, s60
	v_add3_u32 v1, v1, v5, v6
	v_lshlrev_b64 v[0:1], 4, v[0:1]
	v_add_co_u32_e64 v0, s[8:9], s59, v0
	v_addc_co_u32_e64 v1, s[8:9], v4, v1, s[8:9]
	s_and_b64 s[8:9], s[4:5], vcc
	s_mov_b64 s[10:11], exec
	buffer_load_dword v18, off, s[64:67], 0 offset:8 ; 4-byte Folded Reload
	buffer_load_dword v19, off, s[64:67], 0 offset:12 ; 4-byte Folded Reload
	s_and_b64 s[8:9], s[10:11], s[8:9]
	s_mov_b64 exec, s[8:9]
	s_cbranch_execz .LBB120_62
; %bb.61:                               ;   in Loop: Header=BB120_4 Depth=1
	buffer_load_dword v4, off, s[64:67], 0 offset:76 ; 4-byte Folded Reload
	buffer_load_dword v5, off, s[64:67], 0 offset:80 ; 4-byte Folded Reload
	v_mul_f64 v[10:11], s[46:47], v[62:63]
	v_mul_f64 v[16:17], s[44:45], v[62:63]
	v_fma_f64 v[10:11], s[44:45], v[60:61], -v[10:11]
	v_fma_f64 v[16:17], s[46:47], v[60:61], v[16:17]
	s_waitcnt vmcnt(1)
	v_add_co_u32_e64 v8, s[8:9], v0, v4
	s_waitcnt vmcnt(0)
	v_addc_co_u32_e64 v9, s[8:9], v1, v5, s[8:9]
	global_load_dwordx4 v[4:7], v[8:9], off
	s_waitcnt vmcnt(0)
	v_add_f64 v[4:5], v[4:5], v[10:11]
	v_add_f64 v[6:7], v[16:17], v[6:7]
	global_store_dwordx4 v[8:9], v[4:7], off
.LBB120_62:                             ;   in Loop: Header=BB120_4 Depth=1
	s_or_b64 exec, exec, s[10:11]
	s_and_b64 s[10:11], s[16:17], vcc
	s_and_saveexec_b64 s[8:9], s[10:11]
	s_cbranch_execz .LBB120_3
; %bb.63:                               ;   in Loop: Header=BB120_4 Depth=1
	buffer_load_dword v4, off, s[64:67], 0 offset:68 ; 4-byte Folded Reload
	buffer_load_dword v5, off, s[64:67], 0 offset:72 ; 4-byte Folded Reload
	v_mul_f64 v[8:9], s[46:47], v[12:13]
	v_mul_f64 v[10:11], s[44:45], v[12:13]
	v_fma_f64 v[8:9], s[44:45], v[14:15], -v[8:9]
	v_fma_f64 v[10:11], s[46:47], v[14:15], v[10:11]
	s_waitcnt vmcnt(0)
	v_lshlrev_b64 v[4:5], 4, v[4:5]
	v_add_co_u32_e32 v0, vcc, v0, v4
	v_addc_co_u32_e32 v1, vcc, v1, v5, vcc
	global_load_dwordx4 v[4:7], v[0:1], off
	s_waitcnt vmcnt(0)
	v_add_f64 v[4:5], v[4:5], v[8:9]
	v_add_f64 v[6:7], v[10:11], v[6:7]
	global_store_dwordx4 v[0:1], v[4:7], off
	s_branch .LBB120_3
.LBB120_64:
	s_endpgm
	.section	.rodata,"a",@progbits
	.p2align	6, 0x0
	.amdhsa_kernel _ZL30rocblas_trmm_outofplace_kernelI19rocblas_complex_numIdELi32ELi2ELb0ELb0ELb0ELb0EPKS1_S2_S1_Ev17rocblas_diagonal_iiT6_lPT7_lllS7_lllPT8_llli
		.amdhsa_group_segment_fixed_size 32768
		.amdhsa_private_segment_fixed_size 96
		.amdhsa_kernarg_size 392
		.amdhsa_user_sgpr_count 6
		.amdhsa_user_sgpr_private_segment_buffer 1
		.amdhsa_user_sgpr_dispatch_ptr 0
		.amdhsa_user_sgpr_queue_ptr 0
		.amdhsa_user_sgpr_kernarg_segment_ptr 1
		.amdhsa_user_sgpr_dispatch_id 0
		.amdhsa_user_sgpr_flat_scratch_init 0
		.amdhsa_user_sgpr_private_segment_size 0
		.amdhsa_uses_dynamic_stack 0
		.amdhsa_system_sgpr_private_segment_wavefront_offset 1
		.amdhsa_system_sgpr_workgroup_id_x 1
		.amdhsa_system_sgpr_workgroup_id_y 1
		.amdhsa_system_sgpr_workgroup_id_z 1
		.amdhsa_system_sgpr_workgroup_info 0
		.amdhsa_system_vgpr_workitem_id 1
		.amdhsa_next_free_vgpr 64
		.amdhsa_next_free_sgpr 68
		.amdhsa_reserve_vcc 1
		.amdhsa_reserve_flat_scratch 0
		.amdhsa_float_round_mode_32 0
		.amdhsa_float_round_mode_16_64 0
		.amdhsa_float_denorm_mode_32 3
		.amdhsa_float_denorm_mode_16_64 3
		.amdhsa_dx10_clamp 1
		.amdhsa_ieee_mode 1
		.amdhsa_fp16_overflow 0
		.amdhsa_exception_fp_ieee_invalid_op 0
		.amdhsa_exception_fp_denorm_src 0
		.amdhsa_exception_fp_ieee_div_zero 0
		.amdhsa_exception_fp_ieee_overflow 0
		.amdhsa_exception_fp_ieee_underflow 0
		.amdhsa_exception_fp_ieee_inexact 0
		.amdhsa_exception_int_div_zero 0
	.end_amdhsa_kernel
	.section	.text._ZL30rocblas_trmm_outofplace_kernelI19rocblas_complex_numIdELi32ELi2ELb0ELb0ELb0ELb0EPKS1_S2_S1_Ev17rocblas_diagonal_iiT6_lPT7_lllS7_lllPT8_llli,"axG",@progbits,_ZL30rocblas_trmm_outofplace_kernelI19rocblas_complex_numIdELi32ELi2ELb0ELb0ELb0ELb0EPKS1_S2_S1_Ev17rocblas_diagonal_iiT6_lPT7_lllS7_lllPT8_llli,comdat
.Lfunc_end120:
	.size	_ZL30rocblas_trmm_outofplace_kernelI19rocblas_complex_numIdELi32ELi2ELb0ELb0ELb0ELb0EPKS1_S2_S1_Ev17rocblas_diagonal_iiT6_lPT7_lllS7_lllPT8_llli, .Lfunc_end120-_ZL30rocblas_trmm_outofplace_kernelI19rocblas_complex_numIdELi32ELi2ELb0ELb0ELb0ELb0EPKS1_S2_S1_Ev17rocblas_diagonal_iiT6_lPT7_lllS7_lllPT8_llli
                                        ; -- End function
	.set _ZL30rocblas_trmm_outofplace_kernelI19rocblas_complex_numIdELi32ELi2ELb0ELb0ELb0ELb0EPKS1_S2_S1_Ev17rocblas_diagonal_iiT6_lPT7_lllS7_lllPT8_llli.num_vgpr, 64
	.set _ZL30rocblas_trmm_outofplace_kernelI19rocblas_complex_numIdELi32ELi2ELb0ELb0ELb0ELb0EPKS1_S2_S1_Ev17rocblas_diagonal_iiT6_lPT7_lllS7_lllPT8_llli.num_agpr, 0
	.set _ZL30rocblas_trmm_outofplace_kernelI19rocblas_complex_numIdELi32ELi2ELb0ELb0ELb0ELb0EPKS1_S2_S1_Ev17rocblas_diagonal_iiT6_lPT7_lllS7_lllPT8_llli.numbered_sgpr, 68
	.set _ZL30rocblas_trmm_outofplace_kernelI19rocblas_complex_numIdELi32ELi2ELb0ELb0ELb0ELb0EPKS1_S2_S1_Ev17rocblas_diagonal_iiT6_lPT7_lllS7_lllPT8_llli.num_named_barrier, 0
	.set _ZL30rocblas_trmm_outofplace_kernelI19rocblas_complex_numIdELi32ELi2ELb0ELb0ELb0ELb0EPKS1_S2_S1_Ev17rocblas_diagonal_iiT6_lPT7_lllS7_lllPT8_llli.private_seg_size, 96
	.set _ZL30rocblas_trmm_outofplace_kernelI19rocblas_complex_numIdELi32ELi2ELb0ELb0ELb0ELb0EPKS1_S2_S1_Ev17rocblas_diagonal_iiT6_lPT7_lllS7_lllPT8_llli.uses_vcc, 1
	.set _ZL30rocblas_trmm_outofplace_kernelI19rocblas_complex_numIdELi32ELi2ELb0ELb0ELb0ELb0EPKS1_S2_S1_Ev17rocblas_diagonal_iiT6_lPT7_lllS7_lllPT8_llli.uses_flat_scratch, 0
	.set _ZL30rocblas_trmm_outofplace_kernelI19rocblas_complex_numIdELi32ELi2ELb0ELb0ELb0ELb0EPKS1_S2_S1_Ev17rocblas_diagonal_iiT6_lPT7_lllS7_lllPT8_llli.has_dyn_sized_stack, 0
	.set _ZL30rocblas_trmm_outofplace_kernelI19rocblas_complex_numIdELi32ELi2ELb0ELb0ELb0ELb0EPKS1_S2_S1_Ev17rocblas_diagonal_iiT6_lPT7_lllS7_lllPT8_llli.has_recursion, 0
	.set _ZL30rocblas_trmm_outofplace_kernelI19rocblas_complex_numIdELi32ELi2ELb0ELb0ELb0ELb0EPKS1_S2_S1_Ev17rocblas_diagonal_iiT6_lPT7_lllS7_lllPT8_llli.has_indirect_call, 0
	.section	.AMDGPU.csdata,"",@progbits
; Kernel info:
; codeLenInByte = 10600
; TotalNumSgprs: 72
; NumVgprs: 64
; ScratchSize: 96
; MemoryBound: 0
; FloatMode: 240
; IeeeMode: 1
; LDSByteSize: 32768 bytes/workgroup (compile time only)
; SGPRBlocks: 8
; VGPRBlocks: 15
; NumSGPRsForWavesPerEU: 72
; NumVGPRsForWavesPerEU: 64
; Occupancy: 4
; WaveLimiterHint : 0
; COMPUTE_PGM_RSRC2:SCRATCH_EN: 1
; COMPUTE_PGM_RSRC2:USER_SGPR: 6
; COMPUTE_PGM_RSRC2:TRAP_HANDLER: 0
; COMPUTE_PGM_RSRC2:TGID_X_EN: 1
; COMPUTE_PGM_RSRC2:TGID_Y_EN: 1
; COMPUTE_PGM_RSRC2:TGID_Z_EN: 1
; COMPUTE_PGM_RSRC2:TIDIG_COMP_CNT: 1
	.section	.text._ZL30rocblas_trmm_outofplace_kernelI19rocblas_complex_numIdELi32ELi2ELb0ELb0ELb0ELb0ES1_KS1_S1_Ev17rocblas_diagonal_iiT6_lPT7_lllS6_lllPT8_llli,"axG",@progbits,_ZL30rocblas_trmm_outofplace_kernelI19rocblas_complex_numIdELi32ELi2ELb0ELb0ELb0ELb0ES1_KS1_S1_Ev17rocblas_diagonal_iiT6_lPT7_lllS6_lllPT8_llli,comdat
	.globl	_ZL30rocblas_trmm_outofplace_kernelI19rocblas_complex_numIdELi32ELi2ELb0ELb0ELb0ELb0ES1_KS1_S1_Ev17rocblas_diagonal_iiT6_lPT7_lllS6_lllPT8_llli ; -- Begin function _ZL30rocblas_trmm_outofplace_kernelI19rocblas_complex_numIdELi32ELi2ELb0ELb0ELb0ELb0ES1_KS1_S1_Ev17rocblas_diagonal_iiT6_lPT7_lllS6_lllPT8_llli
	.p2align	8
	.type	_ZL30rocblas_trmm_outofplace_kernelI19rocblas_complex_numIdELi32ELi2ELb0ELb0ELb0ELb0ES1_KS1_S1_Ev17rocblas_diagonal_iiT6_lPT7_lllS6_lllPT8_llli,@function
_ZL30rocblas_trmm_outofplace_kernelI19rocblas_complex_numIdELi32ELi2ELb0ELb0ELb0ELb0ES1_KS1_S1_Ev17rocblas_diagonal_iiT6_lPT7_lllS6_lllPT8_llli: ; @_ZL30rocblas_trmm_outofplace_kernelI19rocblas_complex_numIdELi32ELi2ELb0ELb0ELb0ELb0ES1_KS1_S1_Ev17rocblas_diagonal_iiT6_lPT7_lllS6_lllPT8_llli
; %bb.0:
	s_load_dwordx4 s[28:31], s[4:5], 0x10
	s_mov_b64 s[66:67], s[2:3]
	s_mov_b64 s[64:65], s[0:1]
	s_add_u32 s64, s64, s9
	s_addc_u32 s65, s65, 0
	s_waitcnt lgkmcnt(0)
	v_cmp_eq_f64_e64 s[0:1], s[28:29], 0
	v_cmp_eq_f64_e64 s[2:3], s[30:31], 0
	buffer_store_dword v1, off, s[64:67], 0 offset:64 ; 4-byte Folded Spill
	s_and_b64 s[0:1], s[0:1], s[2:3]
	s_and_b64 vcc, exec, s[0:1]
	s_cbranch_vccnz .LBB121_64
; %bb.1:
	s_load_dwordx4 s[52:55], s[4:5], 0x0
	s_waitcnt lgkmcnt(0)
	s_add_i32 s0, s54, -1
	s_ashr_i32 s1, s0, 31
	s_lshr_b32 s1, s1, 27
	s_add_i32 s0, s0, s1
	s_ashr_i32 s33, s0, 5
	s_cmp_gt_i32 s7, s33
	s_cbranch_scc1 .LBB121_64
; %bb.2:
	s_load_dwordx8 s[20:27], s[4:5], 0x68
	s_load_dwordx16 s[36:51], s[4:5], 0x28
	buffer_load_dword v6, off, s[64:67], 0 offset:64 ; 4-byte Folded Reload
	v_lshl_add_u32 v1, s6, 5, v0
	s_load_dword s6, s[4:5], 0x94
	s_waitcnt lgkmcnt(0)
	s_mul_i32 s1, s27, s8
	s_mul_hi_u32 s2, s26, s8
	s_mul_i32 s0, s26, s8
	s_add_i32 s1, s2, s1
	s_lshl_b64 s[0:1], s[0:1], 4
	s_add_u32 s2, s20, s0
	s_addc_u32 s3, s21, s1
	s_lshl_b64 s[0:1], s[22:23], 4
	s_add_u32 s58, s2, s0
	s_addc_u32 s59, s3, s1
	s_cmpk_eq_i32 s52, 0x84
	s_cselect_b64 s[22:23], -1, 0
	s_ashr_i32 s55, s54, 31
	s_ashr_i32 s0, s53, 31
	s_lshl_b64 s[26:27], s[48:49], 9
	v_ashrrev_i32_e32 v2, 31, v1
	v_mov_b32_e32 v4, s0
	v_sub_co_u32_e32 v3, vcc, s53, v1
	s_add_u32 s34, s54, -16
	v_subb_co_u32_e32 v4, vcc, v4, v2, vcc
	s_addc_u32 s35, s55, -1
	s_lshl_b32 s9, s7, 5
	s_lshl_b32 s60, s6, 5
	v_cmp_gt_i64_e64 s[0:1], 1, v[3:4]
	v_cmp_gt_i64_e64 s[2:3], 17, v[3:4]
	v_add_u32_e32 v3, 16, v1
	v_add_u32_e32 v18, s9, v0
	s_add_u32 s52, s44, 0x100
	s_mul_hi_u32 s10, s50, s8
	v_cmp_gt_i32_e64 s[4:5], s53, v1
	v_cmp_gt_i32_e64 s[16:17], s53, v3
	s_addc_u32 s53, s45, 0
	v_ashrrev_i32_e32 v4, 31, v3
	s_lshl_b64 s[56:57], s[48:49], 4
	s_lshl_b64 s[12:13], s[46:47], 4
	v_lshlrev_b64 v[1:2], 4, v[1:2]
	buffer_store_dword v3, off, s[64:67], 0 offset:68 ; 4-byte Folded Spill
	s_nop 0
	buffer_store_dword v4, off, s[64:67], 0 offset:72 ; 4-byte Folded Spill
	v_lshlrev_b32_e32 v5, 4, v0
	v_or_b32_e32 v52, 0x4000, v5
	s_waitcnt vmcnt(2)
	v_add_u32_e32 v28, s9, v6
	s_mul_i32 s9, s51, s8
	s_add_i32 s11, s10, s9
	s_mul_i32 s10, s50, s8
	s_lshl_b64 s[10:11], s[10:11], 4
	s_add_u32 s9, s10, s12
	v_add_co_u32_e32 v3, vcc, s9, v1
	buffer_store_dword v1, off, s[64:67], 0 offset:76 ; 4-byte Folded Spill
	s_nop 0
	buffer_store_dword v2, off, s[64:67], 0 offset:80 ; 4-byte Folded Spill
	s_addc_u32 s10, s11, s13
	v_mov_b32_e32 v0, s10
	s_mul_i32 s9, s43, s8
	s_mul_hi_u32 s10, s42, s8
	s_add_i32 s9, s10, s9
	s_mul_i32 s8, s42, s8
	s_lshl_b64 s[8:9], s[8:9], 4
	s_lshl_b64 s[10:11], s[38:39], 4
	s_add_u32 s8, s8, s10
	s_addc_u32 s9, s9, s11
	s_add_u32 s8, s36, s8
	s_addc_u32 s9, s37, s9
	v_lshlrev_b32_e32 v50, 9, v6
	s_add_u32 s36, s8, 0x100
	v_add_u32_e32 v51, v50, v5
	v_add_u32_e32 v53, v52, v50
	s_addc_u32 s37, s9, 0
	s_lshl_b64 s[38:39], s[40:41], 4
	v_addc_co_u32_e32 v4, vcc, v0, v2, vcc
	buffer_store_dword v3, off, s[64:67], 0 offset:84 ; 4-byte Folded Spill
	s_nop 0
	buffer_store_dword v4, off, s[64:67], 0 offset:88 ; 4-byte Folded Spill
	v_mov_b32_e32 v2, 0
	v_mov_b32_e32 v3, 0x3ff00000
	s_branch .LBB121_4
.LBB121_3:                              ;   in Loop: Header=BB121_4 Depth=1
	s_or_b64 exec, exec, s[8:9]
	s_add_i32 s7, s6, s7
	s_waitcnt vmcnt(1)
	v_add_u32_e32 v18, s60, v18
	s_cmp_le_i32 s7, s33
	v_add_u32_e32 v28, s60, v28
	s_cbranch_scc0 .LBB121_64
.LBB121_4:                              ; =>This Loop Header: Depth=1
                                        ;     Child Loop BB121_7 Depth 2
	buffer_load_dword v0, off, s[64:67], 0 offset:64 ; 4-byte Folded Reload
	s_lshl_b32 s8, s7, 5
	s_sub_i32 s61, s54, s8
	s_waitcnt vmcnt(1)
	v_ashrrev_i32_e32 v19, 31, v18
	v_ashrrev_i32_e32 v29, 31, v28
	s_cmp_lt_i32 s61, 1
	buffer_store_dword v18, off, s[64:67], 0 offset:8 ; 4-byte Folded Spill
	s_nop 0
	buffer_store_dword v19, off, s[64:67], 0 offset:12 ; 4-byte Folded Spill
	s_waitcnt vmcnt(2)
	v_add_u32_e32 v34, s8, v0
	v_ashrrev_i32_e32 v35, 31, v34
	s_cbranch_scc1 .LBB121_55
; %bb.5:                                ;   in Loop: Header=BB121_4 Depth=1
	v_mov_b32_e32 v0, s52
	v_mov_b32_e32 v1, s53
	v_mad_u64_u32 v[4:5], s[8:9], s56, v28, v[0:1]
	v_mul_lo_u32 v0, s56, v29
	v_mul_lo_u32 v1, s57, v28
	v_sub_co_u32_e32 v11, vcc, v28, v18
	v_subb_co_u32_e32 v12, vcc, v29, v19, vcc
	v_add3_u32 v5, v1, v5, v0
	v_lshlrev_b64 v[0:1], 4, v[28:29]
	buffer_store_dword v4, off, s[64:67], 0 offset:16 ; 4-byte Folded Spill
	s_nop 0
	buffer_store_dword v5, off, s[64:67], 0 offset:20 ; 4-byte Folded Spill
	v_add_co_u32_e32 v4, vcc, 0x100, v0
	v_addc_co_u32_e32 v5, vcc, 0, v1, vcc
	v_mov_b32_e32 v0, s36
	v_mov_b32_e32 v1, s37
	v_mad_u64_u32 v[40:41], s[8:9], s40, v4, v[0:1]
	v_mad_u64_u32 v[42:43], s[8:9], s38, v28, v[0:1]
	v_mov_b32_e32 v0, s44
	v_mov_b32_e32 v1, s45
	v_mul_lo_u32 v6, s40, v5
	v_mul_lo_u32 v5, s48, v5
	;; [unrolled: 1-line block ×3, first 2 shown]
	v_mad_u64_u32 v[0:1], s[8:9], s48, v4, v[0:1]
	v_lshlrev_b64 v[13:14], 4, v[18:19]
	buffer_store_dword v13, off, s[64:67], 0 ; 4-byte Folded Spill
	s_nop 0
	buffer_store_dword v14, off, s[64:67], 0 offset:4 ; 4-byte Folded Spill
	v_add3_u32 v1, v10, v1, v5
	buffer_store_dword v0, off, s[64:67], 0 offset:32 ; 4-byte Folded Spill
	s_nop 0
	buffer_store_dword v1, off, s[64:67], 0 offset:36 ; 4-byte Folded Spill
	v_add_co_u32_e32 v0, vcc, 16, v34
	v_addc_co_u32_e32 v1, vcc, 0, v35, vcc
	buffer_store_dword v0, off, s[64:67], 0 offset:40 ; 4-byte Folded Spill
	s_nop 0
	buffer_store_dword v1, off, s[64:67], 0 offset:44 ; 4-byte Folded Spill
	v_mul_lo_u32 v7, s41, v4
	v_mul_lo_u32 v8, s38, v29
	v_mul_lo_u32 v9, s39, v28
	v_mov_b32_e32 v14, 0
	v_mov_b32_e32 v62, 0
	;; [unrolled: 1-line block ×7, first 2 shown]
	v_add3_u32 v41, v7, v41, v6
	v_add3_u32 v43, v9, v43, v8
	v_cmp_le_i32_e64 s[8:9], s54, v34
	s_mov_b64 s[42:43], 0
	v_mov_b32_e32 v15, 0
	v_mov_b32_e32 v63, 0
	;; [unrolled: 1-line block ×7, first 2 shown]
	v_cmp_le_i64_e64 s[10:11], s[54:55], v[0:1]
	v_add_co_u32_e32 v0, vcc, 16, v11
	v_addc_co_u32_e32 v1, vcc, 0, v12, vcc
	buffer_store_dword v0, off, s[64:67], 0 offset:48 ; 4-byte Folded Spill
	s_nop 0
	buffer_store_dword v1, off, s[64:67], 0 offset:52 ; 4-byte Folded Spill
	v_add_co_u32_e32 v0, vcc, -16, v11
	buffer_store_dword v11, off, s[64:67], 0 offset:24 ; 4-byte Folded Spill
	s_nop 0
	buffer_store_dword v12, off, s[64:67], 0 offset:28 ; 4-byte Folded Spill
	v_addc_co_u32_e32 v1, vcc, -1, v12, vcc
	buffer_store_dword v0, off, s[64:67], 0 offset:56 ; 4-byte Folded Spill
	s_nop 0
	buffer_store_dword v1, off, s[64:67], 0 offset:60 ; 4-byte Folded Spill
	buffer_load_dword v54, off, s[64:67], 0 offset:84 ; 4-byte Folded Reload
	buffer_load_dword v55, off, s[64:67], 0 offset:88 ; 4-byte Folded Reload
	v_mov_b32_e32 v12, 0
	v_mov_b32_e32 v13, 0
	s_branch .LBB121_7
.LBB121_6:                              ;   in Loop: Header=BB121_7 Depth=2
	s_or_b64 exec, exec, s[12:13]
	s_waitcnt lgkmcnt(0)
	s_barrier
	ds_read_b128 v[30:33], v50
	ds_read_b128 v[20:23], v50 offset:16
	ds_read_b128 v[8:11], v50 offset:32
	;; [unrolled: 1-line block ×3, first 2 shown]
	ds_read_b128 v[46:49], v52
	v_add_co_u32_e32 v54, vcc, s26, v54
	s_add_u32 s42, s42, 32
	s_addc_u32 s43, s43, 0
	s_waitcnt lgkmcnt(0)
	v_mul_f64 v[0:1], v[32:33], v[48:49]
	v_mul_f64 v[24:25], v[30:31], v[48:49]
	s_cmp_ge_i32 s42, s61
	v_fma_f64 v[0:1], v[30:31], v[46:47], -v[0:1]
	v_fma_f64 v[24:25], v[32:33], v[46:47], v[24:25]
	v_add_f64 v[38:39], v[56:57], v[0:1]
	v_add_f64 v[36:37], v[24:25], v[58:59]
	ds_read_b128 v[56:59], v52 offset:256
	s_waitcnt lgkmcnt(0)
	v_mul_f64 v[0:1], v[32:33], v[58:59]
	v_mul_f64 v[24:25], v[30:31], v[58:59]
	v_fma_f64 v[0:1], v[30:31], v[56:57], -v[0:1]
	v_fma_f64 v[24:25], v[32:33], v[56:57], v[24:25]
	v_add_f64 v[44:45], v[16:17], v[0:1]
	v_add_f64 v[26:27], v[24:25], v[18:19]
	ds_read_b128 v[16:19], v50 offset:8192
	s_waitcnt lgkmcnt(0)
	v_mul_f64 v[0:1], v[18:19], v[48:49]
	v_mul_f64 v[24:25], v[16:17], v[48:49]
	v_fma_f64 v[0:1], v[16:17], v[46:47], -v[0:1]
	v_fma_f64 v[24:25], v[18:19], v[46:47], v[24:25]
	v_add_f64 v[30:31], v[60:61], v[0:1]
	v_add_f64 v[0:1], v[24:25], v[62:63]
	v_mul_f64 v[24:25], v[18:19], v[58:59]
	v_fma_f64 v[24:25], v[16:17], v[56:57], -v[24:25]
	v_mul_f64 v[16:17], v[16:17], v[58:59]
	v_add_f64 v[32:33], v[14:15], v[24:25]
	v_fma_f64 v[16:17], v[18:19], v[56:57], v[16:17]
	v_add_f64 v[24:25], v[16:17], v[12:13]
	ds_read_b128 v[16:19], v52 offset:512
	s_waitcnt lgkmcnt(0)
	v_mul_f64 v[12:13], v[22:23], v[18:19]
	v_mul_f64 v[14:15], v[20:21], v[18:19]
	v_fma_f64 v[12:13], v[20:21], v[16:17], -v[12:13]
	v_fma_f64 v[14:15], v[22:23], v[16:17], v[14:15]
	v_add_f64 v[60:61], v[38:39], v[12:13]
	v_add_f64 v[62:63], v[14:15], v[36:37]
	ds_read_b128 v[12:15], v52 offset:768
	s_waitcnt lgkmcnt(0)
	v_mul_f64 v[36:37], v[22:23], v[14:15]
	v_fma_f64 v[36:37], v[20:21], v[12:13], -v[36:37]
	v_mul_f64 v[20:21], v[20:21], v[14:15]
	v_add_f64 v[56:57], v[44:45], v[36:37]
	v_fma_f64 v[20:21], v[22:23], v[12:13], v[20:21]
	v_add_f64 v[58:59], v[20:21], v[26:27]
	ds_read_b128 v[20:23], v50 offset:8208
	s_waitcnt lgkmcnt(0)
	v_mul_f64 v[26:27], v[22:23], v[18:19]
	v_mul_f64 v[18:19], v[20:21], v[18:19]
	v_fma_f64 v[26:27], v[20:21], v[16:17], -v[26:27]
	v_fma_f64 v[18:19], v[22:23], v[16:17], v[18:19]
	v_add_f64 v[16:17], v[30:31], v[26:27]
	v_add_f64 v[18:19], v[18:19], v[0:1]
	v_mul_f64 v[0:1], v[22:23], v[14:15]
	v_mul_f64 v[14:15], v[20:21], v[14:15]
	v_fma_f64 v[0:1], v[20:21], v[12:13], -v[0:1]
	v_fma_f64 v[14:15], v[22:23], v[12:13], v[14:15]
	ds_read_b128 v[20:23], v52 offset:1024
	v_add_f64 v[12:13], v[32:33], v[0:1]
	ds_read_b128 v[30:33], v52 offset:1280
	s_waitcnt lgkmcnt(1)
	v_mul_f64 v[0:1], v[10:11], v[22:23]
	v_add_f64 v[14:15], v[14:15], v[24:25]
	v_mul_f64 v[24:25], v[8:9], v[22:23]
	v_fma_f64 v[0:1], v[8:9], v[20:21], -v[0:1]
	v_fma_f64 v[24:25], v[10:11], v[20:21], v[24:25]
	v_add_f64 v[26:27], v[60:61], v[0:1]
	s_waitcnt lgkmcnt(0)
	v_mul_f64 v[0:1], v[10:11], v[32:33]
	v_add_f64 v[36:37], v[24:25], v[62:63]
	v_fma_f64 v[0:1], v[8:9], v[30:31], -v[0:1]
	v_mul_f64 v[8:9], v[8:9], v[32:33]
	v_add_f64 v[38:39], v[56:57], v[0:1]
	v_fma_f64 v[8:9], v[10:11], v[30:31], v[8:9]
	v_add_f64 v[44:45], v[8:9], v[58:59]
	ds_read_b128 v[8:11], v50 offset:8224
	s_waitcnt lgkmcnt(0)
	v_mul_f64 v[0:1], v[10:11], v[22:23]
	v_mul_f64 v[22:23], v[8:9], v[22:23]
	v_fma_f64 v[0:1], v[8:9], v[20:21], -v[0:1]
	v_fma_f64 v[20:21], v[10:11], v[20:21], v[22:23]
	v_add_f64 v[0:1], v[16:17], v[0:1]
	v_mul_f64 v[16:17], v[10:11], v[32:33]
	v_add_f64 v[20:21], v[20:21], v[18:19]
	v_fma_f64 v[16:17], v[8:9], v[30:31], -v[16:17]
	v_mul_f64 v[8:9], v[8:9], v[32:33]
	v_add_f64 v[22:23], v[12:13], v[16:17]
	v_fma_f64 v[8:9], v[10:11], v[30:31], v[8:9]
	ds_read_b128 v[30:33], v50 offset:8240
	v_add_f64 v[24:25], v[8:9], v[14:15]
	ds_read_b128 v[8:11], v52 offset:1536
	s_waitcnt lgkmcnt(0)
	v_mul_f64 v[12:13], v[6:7], v[10:11]
	v_mul_f64 v[14:15], v[4:5], v[10:11]
	v_fma_f64 v[12:13], v[4:5], v[8:9], -v[12:13]
	v_fma_f64 v[14:15], v[6:7], v[8:9], v[14:15]
	v_add_f64 v[16:17], v[26:27], v[12:13]
	v_add_f64 v[18:19], v[14:15], v[36:37]
	ds_read_b128 v[12:15], v52 offset:1792
	s_waitcnt lgkmcnt(0)
	v_mul_f64 v[26:27], v[6:7], v[14:15]
	v_fma_f64 v[26:27], v[4:5], v[12:13], -v[26:27]
	v_mul_f64 v[4:5], v[4:5], v[14:15]
	v_fma_f64 v[6:7], v[6:7], v[12:13], v[4:5]
	v_add_f64 v[4:5], v[38:39], v[26:27]
	v_mul_f64 v[26:27], v[32:33], v[10:11]
	v_mul_f64 v[10:11], v[30:31], v[10:11]
	v_add_f64 v[6:7], v[6:7], v[44:45]
	v_fma_f64 v[26:27], v[30:31], v[8:9], -v[26:27]
	v_fma_f64 v[8:9], v[32:33], v[8:9], v[10:11]
	v_add_f64 v[26:27], v[0:1], v[26:27]
	v_add_f64 v[36:37], v[8:9], v[20:21]
	v_mul_f64 v[8:9], v[30:31], v[14:15]
	v_mul_f64 v[0:1], v[32:33], v[14:15]
	v_fma_f64 v[8:9], v[32:33], v[12:13], v[8:9]
	v_fma_f64 v[0:1], v[30:31], v[12:13], -v[0:1]
	v_add_f64 v[32:33], v[8:9], v[24:25]
	ds_read_b128 v[8:11], v50 offset:64
	ds_read_b128 v[12:15], v52 offset:2048
	v_add_f64 v[30:31], v[22:23], v[0:1]
	ds_read_b128 v[22:25], v52 offset:2304
	s_waitcnt lgkmcnt(1)
	v_mul_f64 v[0:1], v[10:11], v[14:15]
	v_mul_f64 v[20:21], v[8:9], v[14:15]
	v_fma_f64 v[0:1], v[8:9], v[12:13], -v[0:1]
	v_fma_f64 v[20:21], v[10:11], v[12:13], v[20:21]
	v_add_f64 v[0:1], v[16:17], v[0:1]
	s_waitcnt lgkmcnt(0)
	v_mul_f64 v[16:17], v[10:11], v[24:25]
	v_add_f64 v[20:21], v[20:21], v[18:19]
	v_fma_f64 v[16:17], v[8:9], v[22:23], -v[16:17]
	v_mul_f64 v[8:9], v[8:9], v[24:25]
	v_add_f64 v[38:39], v[4:5], v[16:17]
	v_fma_f64 v[8:9], v[10:11], v[22:23], v[8:9]
	v_add_f64 v[44:45], v[8:9], v[6:7]
	ds_read_b128 v[4:7], v50 offset:8256
	s_waitcnt lgkmcnt(0)
	v_mul_f64 v[8:9], v[6:7], v[14:15]
	v_mul_f64 v[10:11], v[4:5], v[14:15]
	v_fma_f64 v[8:9], v[4:5], v[12:13], -v[8:9]
	v_fma_f64 v[10:11], v[6:7], v[12:13], v[10:11]
	v_add_f64 v[16:17], v[26:27], v[8:9]
	v_mul_f64 v[8:9], v[6:7], v[24:25]
	v_add_f64 v[18:19], v[10:11], v[36:37]
	v_fma_f64 v[8:9], v[4:5], v[22:23], -v[8:9]
	v_mul_f64 v[4:5], v[4:5], v[24:25]
	v_add_f64 v[12:13], v[30:31], v[8:9]
	v_fma_f64 v[4:5], v[6:7], v[22:23], v[4:5]
	ds_read_b128 v[46:49], v50 offset:80
	ds_read_b128 v[8:11], v52 offset:2560
	s_waitcnt lgkmcnt(0)
	v_mul_f64 v[6:7], v[46:47], v[10:11]
	v_add_f64 v[14:15], v[4:5], v[32:33]
	v_mul_f64 v[4:5], v[48:49], v[10:11]
	v_fma_f64 v[6:7], v[48:49], v[8:9], v[6:7]
	v_fma_f64 v[4:5], v[46:47], v[8:9], -v[4:5]
	v_add_f64 v[32:33], v[6:7], v[20:21]
	v_add_f64 v[24:25], v[0:1], v[4:5]
	ds_read_b128 v[4:7], v52 offset:2816
	s_waitcnt lgkmcnt(0)
	v_mul_f64 v[0:1], v[48:49], v[6:7]
	v_mul_f64 v[20:21], v[46:47], v[6:7]
	v_fma_f64 v[0:1], v[46:47], v[4:5], -v[0:1]
	v_fma_f64 v[22:23], v[48:49], v[4:5], v[20:21]
	ds_read_b128 v[46:49], v50 offset:8272
	v_add_f64 v[20:21], v[38:39], v[0:1]
	s_waitcnt lgkmcnt(0)
	v_mul_f64 v[0:1], v[48:49], v[10:11]
	v_mul_f64 v[10:11], v[46:47], v[10:11]
	v_add_f64 v[22:23], v[22:23], v[44:45]
	v_fma_f64 v[0:1], v[46:47], v[8:9], -v[0:1]
	v_fma_f64 v[8:9], v[48:49], v[8:9], v[10:11]
	v_add_f64 v[26:27], v[16:17], v[0:1]
	v_mul_f64 v[0:1], v[48:49], v[6:7]
	v_mul_f64 v[6:7], v[46:47], v[6:7]
	v_add_f64 v[18:19], v[8:9], v[18:19]
	v_fma_f64 v[0:1], v[46:47], v[4:5], -v[0:1]
	v_fma_f64 v[4:5], v[48:49], v[4:5], v[6:7]
	v_add_f64 v[30:31], v[12:13], v[0:1]
	ds_read_b128 v[6:9], v50 offset:96
	ds_read_b128 v[10:13], v52 offset:3072
	v_add_f64 v[36:37], v[4:5], v[14:15]
	ds_read_b128 v[14:17], v52 offset:3328
	s_waitcnt lgkmcnt(1)
	v_mul_f64 v[0:1], v[8:9], v[12:13]
	v_mul_f64 v[4:5], v[6:7], v[12:13]
	v_fma_f64 v[0:1], v[6:7], v[10:11], -v[0:1]
	v_fma_f64 v[4:5], v[8:9], v[10:11], v[4:5]
	v_add_f64 v[0:1], v[24:25], v[0:1]
	s_waitcnt lgkmcnt(0)
	v_mul_f64 v[24:25], v[8:9], v[16:17]
	v_add_f64 v[4:5], v[4:5], v[32:33]
	v_fma_f64 v[24:25], v[6:7], v[14:15], -v[24:25]
	v_mul_f64 v[6:7], v[6:7], v[16:17]
	v_add_f64 v[38:39], v[20:21], v[24:25]
	v_fma_f64 v[6:7], v[8:9], v[14:15], v[6:7]
	v_add_f64 v[44:45], v[6:7], v[22:23]
	ds_read_b128 v[6:9], v50 offset:8288
	s_waitcnt lgkmcnt(0)
	v_mul_f64 v[20:21], v[8:9], v[12:13]
	v_mul_f64 v[12:13], v[6:7], v[12:13]
	v_fma_f64 v[20:21], v[6:7], v[10:11], -v[20:21]
	v_fma_f64 v[10:11], v[8:9], v[10:11], v[12:13]
	v_add_f64 v[20:21], v[26:27], v[20:21]
	v_add_f64 v[22:23], v[10:11], v[18:19]
	v_mul_f64 v[10:11], v[8:9], v[16:17]
	v_fma_f64 v[10:11], v[6:7], v[14:15], -v[10:11]
	v_mul_f64 v[6:7], v[6:7], v[16:17]
	v_add_f64 v[16:17], v[30:31], v[10:11]
	v_fma_f64 v[6:7], v[8:9], v[14:15], v[6:7]
	ds_read_b128 v[12:15], v50 offset:112
	ds_read_b128 v[8:11], v52 offset:3584
	s_waitcnt lgkmcnt(0)
	v_mul_f64 v[24:25], v[12:13], v[10:11]
	v_add_f64 v[18:19], v[6:7], v[36:37]
	v_mul_f64 v[6:7], v[14:15], v[10:11]
	v_fma_f64 v[26:27], v[14:15], v[8:9], v[24:25]
	v_fma_f64 v[6:7], v[12:13], v[8:9], -v[6:7]
	v_add_f64 v[32:33], v[26:27], v[4:5]
	v_add_f64 v[24:25], v[0:1], v[6:7]
	ds_read_b128 v[4:7], v52 offset:3840
	s_waitcnt lgkmcnt(0)
	v_mul_f64 v[0:1], v[14:15], v[6:7]
	v_fma_f64 v[0:1], v[12:13], v[4:5], -v[0:1]
	v_mul_f64 v[12:13], v[12:13], v[6:7]
	v_add_f64 v[56:57], v[38:39], v[0:1]
	v_fma_f64 v[12:13], v[14:15], v[4:5], v[12:13]
	v_add_f64 v[58:59], v[12:13], v[44:45]
	ds_read_b128 v[12:15], v50 offset:8304
	s_waitcnt lgkmcnt(0)
	v_mul_f64 v[0:1], v[14:15], v[10:11]
	v_mul_f64 v[10:11], v[12:13], v[10:11]
	v_fma_f64 v[0:1], v[12:13], v[8:9], -v[0:1]
	v_fma_f64 v[8:9], v[14:15], v[8:9], v[10:11]
	v_add_f64 v[20:21], v[20:21], v[0:1]
	v_mul_f64 v[0:1], v[14:15], v[6:7]
	v_mul_f64 v[6:7], v[12:13], v[6:7]
	v_add_f64 v[22:23], v[8:9], v[22:23]
	v_fma_f64 v[0:1], v[12:13], v[4:5], -v[0:1]
	v_fma_f64 v[4:5], v[14:15], v[4:5], v[6:7]
	ds_read_b128 v[6:9], v50 offset:128
	ds_read_b128 v[10:13], v52 offset:4096
	v_add_f64 v[26:27], v[16:17], v[0:1]
	s_waitcnt lgkmcnt(0)
	v_mul_f64 v[0:1], v[8:9], v[12:13]
	ds_read_b128 v[14:17], v52 offset:4352
	v_add_f64 v[18:19], v[4:5], v[18:19]
	v_mul_f64 v[4:5], v[6:7], v[12:13]
	v_fma_f64 v[0:1], v[6:7], v[10:11], -v[0:1]
	v_fma_f64 v[4:5], v[8:9], v[10:11], v[4:5]
	v_add_f64 v[0:1], v[24:25], v[0:1]
	s_waitcnt lgkmcnt(0)
	v_mul_f64 v[24:25], v[8:9], v[16:17]
	v_add_f64 v[4:5], v[4:5], v[32:33]
	v_fma_f64 v[24:25], v[6:7], v[14:15], -v[24:25]
	v_mul_f64 v[6:7], v[6:7], v[16:17]
	v_add_f64 v[30:31], v[56:57], v[24:25]
	v_fma_f64 v[6:7], v[8:9], v[14:15], v[6:7]
	v_add_f64 v[36:37], v[6:7], v[58:59]
	ds_read_b128 v[6:9], v50 offset:8320
	s_waitcnt lgkmcnt(0)
	v_mul_f64 v[24:25], v[8:9], v[12:13]
	v_mul_f64 v[12:13], v[6:7], v[12:13]
	v_fma_f64 v[24:25], v[6:7], v[10:11], -v[24:25]
	v_fma_f64 v[10:11], v[8:9], v[10:11], v[12:13]
	v_add_f64 v[20:21], v[20:21], v[24:25]
	v_add_f64 v[22:23], v[10:11], v[22:23]
	v_mul_f64 v[10:11], v[8:9], v[16:17]
	v_fma_f64 v[10:11], v[6:7], v[14:15], -v[10:11]
	v_mul_f64 v[6:7], v[6:7], v[16:17]
	v_add_f64 v[16:17], v[26:27], v[10:11]
	v_fma_f64 v[6:7], v[8:9], v[14:15], v[6:7]
	ds_read_b128 v[12:15], v50 offset:144
	ds_read_b128 v[8:11], v52 offset:4608
	s_waitcnt lgkmcnt(0)
	v_mul_f64 v[24:25], v[12:13], v[10:11]
	v_add_f64 v[18:19], v[6:7], v[18:19]
	v_mul_f64 v[6:7], v[14:15], v[10:11]
	v_fma_f64 v[26:27], v[14:15], v[8:9], v[24:25]
	v_fma_f64 v[6:7], v[12:13], v[8:9], -v[6:7]
	v_add_f64 v[32:33], v[26:27], v[4:5]
	v_add_f64 v[24:25], v[0:1], v[6:7]
	ds_read_b128 v[4:7], v52 offset:4864
	s_waitcnt lgkmcnt(0)
	v_mul_f64 v[0:1], v[14:15], v[6:7]
	v_fma_f64 v[0:1], v[12:13], v[4:5], -v[0:1]
	v_mul_f64 v[12:13], v[12:13], v[6:7]
	v_add_f64 v[56:57], v[30:31], v[0:1]
	v_fma_f64 v[12:13], v[14:15], v[4:5], v[12:13]
	v_add_f64 v[58:59], v[12:13], v[36:37]
	ds_read_b128 v[12:15], v50 offset:8336
	s_waitcnt lgkmcnt(0)
	v_mul_f64 v[0:1], v[14:15], v[10:11]
	v_mul_f64 v[10:11], v[12:13], v[10:11]
	v_fma_f64 v[0:1], v[12:13], v[8:9], -v[0:1]
	v_fma_f64 v[8:9], v[14:15], v[8:9], v[10:11]
	v_add_f64 v[20:21], v[20:21], v[0:1]
	v_mul_f64 v[0:1], v[14:15], v[6:7]
	v_mul_f64 v[6:7], v[12:13], v[6:7]
	v_add_f64 v[22:23], v[8:9], v[22:23]
	v_fma_f64 v[0:1], v[12:13], v[4:5], -v[0:1]
	v_fma_f64 v[4:5], v[14:15], v[4:5], v[6:7]
	ds_read_b128 v[6:9], v50 offset:160
	ds_read_b128 v[10:13], v52 offset:5120
	v_add_f64 v[26:27], v[16:17], v[0:1]
	s_waitcnt lgkmcnt(0)
	v_mul_f64 v[0:1], v[8:9], v[12:13]
	ds_read_b128 v[14:17], v52 offset:5376
	v_add_f64 v[18:19], v[4:5], v[18:19]
	v_mul_f64 v[4:5], v[6:7], v[12:13]
	v_fma_f64 v[0:1], v[6:7], v[10:11], -v[0:1]
	v_fma_f64 v[4:5], v[8:9], v[10:11], v[4:5]
	v_add_f64 v[0:1], v[24:25], v[0:1]
	s_waitcnt lgkmcnt(0)
	v_mul_f64 v[24:25], v[8:9], v[16:17]
	v_add_f64 v[4:5], v[4:5], v[32:33]
	v_fma_f64 v[24:25], v[6:7], v[14:15], -v[24:25]
	v_mul_f64 v[6:7], v[6:7], v[16:17]
	v_add_f64 v[30:31], v[56:57], v[24:25]
	v_fma_f64 v[6:7], v[8:9], v[14:15], v[6:7]
	v_add_f64 v[32:33], v[6:7], v[58:59]
	ds_read_b128 v[6:9], v50 offset:8352
	s_waitcnt lgkmcnt(0)
	v_mul_f64 v[24:25], v[8:9], v[12:13]
	v_mul_f64 v[12:13], v[6:7], v[12:13]
	v_fma_f64 v[24:25], v[6:7], v[10:11], -v[24:25]
	v_fma_f64 v[10:11], v[8:9], v[10:11], v[12:13]
	v_add_f64 v[20:21], v[20:21], v[24:25]
	v_add_f64 v[22:23], v[10:11], v[22:23]
	v_mul_f64 v[10:11], v[8:9], v[16:17]
	v_fma_f64 v[10:11], v[6:7], v[14:15], -v[10:11]
	v_mul_f64 v[6:7], v[6:7], v[16:17]
	v_add_f64 v[16:17], v[26:27], v[10:11]
	v_fma_f64 v[6:7], v[8:9], v[14:15], v[6:7]
	ds_read_b128 v[12:15], v50 offset:176
	ds_read_b128 v[8:11], v52 offset:5632
	s_waitcnt lgkmcnt(0)
	v_mul_f64 v[24:25], v[12:13], v[10:11]
	v_add_f64 v[18:19], v[6:7], v[18:19]
	v_mul_f64 v[6:7], v[14:15], v[10:11]
	v_fma_f64 v[24:25], v[14:15], v[8:9], v[24:25]
	v_fma_f64 v[6:7], v[12:13], v[8:9], -v[6:7]
	v_add_f64 v[24:25], v[24:25], v[4:5]
	v_add_f64 v[0:1], v[0:1], v[6:7]
	ds_read_b128 v[4:7], v52 offset:5888
	s_waitcnt lgkmcnt(0)
	v_mul_f64 v[26:27], v[14:15], v[6:7]
	v_fma_f64 v[26:27], v[12:13], v[4:5], -v[26:27]
	v_mul_f64 v[12:13], v[12:13], v[6:7]
	v_add_f64 v[56:57], v[30:31], v[26:27]
	v_fma_f64 v[12:13], v[14:15], v[4:5], v[12:13]
	v_add_f64 v[58:59], v[12:13], v[32:33]
	ds_read_b128 v[12:15], v50 offset:8368
	s_waitcnt lgkmcnt(0)
	v_mul_f64 v[26:27], v[14:15], v[10:11]
	v_mul_f64 v[10:11], v[12:13], v[10:11]
	v_fma_f64 v[26:27], v[12:13], v[8:9], -v[26:27]
	v_fma_f64 v[8:9], v[14:15], v[8:9], v[10:11]
	v_add_f64 v[20:21], v[20:21], v[26:27]
	v_add_f64 v[22:23], v[8:9], v[22:23]
	v_mul_f64 v[8:9], v[14:15], v[6:7]
	v_mul_f64 v[6:7], v[12:13], v[6:7]
	v_fma_f64 v[8:9], v[12:13], v[4:5], -v[8:9]
	v_fma_f64 v[4:5], v[14:15], v[4:5], v[6:7]
	v_add_f64 v[26:27], v[16:17], v[8:9]
	v_add_f64 v[30:31], v[4:5], v[18:19]
	ds_read_b128 v[4:7], v50 offset:192
	ds_read_b128 v[10:13], v52 offset:6144
	;; [unrolled: 1-line block ×3, first 2 shown]
	s_waitcnt lgkmcnt(1)
	v_mul_f64 v[8:9], v[6:7], v[12:13]
	v_mul_f64 v[14:15], v[4:5], v[12:13]
	v_fma_f64 v[8:9], v[4:5], v[10:11], -v[8:9]
	v_fma_f64 v[14:15], v[6:7], v[10:11], v[14:15]
	v_add_f64 v[0:1], v[0:1], v[8:9]
	v_add_f64 v[8:9], v[14:15], v[24:25]
	s_waitcnt lgkmcnt(0)
	v_mul_f64 v[14:15], v[6:7], v[18:19]
	v_fma_f64 v[14:15], v[4:5], v[16:17], -v[14:15]
	v_mul_f64 v[4:5], v[4:5], v[18:19]
	v_add_f64 v[36:37], v[56:57], v[14:15]
	v_fma_f64 v[4:5], v[6:7], v[16:17], v[4:5]
	v_add_f64 v[38:39], v[4:5], v[58:59]
	ds_read_b128 v[4:7], v50 offset:8384
	s_waitcnt lgkmcnt(0)
	v_mul_f64 v[14:15], v[6:7], v[12:13]
	v_mul_f64 v[12:13], v[4:5], v[12:13]
	v_fma_f64 v[14:15], v[4:5], v[10:11], -v[14:15]
	v_fma_f64 v[10:11], v[6:7], v[10:11], v[12:13]
	v_add_f64 v[12:13], v[20:21], v[14:15]
	v_add_f64 v[14:15], v[10:11], v[22:23]
	v_mul_f64 v[10:11], v[6:7], v[18:19]
	v_fma_f64 v[10:11], v[4:5], v[16:17], -v[10:11]
	v_mul_f64 v[4:5], v[4:5], v[18:19]
	v_fma_f64 v[4:5], v[6:7], v[16:17], v[4:5]
	v_add_f64 v[16:17], v[26:27], v[10:11]
	v_add_f64 v[18:19], v[4:5], v[30:31]
	ds_read_b128 v[20:23], v50 offset:208
	ds_read_b128 v[4:7], v52 offset:6656
	;; [unrolled: 1-line block ×3, first 2 shown]
	s_waitcnt lgkmcnt(1)
	v_mul_f64 v[10:11], v[22:23], v[6:7]
	v_mul_f64 v[24:25], v[20:21], v[6:7]
	v_fma_f64 v[10:11], v[20:21], v[4:5], -v[10:11]
	v_fma_f64 v[26:27], v[22:23], v[4:5], v[24:25]
	v_add_f64 v[24:25], v[0:1], v[10:11]
	v_add_f64 v[32:33], v[26:27], v[8:9]
	ds_read_b128 v[8:11], v52 offset:6912
	s_waitcnt lgkmcnt(0)
	v_mul_f64 v[0:1], v[22:23], v[10:11]
	v_fma_f64 v[0:1], v[20:21], v[8:9], -v[0:1]
	v_mul_f64 v[20:21], v[20:21], v[10:11]
	v_fma_f64 v[22:23], v[22:23], v[8:9], v[20:21]
	v_add_f64 v[20:21], v[36:37], v[0:1]
	v_mul_f64 v[0:1], v[48:49], v[6:7]
	v_mul_f64 v[6:7], v[46:47], v[6:7]
	v_add_f64 v[22:23], v[22:23], v[38:39]
	v_fma_f64 v[0:1], v[46:47], v[4:5], -v[0:1]
	v_fma_f64 v[4:5], v[48:49], v[4:5], v[6:7]
	v_add_f64 v[26:27], v[12:13], v[0:1]
	v_add_f64 v[14:15], v[4:5], v[14:15]
	v_mul_f64 v[4:5], v[46:47], v[10:11]
	v_mul_f64 v[0:1], v[48:49], v[10:11]
	v_fma_f64 v[4:5], v[48:49], v[8:9], v[4:5]
	v_fma_f64 v[0:1], v[46:47], v[8:9], -v[0:1]
	ds_read_b128 v[6:9], v50 offset:224
	ds_read_b128 v[10:13], v52 offset:7168
	v_add_f64 v[38:39], v[4:5], v[18:19]
	s_waitcnt lgkmcnt(0)
	v_mul_f64 v[4:5], v[6:7], v[12:13]
	v_add_f64 v[36:37], v[16:17], v[0:1]
	v_mul_f64 v[0:1], v[8:9], v[12:13]
	v_fma_f64 v[4:5], v[8:9], v[10:11], v[4:5]
	v_fma_f64 v[0:1], v[6:7], v[10:11], -v[0:1]
	v_add_f64 v[4:5], v[4:5], v[32:33]
	ds_read_b128 v[30:33], v52 offset:7424
	v_add_f64 v[0:1], v[24:25], v[0:1]
	s_waitcnt lgkmcnt(0)
	v_mul_f64 v[16:17], v[8:9], v[32:33]
	v_fma_f64 v[16:17], v[6:7], v[30:31], -v[16:17]
	v_mul_f64 v[6:7], v[6:7], v[32:33]
	v_add_f64 v[44:45], v[20:21], v[16:17]
	v_fma_f64 v[6:7], v[8:9], v[30:31], v[6:7]
	v_add_f64 v[46:47], v[6:7], v[22:23]
	ds_read_b128 v[6:9], v50 offset:8416
	s_waitcnt lgkmcnt(0)
	v_mul_f64 v[16:17], v[8:9], v[12:13]
	v_mul_f64 v[12:13], v[6:7], v[12:13]
	v_fma_f64 v[16:17], v[6:7], v[10:11], -v[16:17]
	v_fma_f64 v[10:11], v[8:9], v[10:11], v[12:13]
	v_add_f64 v[16:17], v[26:27], v[16:17]
	v_add_f64 v[18:19], v[10:11], v[14:15]
	v_mul_f64 v[10:11], v[8:9], v[32:33]
	v_fma_f64 v[10:11], v[6:7], v[30:31], -v[10:11]
	v_mul_f64 v[6:7], v[6:7], v[32:33]
	v_add_f64 v[12:13], v[36:37], v[10:11]
	v_fma_f64 v[6:7], v[8:9], v[30:31], v[6:7]
	ds_read_b128 v[20:23], v50 offset:240
	ds_read_b128 v[8:11], v52 offset:7680
	s_waitcnt lgkmcnt(0)
	v_mul_f64 v[24:25], v[20:21], v[10:11]
	v_add_f64 v[14:15], v[6:7], v[38:39]
	v_mul_f64 v[6:7], v[22:23], v[10:11]
	v_fma_f64 v[26:27], v[22:23], v[8:9], v[24:25]
	v_fma_f64 v[6:7], v[20:21], v[8:9], -v[6:7]
	v_add_f64 v[32:33], v[26:27], v[4:5]
	v_add_f64 v[24:25], v[0:1], v[6:7]
	ds_read_b128 v[4:7], v52 offset:7936
	s_waitcnt lgkmcnt(0)
	v_mul_f64 v[0:1], v[22:23], v[6:7]
	v_fma_f64 v[0:1], v[20:21], v[4:5], -v[0:1]
	v_mul_f64 v[20:21], v[20:21], v[6:7]
	v_fma_f64 v[22:23], v[22:23], v[4:5], v[20:21]
	v_add_f64 v[20:21], v[44:45], v[0:1]
	v_add_f64 v[22:23], v[22:23], v[46:47]
	ds_read_b128 v[46:49], v50 offset:8432
	s_waitcnt lgkmcnt(0)
	v_mul_f64 v[0:1], v[48:49], v[10:11]
	v_mul_f64 v[10:11], v[46:47], v[10:11]
	v_fma_f64 v[0:1], v[46:47], v[8:9], -v[0:1]
	v_fma_f64 v[8:9], v[48:49], v[8:9], v[10:11]
	v_add_f64 v[26:27], v[16:17], v[0:1]
	v_mul_f64 v[0:1], v[48:49], v[6:7]
	v_mul_f64 v[6:7], v[46:47], v[6:7]
	v_add_f64 v[18:19], v[8:9], v[18:19]
	v_fma_f64 v[0:1], v[46:47], v[4:5], -v[0:1]
	v_fma_f64 v[4:5], v[48:49], v[4:5], v[6:7]
	v_add_f64 v[30:31], v[12:13], v[0:1]
	ds_read_b128 v[6:9], v50 offset:256
	ds_read_b128 v[10:13], v52 offset:8192
	v_add_f64 v[36:37], v[4:5], v[14:15]
	ds_read_b128 v[14:17], v52 offset:8448
	s_waitcnt lgkmcnt(1)
	v_mul_f64 v[0:1], v[8:9], v[12:13]
	v_mul_f64 v[4:5], v[6:7], v[12:13]
	v_fma_f64 v[0:1], v[6:7], v[10:11], -v[0:1]
	v_fma_f64 v[4:5], v[8:9], v[10:11], v[4:5]
	v_add_f64 v[0:1], v[24:25], v[0:1]
	s_waitcnt lgkmcnt(0)
	v_mul_f64 v[24:25], v[8:9], v[16:17]
	v_add_f64 v[4:5], v[4:5], v[32:33]
	v_fma_f64 v[24:25], v[6:7], v[14:15], -v[24:25]
	v_mul_f64 v[6:7], v[6:7], v[16:17]
	v_add_f64 v[38:39], v[20:21], v[24:25]
	v_fma_f64 v[6:7], v[8:9], v[14:15], v[6:7]
	v_add_f64 v[44:45], v[6:7], v[22:23]
	ds_read_b128 v[6:9], v50 offset:8448
	s_waitcnt lgkmcnt(0)
	v_mul_f64 v[20:21], v[8:9], v[12:13]
	v_mul_f64 v[12:13], v[6:7], v[12:13]
	v_fma_f64 v[20:21], v[6:7], v[10:11], -v[20:21]
	v_fma_f64 v[10:11], v[8:9], v[10:11], v[12:13]
	v_add_f64 v[20:21], v[26:27], v[20:21]
	v_add_f64 v[22:23], v[10:11], v[18:19]
	v_mul_f64 v[10:11], v[8:9], v[16:17]
	v_fma_f64 v[10:11], v[6:7], v[14:15], -v[10:11]
	v_mul_f64 v[6:7], v[6:7], v[16:17]
	v_add_f64 v[16:17], v[30:31], v[10:11]
	v_fma_f64 v[6:7], v[8:9], v[14:15], v[6:7]
	ds_read_b128 v[12:15], v50 offset:272
	ds_read_b128 v[8:11], v52 offset:8704
	s_waitcnt lgkmcnt(0)
	v_mul_f64 v[24:25], v[12:13], v[10:11]
	v_add_f64 v[18:19], v[6:7], v[36:37]
	v_mul_f64 v[6:7], v[14:15], v[10:11]
	v_fma_f64 v[26:27], v[14:15], v[8:9], v[24:25]
	v_fma_f64 v[6:7], v[12:13], v[8:9], -v[6:7]
	v_add_f64 v[32:33], v[26:27], v[4:5]
	v_add_f64 v[24:25], v[0:1], v[6:7]
	ds_read_b128 v[4:7], v52 offset:8960
	s_waitcnt lgkmcnt(0)
	v_mul_f64 v[0:1], v[14:15], v[6:7]
	v_fma_f64 v[0:1], v[12:13], v[4:5], -v[0:1]
	v_mul_f64 v[12:13], v[12:13], v[6:7]
	v_add_f64 v[56:57], v[38:39], v[0:1]
	v_fma_f64 v[12:13], v[14:15], v[4:5], v[12:13]
	v_add_f64 v[58:59], v[12:13], v[44:45]
	ds_read_b128 v[12:15], v50 offset:8464
	s_waitcnt lgkmcnt(0)
	v_mul_f64 v[0:1], v[14:15], v[10:11]
	v_mul_f64 v[10:11], v[12:13], v[10:11]
	v_fma_f64 v[0:1], v[12:13], v[8:9], -v[0:1]
	v_fma_f64 v[8:9], v[14:15], v[8:9], v[10:11]
	v_add_f64 v[20:21], v[20:21], v[0:1]
	v_mul_f64 v[0:1], v[14:15], v[6:7]
	v_mul_f64 v[6:7], v[12:13], v[6:7]
	v_add_f64 v[22:23], v[8:9], v[22:23]
	v_fma_f64 v[0:1], v[12:13], v[4:5], -v[0:1]
	v_fma_f64 v[4:5], v[14:15], v[4:5], v[6:7]
	ds_read_b128 v[6:9], v50 offset:288
	ds_read_b128 v[10:13], v52 offset:9216
	v_add_f64 v[26:27], v[16:17], v[0:1]
	s_waitcnt lgkmcnt(0)
	v_mul_f64 v[0:1], v[8:9], v[12:13]
	ds_read_b128 v[14:17], v52 offset:9472
	v_add_f64 v[18:19], v[4:5], v[18:19]
	v_mul_f64 v[4:5], v[6:7], v[12:13]
	v_fma_f64 v[0:1], v[6:7], v[10:11], -v[0:1]
	v_fma_f64 v[4:5], v[8:9], v[10:11], v[4:5]
	v_add_f64 v[0:1], v[24:25], v[0:1]
	s_waitcnt lgkmcnt(0)
	v_mul_f64 v[24:25], v[8:9], v[16:17]
	v_add_f64 v[4:5], v[4:5], v[32:33]
	v_fma_f64 v[24:25], v[6:7], v[14:15], -v[24:25]
	v_mul_f64 v[6:7], v[6:7], v[16:17]
	v_add_f64 v[30:31], v[56:57], v[24:25]
	v_fma_f64 v[6:7], v[8:9], v[14:15], v[6:7]
	v_add_f64 v[36:37], v[6:7], v[58:59]
	ds_read_b128 v[6:9], v50 offset:8480
	s_waitcnt lgkmcnt(0)
	v_mul_f64 v[24:25], v[8:9], v[12:13]
	v_mul_f64 v[12:13], v[6:7], v[12:13]
	v_fma_f64 v[24:25], v[6:7], v[10:11], -v[24:25]
	v_fma_f64 v[10:11], v[8:9], v[10:11], v[12:13]
	v_add_f64 v[20:21], v[20:21], v[24:25]
	v_add_f64 v[22:23], v[10:11], v[22:23]
	v_mul_f64 v[10:11], v[8:9], v[16:17]
	v_fma_f64 v[10:11], v[6:7], v[14:15], -v[10:11]
	v_mul_f64 v[6:7], v[6:7], v[16:17]
	v_add_f64 v[16:17], v[26:27], v[10:11]
	v_fma_f64 v[6:7], v[8:9], v[14:15], v[6:7]
	ds_read_b128 v[12:15], v50 offset:304
	ds_read_b128 v[8:11], v52 offset:9728
	s_waitcnt lgkmcnt(0)
	v_mul_f64 v[24:25], v[12:13], v[10:11]
	v_add_f64 v[18:19], v[6:7], v[18:19]
	v_mul_f64 v[6:7], v[14:15], v[10:11]
	v_fma_f64 v[26:27], v[14:15], v[8:9], v[24:25]
	v_fma_f64 v[6:7], v[12:13], v[8:9], -v[6:7]
	v_add_f64 v[32:33], v[26:27], v[4:5]
	v_add_f64 v[24:25], v[0:1], v[6:7]
	ds_read_b128 v[4:7], v52 offset:9984
	s_waitcnt lgkmcnt(0)
	v_mul_f64 v[0:1], v[14:15], v[6:7]
	v_fma_f64 v[0:1], v[12:13], v[4:5], -v[0:1]
	v_mul_f64 v[12:13], v[12:13], v[6:7]
	v_add_f64 v[56:57], v[30:31], v[0:1]
	v_fma_f64 v[12:13], v[14:15], v[4:5], v[12:13]
	v_add_f64 v[58:59], v[12:13], v[36:37]
	ds_read_b128 v[12:15], v50 offset:8496
	s_waitcnt lgkmcnt(0)
	v_mul_f64 v[0:1], v[14:15], v[10:11]
	v_mul_f64 v[10:11], v[12:13], v[10:11]
	v_fma_f64 v[0:1], v[12:13], v[8:9], -v[0:1]
	v_fma_f64 v[8:9], v[14:15], v[8:9], v[10:11]
	v_add_f64 v[20:21], v[20:21], v[0:1]
	v_mul_f64 v[0:1], v[14:15], v[6:7]
	v_mul_f64 v[6:7], v[12:13], v[6:7]
	v_add_f64 v[22:23], v[8:9], v[22:23]
	v_fma_f64 v[0:1], v[12:13], v[4:5], -v[0:1]
	v_fma_f64 v[4:5], v[14:15], v[4:5], v[6:7]
	ds_read_b128 v[6:9], v50 offset:320
	ds_read_b128 v[10:13], v52 offset:10240
	v_add_f64 v[26:27], v[16:17], v[0:1]
	s_waitcnt lgkmcnt(0)
	v_mul_f64 v[0:1], v[8:9], v[12:13]
	ds_read_b128 v[14:17], v52 offset:10496
	v_add_f64 v[18:19], v[4:5], v[18:19]
	v_mul_f64 v[4:5], v[6:7], v[12:13]
	v_fma_f64 v[0:1], v[6:7], v[10:11], -v[0:1]
	v_fma_f64 v[4:5], v[8:9], v[10:11], v[4:5]
	v_add_f64 v[0:1], v[24:25], v[0:1]
	s_waitcnt lgkmcnt(0)
	v_mul_f64 v[24:25], v[8:9], v[16:17]
	v_add_f64 v[4:5], v[4:5], v[32:33]
	v_fma_f64 v[24:25], v[6:7], v[14:15], -v[24:25]
	v_mul_f64 v[6:7], v[6:7], v[16:17]
	v_add_f64 v[30:31], v[56:57], v[24:25]
	v_fma_f64 v[6:7], v[8:9], v[14:15], v[6:7]
	v_add_f64 v[32:33], v[6:7], v[58:59]
	ds_read_b128 v[6:9], v50 offset:8512
	s_waitcnt lgkmcnt(0)
	v_mul_f64 v[24:25], v[8:9], v[12:13]
	v_mul_f64 v[12:13], v[6:7], v[12:13]
	v_fma_f64 v[24:25], v[6:7], v[10:11], -v[24:25]
	v_fma_f64 v[10:11], v[8:9], v[10:11], v[12:13]
	v_add_f64 v[20:21], v[20:21], v[24:25]
	v_add_f64 v[22:23], v[10:11], v[22:23]
	v_mul_f64 v[10:11], v[8:9], v[16:17]
	v_fma_f64 v[10:11], v[6:7], v[14:15], -v[10:11]
	v_mul_f64 v[6:7], v[6:7], v[16:17]
	v_add_f64 v[16:17], v[26:27], v[10:11]
	v_fma_f64 v[6:7], v[8:9], v[14:15], v[6:7]
	ds_read_b128 v[12:15], v50 offset:336
	ds_read_b128 v[8:11], v52 offset:10752
	s_waitcnt lgkmcnt(0)
	v_mul_f64 v[24:25], v[12:13], v[10:11]
	v_add_f64 v[18:19], v[6:7], v[18:19]
	v_mul_f64 v[6:7], v[14:15], v[10:11]
	v_fma_f64 v[24:25], v[14:15], v[8:9], v[24:25]
	v_fma_f64 v[6:7], v[12:13], v[8:9], -v[6:7]
	v_add_f64 v[24:25], v[24:25], v[4:5]
	v_add_f64 v[0:1], v[0:1], v[6:7]
	ds_read_b128 v[4:7], v52 offset:11008
	s_waitcnt lgkmcnt(0)
	v_mul_f64 v[26:27], v[14:15], v[6:7]
	v_fma_f64 v[26:27], v[12:13], v[4:5], -v[26:27]
	v_mul_f64 v[12:13], v[12:13], v[6:7]
	v_add_f64 v[56:57], v[30:31], v[26:27]
	v_fma_f64 v[12:13], v[14:15], v[4:5], v[12:13]
	v_add_f64 v[58:59], v[12:13], v[32:33]
	ds_read_b128 v[12:15], v50 offset:8528
	s_waitcnt lgkmcnt(0)
	v_mul_f64 v[26:27], v[14:15], v[10:11]
	v_mul_f64 v[10:11], v[12:13], v[10:11]
	v_fma_f64 v[26:27], v[12:13], v[8:9], -v[26:27]
	v_fma_f64 v[8:9], v[14:15], v[8:9], v[10:11]
	v_add_f64 v[20:21], v[20:21], v[26:27]
	v_add_f64 v[22:23], v[8:9], v[22:23]
	v_mul_f64 v[8:9], v[14:15], v[6:7]
	v_mul_f64 v[6:7], v[12:13], v[6:7]
	v_fma_f64 v[8:9], v[12:13], v[4:5], -v[8:9]
	v_fma_f64 v[4:5], v[14:15], v[4:5], v[6:7]
	v_add_f64 v[26:27], v[16:17], v[8:9]
	v_add_f64 v[30:31], v[4:5], v[18:19]
	ds_read_b128 v[4:7], v50 offset:352
	ds_read_b128 v[10:13], v52 offset:11264
	;; [unrolled: 1-line block ×3, first 2 shown]
	s_waitcnt lgkmcnt(1)
	v_mul_f64 v[8:9], v[6:7], v[12:13]
	v_mul_f64 v[14:15], v[4:5], v[12:13]
	v_fma_f64 v[8:9], v[4:5], v[10:11], -v[8:9]
	v_fma_f64 v[14:15], v[6:7], v[10:11], v[14:15]
	v_add_f64 v[0:1], v[0:1], v[8:9]
	v_add_f64 v[8:9], v[14:15], v[24:25]
	s_waitcnt lgkmcnt(0)
	v_mul_f64 v[14:15], v[6:7], v[18:19]
	v_fma_f64 v[14:15], v[4:5], v[16:17], -v[14:15]
	v_mul_f64 v[4:5], v[4:5], v[18:19]
	v_add_f64 v[36:37], v[56:57], v[14:15]
	v_fma_f64 v[4:5], v[6:7], v[16:17], v[4:5]
	v_add_f64 v[38:39], v[4:5], v[58:59]
	ds_read_b128 v[4:7], v50 offset:8544
	s_waitcnt lgkmcnt(0)
	v_mul_f64 v[14:15], v[6:7], v[12:13]
	v_mul_f64 v[12:13], v[4:5], v[12:13]
	v_fma_f64 v[14:15], v[4:5], v[10:11], -v[14:15]
	v_fma_f64 v[10:11], v[6:7], v[10:11], v[12:13]
	v_add_f64 v[12:13], v[20:21], v[14:15]
	v_add_f64 v[14:15], v[10:11], v[22:23]
	v_mul_f64 v[10:11], v[6:7], v[18:19]
	v_fma_f64 v[10:11], v[4:5], v[16:17], -v[10:11]
	v_mul_f64 v[4:5], v[4:5], v[18:19]
	v_fma_f64 v[4:5], v[6:7], v[16:17], v[4:5]
	v_add_f64 v[16:17], v[26:27], v[10:11]
	v_add_f64 v[18:19], v[4:5], v[30:31]
	ds_read_b128 v[20:23], v50 offset:368
	ds_read_b128 v[4:7], v52 offset:11776
	;; [unrolled: 1-line block ×3, first 2 shown]
	s_waitcnt lgkmcnt(1)
	v_mul_f64 v[10:11], v[22:23], v[6:7]
	v_mul_f64 v[24:25], v[20:21], v[6:7]
	v_fma_f64 v[10:11], v[20:21], v[4:5], -v[10:11]
	v_fma_f64 v[26:27], v[22:23], v[4:5], v[24:25]
	v_add_f64 v[24:25], v[0:1], v[10:11]
	v_add_f64 v[32:33], v[26:27], v[8:9]
	ds_read_b128 v[8:11], v52 offset:12032
	s_waitcnt lgkmcnt(0)
	v_mul_f64 v[0:1], v[22:23], v[10:11]
	v_fma_f64 v[0:1], v[20:21], v[8:9], -v[0:1]
	v_mul_f64 v[20:21], v[20:21], v[10:11]
	v_fma_f64 v[22:23], v[22:23], v[8:9], v[20:21]
	v_add_f64 v[20:21], v[36:37], v[0:1]
	v_mul_f64 v[0:1], v[48:49], v[6:7]
	v_mul_f64 v[6:7], v[46:47], v[6:7]
	v_add_f64 v[22:23], v[22:23], v[38:39]
	v_fma_f64 v[0:1], v[46:47], v[4:5], -v[0:1]
	v_fma_f64 v[4:5], v[48:49], v[4:5], v[6:7]
	v_add_f64 v[26:27], v[12:13], v[0:1]
	v_add_f64 v[14:15], v[4:5], v[14:15]
	v_mul_f64 v[4:5], v[46:47], v[10:11]
	v_mul_f64 v[0:1], v[48:49], v[10:11]
	v_fma_f64 v[4:5], v[48:49], v[8:9], v[4:5]
	v_fma_f64 v[0:1], v[46:47], v[8:9], -v[0:1]
	ds_read_b128 v[6:9], v50 offset:384
	ds_read_b128 v[10:13], v52 offset:12288
	v_add_f64 v[38:39], v[4:5], v[18:19]
	s_waitcnt lgkmcnt(0)
	v_mul_f64 v[4:5], v[6:7], v[12:13]
	v_add_f64 v[36:37], v[16:17], v[0:1]
	v_mul_f64 v[0:1], v[8:9], v[12:13]
	v_fma_f64 v[4:5], v[8:9], v[10:11], v[4:5]
	v_fma_f64 v[0:1], v[6:7], v[10:11], -v[0:1]
	v_add_f64 v[4:5], v[4:5], v[32:33]
	ds_read_b128 v[30:33], v52 offset:12544
	v_add_f64 v[0:1], v[24:25], v[0:1]
	s_waitcnt lgkmcnt(0)
	v_mul_f64 v[16:17], v[8:9], v[32:33]
	v_fma_f64 v[16:17], v[6:7], v[30:31], -v[16:17]
	v_mul_f64 v[6:7], v[6:7], v[32:33]
	v_add_f64 v[44:45], v[20:21], v[16:17]
	v_fma_f64 v[6:7], v[8:9], v[30:31], v[6:7]
	v_add_f64 v[46:47], v[6:7], v[22:23]
	ds_read_b128 v[6:9], v50 offset:8576
	s_waitcnt lgkmcnt(0)
	v_mul_f64 v[16:17], v[8:9], v[12:13]
	v_mul_f64 v[12:13], v[6:7], v[12:13]
	v_fma_f64 v[16:17], v[6:7], v[10:11], -v[16:17]
	v_fma_f64 v[10:11], v[8:9], v[10:11], v[12:13]
	v_add_f64 v[16:17], v[26:27], v[16:17]
	v_add_f64 v[18:19], v[10:11], v[14:15]
	v_mul_f64 v[10:11], v[8:9], v[32:33]
	v_fma_f64 v[10:11], v[6:7], v[30:31], -v[10:11]
	v_mul_f64 v[6:7], v[6:7], v[32:33]
	v_add_f64 v[12:13], v[36:37], v[10:11]
	v_fma_f64 v[6:7], v[8:9], v[30:31], v[6:7]
	ds_read_b128 v[20:23], v50 offset:400
	ds_read_b128 v[8:11], v52 offset:12800
	s_waitcnt lgkmcnt(0)
	v_mul_f64 v[24:25], v[20:21], v[10:11]
	v_add_f64 v[14:15], v[6:7], v[38:39]
	v_mul_f64 v[6:7], v[22:23], v[10:11]
	v_fma_f64 v[26:27], v[22:23], v[8:9], v[24:25]
	v_fma_f64 v[6:7], v[20:21], v[8:9], -v[6:7]
	v_add_f64 v[32:33], v[26:27], v[4:5]
	v_add_f64 v[24:25], v[0:1], v[6:7]
	ds_read_b128 v[4:7], v52 offset:13056
	s_waitcnt lgkmcnt(0)
	v_mul_f64 v[0:1], v[22:23], v[6:7]
	v_fma_f64 v[0:1], v[20:21], v[4:5], -v[0:1]
	v_mul_f64 v[20:21], v[20:21], v[6:7]
	v_fma_f64 v[22:23], v[22:23], v[4:5], v[20:21]
	v_add_f64 v[20:21], v[44:45], v[0:1]
	v_add_f64 v[22:23], v[22:23], v[46:47]
	ds_read_b128 v[46:49], v50 offset:8592
	s_waitcnt lgkmcnt(0)
	v_mul_f64 v[0:1], v[48:49], v[10:11]
	v_mul_f64 v[10:11], v[46:47], v[10:11]
	v_fma_f64 v[0:1], v[46:47], v[8:9], -v[0:1]
	v_fma_f64 v[8:9], v[48:49], v[8:9], v[10:11]
	v_add_f64 v[26:27], v[16:17], v[0:1]
	v_mul_f64 v[0:1], v[48:49], v[6:7]
	v_mul_f64 v[6:7], v[46:47], v[6:7]
	v_add_f64 v[18:19], v[8:9], v[18:19]
	v_fma_f64 v[0:1], v[46:47], v[4:5], -v[0:1]
	v_fma_f64 v[4:5], v[48:49], v[4:5], v[6:7]
	v_add_f64 v[30:31], v[12:13], v[0:1]
	ds_read_b128 v[6:9], v50 offset:416
	ds_read_b128 v[10:13], v52 offset:13312
	v_add_f64 v[36:37], v[4:5], v[14:15]
	ds_read_b128 v[14:17], v52 offset:13568
	s_waitcnt lgkmcnt(1)
	v_mul_f64 v[0:1], v[8:9], v[12:13]
	v_mul_f64 v[4:5], v[6:7], v[12:13]
	v_fma_f64 v[0:1], v[6:7], v[10:11], -v[0:1]
	v_fma_f64 v[4:5], v[8:9], v[10:11], v[4:5]
	v_add_f64 v[0:1], v[24:25], v[0:1]
	s_waitcnt lgkmcnt(0)
	v_mul_f64 v[24:25], v[8:9], v[16:17]
	v_add_f64 v[4:5], v[4:5], v[32:33]
	v_fma_f64 v[24:25], v[6:7], v[14:15], -v[24:25]
	v_mul_f64 v[6:7], v[6:7], v[16:17]
	v_add_f64 v[38:39], v[20:21], v[24:25]
	v_fma_f64 v[6:7], v[8:9], v[14:15], v[6:7]
	v_add_f64 v[44:45], v[6:7], v[22:23]
	ds_read_b128 v[6:9], v50 offset:8608
	s_waitcnt lgkmcnt(0)
	v_mul_f64 v[20:21], v[8:9], v[12:13]
	v_mul_f64 v[12:13], v[6:7], v[12:13]
	v_fma_f64 v[20:21], v[6:7], v[10:11], -v[20:21]
	v_fma_f64 v[10:11], v[8:9], v[10:11], v[12:13]
	v_add_f64 v[20:21], v[26:27], v[20:21]
	v_add_f64 v[22:23], v[10:11], v[18:19]
	v_mul_f64 v[10:11], v[8:9], v[16:17]
	v_fma_f64 v[10:11], v[6:7], v[14:15], -v[10:11]
	v_mul_f64 v[6:7], v[6:7], v[16:17]
	v_add_f64 v[16:17], v[30:31], v[10:11]
	v_fma_f64 v[6:7], v[8:9], v[14:15], v[6:7]
	ds_read_b128 v[12:15], v50 offset:432
	ds_read_b128 v[8:11], v52 offset:13824
	s_waitcnt lgkmcnt(0)
	v_mul_f64 v[24:25], v[12:13], v[10:11]
	v_add_f64 v[18:19], v[6:7], v[36:37]
	v_mul_f64 v[6:7], v[14:15], v[10:11]
	v_fma_f64 v[26:27], v[14:15], v[8:9], v[24:25]
	v_fma_f64 v[6:7], v[12:13], v[8:9], -v[6:7]
	v_add_f64 v[32:33], v[26:27], v[4:5]
	v_add_f64 v[24:25], v[0:1], v[6:7]
	ds_read_b128 v[4:7], v52 offset:14080
	s_waitcnt lgkmcnt(0)
	v_mul_f64 v[0:1], v[14:15], v[6:7]
	v_fma_f64 v[0:1], v[12:13], v[4:5], -v[0:1]
	v_mul_f64 v[12:13], v[12:13], v[6:7]
	v_add_f64 v[56:57], v[38:39], v[0:1]
	v_fma_f64 v[12:13], v[14:15], v[4:5], v[12:13]
	v_add_f64 v[58:59], v[12:13], v[44:45]
	ds_read_b128 v[12:15], v50 offset:8624
	s_waitcnt lgkmcnt(0)
	v_mul_f64 v[0:1], v[14:15], v[10:11]
	v_mul_f64 v[10:11], v[12:13], v[10:11]
	v_fma_f64 v[0:1], v[12:13], v[8:9], -v[0:1]
	v_fma_f64 v[8:9], v[14:15], v[8:9], v[10:11]
	v_add_f64 v[20:21], v[20:21], v[0:1]
	v_mul_f64 v[0:1], v[14:15], v[6:7]
	v_mul_f64 v[6:7], v[12:13], v[6:7]
	v_add_f64 v[22:23], v[8:9], v[22:23]
	v_fma_f64 v[0:1], v[12:13], v[4:5], -v[0:1]
	v_fma_f64 v[4:5], v[14:15], v[4:5], v[6:7]
	ds_read_b128 v[6:9], v50 offset:448
	ds_read_b128 v[10:13], v52 offset:14336
	v_add_f64 v[26:27], v[16:17], v[0:1]
	s_waitcnt lgkmcnt(0)
	v_mul_f64 v[0:1], v[8:9], v[12:13]
	ds_read_b128 v[14:17], v52 offset:14592
	v_add_f64 v[18:19], v[4:5], v[18:19]
	v_mul_f64 v[4:5], v[6:7], v[12:13]
	v_fma_f64 v[0:1], v[6:7], v[10:11], -v[0:1]
	v_fma_f64 v[4:5], v[8:9], v[10:11], v[4:5]
	v_add_f64 v[0:1], v[24:25], v[0:1]
	s_waitcnt lgkmcnt(0)
	v_mul_f64 v[24:25], v[8:9], v[16:17]
	v_add_f64 v[4:5], v[4:5], v[32:33]
	v_fma_f64 v[24:25], v[6:7], v[14:15], -v[24:25]
	v_mul_f64 v[6:7], v[6:7], v[16:17]
	v_add_f64 v[30:31], v[56:57], v[24:25]
	v_fma_f64 v[6:7], v[8:9], v[14:15], v[6:7]
	v_add_f64 v[36:37], v[6:7], v[58:59]
	ds_read_b128 v[6:9], v50 offset:8640
	s_waitcnt lgkmcnt(0)
	v_mul_f64 v[24:25], v[8:9], v[12:13]
	v_mul_f64 v[12:13], v[6:7], v[12:13]
	v_fma_f64 v[24:25], v[6:7], v[10:11], -v[24:25]
	v_fma_f64 v[10:11], v[8:9], v[10:11], v[12:13]
	v_add_f64 v[20:21], v[20:21], v[24:25]
	v_add_f64 v[22:23], v[10:11], v[22:23]
	v_mul_f64 v[10:11], v[8:9], v[16:17]
	v_fma_f64 v[10:11], v[6:7], v[14:15], -v[10:11]
	v_mul_f64 v[6:7], v[6:7], v[16:17]
	v_add_f64 v[16:17], v[26:27], v[10:11]
	v_fma_f64 v[6:7], v[8:9], v[14:15], v[6:7]
	ds_read_b128 v[12:15], v50 offset:464
	ds_read_b128 v[8:11], v52 offset:14848
	s_waitcnt lgkmcnt(0)
	v_mul_f64 v[24:25], v[12:13], v[10:11]
	v_add_f64 v[18:19], v[6:7], v[18:19]
	v_mul_f64 v[6:7], v[14:15], v[10:11]
	v_fma_f64 v[26:27], v[14:15], v[8:9], v[24:25]
	v_fma_f64 v[6:7], v[12:13], v[8:9], -v[6:7]
	v_add_f64 v[32:33], v[26:27], v[4:5]
	v_add_f64 v[24:25], v[0:1], v[6:7]
	ds_read_b128 v[4:7], v52 offset:15104
	s_waitcnt lgkmcnt(0)
	v_mul_f64 v[0:1], v[14:15], v[6:7]
	v_fma_f64 v[0:1], v[12:13], v[4:5], -v[0:1]
	v_mul_f64 v[12:13], v[12:13], v[6:7]
	v_add_f64 v[56:57], v[30:31], v[0:1]
	v_fma_f64 v[12:13], v[14:15], v[4:5], v[12:13]
	v_add_f64 v[58:59], v[12:13], v[36:37]
	ds_read_b128 v[12:15], v50 offset:8656
	s_waitcnt lgkmcnt(0)
	v_mul_f64 v[0:1], v[14:15], v[10:11]
	v_mul_f64 v[10:11], v[12:13], v[10:11]
	v_fma_f64 v[0:1], v[12:13], v[8:9], -v[0:1]
	v_fma_f64 v[8:9], v[14:15], v[8:9], v[10:11]
	v_add_f64 v[20:21], v[20:21], v[0:1]
	v_mul_f64 v[0:1], v[14:15], v[6:7]
	v_mul_f64 v[6:7], v[12:13], v[6:7]
	v_add_f64 v[22:23], v[8:9], v[22:23]
	v_fma_f64 v[0:1], v[12:13], v[4:5], -v[0:1]
	v_fma_f64 v[4:5], v[14:15], v[4:5], v[6:7]
	ds_read_b128 v[6:9], v50 offset:480
	ds_read_b128 v[10:13], v52 offset:15360
	v_add_f64 v[26:27], v[16:17], v[0:1]
	s_waitcnt lgkmcnt(0)
	v_mul_f64 v[0:1], v[8:9], v[12:13]
	ds_read_b128 v[14:17], v52 offset:15616
	v_add_f64 v[18:19], v[4:5], v[18:19]
	v_mul_f64 v[4:5], v[6:7], v[12:13]
	v_fma_f64 v[0:1], v[6:7], v[10:11], -v[0:1]
	v_fma_f64 v[4:5], v[8:9], v[10:11], v[4:5]
	v_add_f64 v[0:1], v[24:25], v[0:1]
	s_waitcnt lgkmcnt(0)
	v_mul_f64 v[24:25], v[8:9], v[16:17]
	v_add_f64 v[4:5], v[4:5], v[32:33]
	v_fma_f64 v[24:25], v[6:7], v[14:15], -v[24:25]
	v_mul_f64 v[6:7], v[6:7], v[16:17]
	v_add_f64 v[24:25], v[56:57], v[24:25]
	v_fma_f64 v[6:7], v[8:9], v[14:15], v[6:7]
	v_add_f64 v[30:31], v[6:7], v[58:59]
	ds_read_b128 v[6:9], v50 offset:8672
	s_waitcnt lgkmcnt(0)
	v_mul_f64 v[32:33], v[8:9], v[12:13]
	v_mul_f64 v[12:13], v[6:7], v[12:13]
	v_fma_f64 v[32:33], v[6:7], v[10:11], -v[32:33]
	v_fma_f64 v[10:11], v[8:9], v[10:11], v[12:13]
	v_add_f64 v[60:61], v[20:21], v[32:33]
	v_add_f64 v[62:63], v[10:11], v[22:23]
	v_mul_f64 v[10:11], v[8:9], v[16:17]
	v_fma_f64 v[10:11], v[6:7], v[14:15], -v[10:11]
	v_mul_f64 v[6:7], v[6:7], v[16:17]
	v_add_f64 v[20:21], v[26:27], v[10:11]
	v_fma_f64 v[6:7], v[8:9], v[14:15], v[6:7]
	ds_read_b128 v[12:15], v50 offset:496
	ds_read_b128 v[8:11], v52 offset:15872
	s_waitcnt lgkmcnt(0)
	v_mul_f64 v[16:17], v[12:13], v[10:11]
	v_add_f64 v[22:23], v[6:7], v[18:19]
	v_mul_f64 v[6:7], v[14:15], v[10:11]
	v_fma_f64 v[16:17], v[14:15], v[8:9], v[16:17]
	v_fma_f64 v[6:7], v[12:13], v[8:9], -v[6:7]
	v_add_f64 v[58:59], v[16:17], v[4:5]
	v_add_f64 v[56:57], v[0:1], v[6:7]
	ds_read_b128 v[4:7], v52 offset:16128
	s_waitcnt lgkmcnt(0)
	v_mul_f64 v[0:1], v[14:15], v[6:7]
	v_fma_f64 v[0:1], v[12:13], v[4:5], -v[0:1]
	v_mul_f64 v[12:13], v[12:13], v[6:7]
	v_add_f64 v[16:17], v[24:25], v[0:1]
	v_fma_f64 v[12:13], v[14:15], v[4:5], v[12:13]
	v_add_f64 v[18:19], v[12:13], v[30:31]
	ds_read_b128 v[12:15], v50 offset:8688
	s_waitcnt lgkmcnt(0)
	s_barrier
	v_mul_f64 v[0:1], v[14:15], v[10:11]
	v_mul_f64 v[10:11], v[12:13], v[10:11]
	v_fma_f64 v[0:1], v[12:13], v[8:9], -v[0:1]
	v_fma_f64 v[8:9], v[14:15], v[8:9], v[10:11]
	v_add_f64 v[60:61], v[60:61], v[0:1]
	v_mul_f64 v[0:1], v[14:15], v[6:7]
	v_mul_f64 v[6:7], v[12:13], v[6:7]
	v_add_f64 v[62:63], v[8:9], v[62:63]
	v_fma_f64 v[0:1], v[12:13], v[4:5], -v[0:1]
	v_fma_f64 v[4:5], v[14:15], v[4:5], v[6:7]
	v_add_f64 v[14:15], v[20:21], v[0:1]
	v_add_f64 v[12:13], v[4:5], v[22:23]
	v_mov_b32_e32 v0, s27
	v_addc_co_u32_e32 v55, vcc, v55, v0, vcc
	v_add_co_u32_e32 v40, vcc, 0x200, v40
	v_addc_co_u32_e32 v41, vcc, 0, v41, vcc
	v_add_co_u32_e32 v42, vcc, 0x200, v42
	v_addc_co_u32_e32 v43, vcc, 0, v43, vcc
	s_cbranch_scc1 .LBB121_56
.LBB121_7:                              ;   Parent Loop BB121_4 Depth=1
                                        ; =>  This Inner Loop Header: Depth=2
	buffer_load_dword v4, off, s[64:67], 0 offset:8 ; 4-byte Folded Reload
	buffer_load_dword v5, off, s[64:67], 0 offset:12 ; 4-byte Folded Reload
	v_mov_b32_e32 v1, s43
	s_waitcnt vmcnt(1)
	v_add_co_u32_e32 v0, vcc, s42, v4
	s_waitcnt vmcnt(0)
	v_addc_co_u32_e32 v1, vcc, v5, v1, vcc
	buffer_load_dword v4, off, s[64:67], 0 offset:24 ; 4-byte Folded Reload
	buffer_load_dword v5, off, s[64:67], 0 offset:28 ; 4-byte Folded Reload
	s_waitcnt vmcnt(0)
	v_cmp_eq_u64_e32 vcc, s[42:43], v[4:5]
	buffer_load_dword v4, off, s[64:67], 0  ; 4-byte Folded Reload
	buffer_load_dword v5, off, s[64:67], 0 offset:4 ; 4-byte Folded Reload
	s_and_b64 s[50:51], s[22:23], vcc
	v_cmp_lt_i64_e32 vcc, v[0:1], v[34:35]
	s_or_b64 s[14:15], s[8:9], vcc
	s_waitcnt vmcnt(1)
	v_add_co_u32_e64 v6, s[12:13], v42, v4
	s_waitcnt vmcnt(0)
	v_addc_co_u32_e64 v7, s[12:13], v43, v5, s[12:13]
	v_cmp_le_i64_e64 s[12:13], s[54:55], v[0:1]
	s_or_b64 s[14:15], s[12:13], s[14:15]
	s_nor_b64 s[14:15], s[14:15], s[50:51]
	s_and_saveexec_b64 s[18:19], s[14:15]
	s_xor_b64 s[14:15], exec, s[18:19]
	s_cbranch_execz .LBB121_9
; %bb.8:                                ;   in Loop: Header=BB121_7 Depth=2
	global_load_dwordx4 v[8:11], v[6:7], off offset:-256
	s_waitcnt vmcnt(0)
	ds_write2_b64 v51, v[8:9], v[10:11] offset1:1
.LBB121_9:                              ;   in Loop: Header=BB121_7 Depth=2
	s_or_saveexec_b64 s[14:15], s[14:15]
	s_xor_b64 s[46:47], s[50:51], -1
	s_xor_b64 exec, exec, s[14:15]
	s_cbranch_execz .LBB121_15
; %bb.10:                               ;   in Loop: Header=BB121_7 Depth=2
	s_and_saveexec_b64 s[18:19], s[46:47]
	s_xor_b64 s[18:19], exec, s[18:19]
; %bb.11:                               ;   in Loop: Header=BB121_7 Depth=2
	v_mov_b32_e32 v8, v2
	v_mov_b32_e32 v9, v2
	;; [unrolled: 1-line block ×4, first 2 shown]
	ds_write_b128 v51, v[8:11]
; %bb.12:                               ;   in Loop: Header=BB121_7 Depth=2
	s_andn2_saveexec_b64 s[18:19], s[18:19]
; %bb.13:                               ;   in Loop: Header=BB121_7 Depth=2
	v_mov_b32_e32 v4, v2
	v_mov_b32_e32 v5, v2
	ds_write_b128 v51, v[2:5]
; %bb.14:                               ;   in Loop: Header=BB121_7 Depth=2
	s_or_b64 exec, exec, s[18:19]
.LBB121_15:                             ;   in Loop: Header=BB121_7 Depth=2
	s_or_b64 exec, exec, s[14:15]
	buffer_load_dword v4, off, s[64:67], 0 offset:56 ; 4-byte Folded Reload
	buffer_load_dword v5, off, s[64:67], 0 offset:60 ; 4-byte Folded Reload
	s_waitcnt vmcnt(0)
	v_cmp_eq_u64_e64 s[14:15], s[42:43], v[4:5]
	v_add_co_u32_e64 v4, s[18:19], 16, v0
	v_addc_co_u32_e64 v5, s[18:19], 0, v1, s[18:19]
	v_cmp_lt_i64_e64 s[18:19], v[4:5], v[34:35]
	s_and_b64 s[20:21], s[22:23], s[14:15]
	v_cmp_le_i64_e64 s[14:15], s[54:55], v[4:5]
	s_or_b64 s[18:19], s[8:9], s[18:19]
	s_or_b64 s[18:19], s[14:15], s[18:19]
	s_nor_b64 s[18:19], s[18:19], s[20:21]
	s_and_saveexec_b64 s[62:63], s[18:19]
	s_xor_b64 s[18:19], exec, s[62:63]
	s_cbranch_execz .LBB121_17
; %bb.16:                               ;   in Loop: Header=BB121_7 Depth=2
	global_load_dwordx4 v[4:7], v[6:7], off
	v_add_u32_e32 v8, 0x100, v51
	s_waitcnt vmcnt(0)
	ds_write2_b64 v8, v[4:5], v[6:7] offset1:1
.LBB121_17:                             ;   in Loop: Header=BB121_7 Depth=2
	s_andn2_saveexec_b64 s[18:19], s[18:19]
	s_cbranch_execz .LBB121_23
; %bb.18:                               ;   in Loop: Header=BB121_7 Depth=2
	s_xor_b64 s[20:21], s[20:21], -1
	s_and_saveexec_b64 s[62:63], s[20:21]
	s_xor_b64 s[20:21], exec, s[62:63]
; %bb.19:                               ;   in Loop: Header=BB121_7 Depth=2
	v_mov_b32_e32 v4, v2
	v_mov_b32_e32 v5, v2
	;; [unrolled: 1-line block ×4, first 2 shown]
	ds_write_b128 v51, v[4:7] offset:256
; %bb.20:                               ;   in Loop: Header=BB121_7 Depth=2
	s_andn2_saveexec_b64 s[20:21], s[20:21]
; %bb.21:                               ;   in Loop: Header=BB121_7 Depth=2
	v_mov_b32_e32 v4, v2
	v_mov_b32_e32 v5, v2
	ds_write_b128 v51, v[2:5] offset:256
; %bb.22:                               ;   in Loop: Header=BB121_7 Depth=2
	s_or_b64 exec, exec, s[20:21]
.LBB121_23:                             ;   in Loop: Header=BB121_7 Depth=2
	s_or_b64 exec, exec, s[18:19]
	buffer_load_dword v4, off, s[64:67], 0  ; 4-byte Folded Reload
	buffer_load_dword v5, off, s[64:67], 0 offset:4 ; 4-byte Folded Reload
	s_waitcnt vmcnt(1)
	v_add_co_u32_e64 v6, s[18:19], v40, v4
	s_waitcnt vmcnt(0)
	v_addc_co_u32_e64 v7, s[18:19], v41, v5, s[18:19]
	buffer_load_dword v4, off, s[64:67], 0 offset:48 ; 4-byte Folded Reload
	buffer_load_dword v5, off, s[64:67], 0 offset:52 ; 4-byte Folded Reload
	s_waitcnt vmcnt(0)
	v_cmp_eq_u64_e64 s[18:19], s[42:43], v[4:5]
	buffer_load_dword v4, off, s[64:67], 0 offset:40 ; 4-byte Folded Reload
	buffer_load_dword v5, off, s[64:67], 0 offset:44 ; 4-byte Folded Reload
	s_and_b64 s[18:19], s[22:23], s[18:19]
	s_waitcnt vmcnt(0)
	v_cmp_lt_i64_e64 s[20:21], v[0:1], v[4:5]
	s_or_b64 s[20:21], s[10:11], s[20:21]
	s_or_b64 s[20:21], s[20:21], s[18:19]
	s_nor_b64 s[12:13], s[12:13], s[20:21]
	s_and_saveexec_b64 s[20:21], s[12:13]
	s_xor_b64 s[12:13], exec, s[20:21]
	s_cbranch_execz .LBB121_25
; %bb.24:                               ;   in Loop: Header=BB121_7 Depth=2
	global_load_dwordx4 v[8:11], v[6:7], off offset:-256
	v_add_u32_e32 v0, 0x2000, v51
	s_waitcnt vmcnt(0)
	ds_write2_b64 v0, v[8:9], v[10:11] offset1:1
.LBB121_25:                             ;   in Loop: Header=BB121_7 Depth=2
	s_andn2_saveexec_b64 s[12:13], s[12:13]
	s_cbranch_execz .LBB121_31
; %bb.26:                               ;   in Loop: Header=BB121_7 Depth=2
	s_xor_b64 s[18:19], s[18:19], -1
	s_and_saveexec_b64 s[20:21], s[18:19]
	s_xor_b64 s[18:19], exec, s[20:21]
; %bb.27:                               ;   in Loop: Header=BB121_7 Depth=2
	v_mov_b32_e32 v8, v2
	v_mov_b32_e32 v9, v2
	;; [unrolled: 1-line block ×4, first 2 shown]
	ds_write_b128 v51, v[8:11] offset:8192
; %bb.28:                               ;   in Loop: Header=BB121_7 Depth=2
	s_andn2_saveexec_b64 s[18:19], s[18:19]
; %bb.29:                               ;   in Loop: Header=BB121_7 Depth=2
	v_mov_b32_e32 v4, v2
	v_mov_b32_e32 v5, v2
	ds_write_b128 v51, v[2:5] offset:8192
; %bb.30:                               ;   in Loop: Header=BB121_7 Depth=2
	s_or_b64 exec, exec, s[18:19]
.LBB121_31:                             ;   in Loop: Header=BB121_7 Depth=2
	s_or_b64 exec, exec, s[12:13]
	s_or_b64 s[12:13], s[10:11], vcc
	s_or_b64 s[12:13], s[14:15], s[12:13]
	s_nor_b64 s[12:13], s[12:13], s[50:51]
	s_and_saveexec_b64 s[14:15], s[12:13]
	s_xor_b64 s[12:13], exec, s[14:15]
	s_cbranch_execz .LBB121_33
; %bb.32:                               ;   in Loop: Header=BB121_7 Depth=2
	global_load_dwordx4 v[4:7], v[6:7], off
	v_add_u32_e32 v0, 0x2100, v51
	s_waitcnt vmcnt(0)
	ds_write2_b64 v0, v[4:5], v[6:7] offset1:1
.LBB121_33:                             ;   in Loop: Header=BB121_7 Depth=2
	s_andn2_saveexec_b64 s[12:13], s[12:13]
	s_cbranch_execz .LBB121_39
; %bb.34:                               ;   in Loop: Header=BB121_7 Depth=2
	s_and_saveexec_b64 s[14:15], s[46:47]
	s_xor_b64 s[14:15], exec, s[14:15]
; %bb.35:                               ;   in Loop: Header=BB121_7 Depth=2
	v_mov_b32_e32 v4, v2
	v_mov_b32_e32 v5, v2
	;; [unrolled: 1-line block ×4, first 2 shown]
	ds_write_b128 v51, v[4:7] offset:8448
; %bb.36:                               ;   in Loop: Header=BB121_7 Depth=2
	s_andn2_saveexec_b64 s[14:15], s[14:15]
; %bb.37:                               ;   in Loop: Header=BB121_7 Depth=2
	v_mov_b32_e32 v4, v2
	v_mov_b32_e32 v5, v2
	ds_write_b128 v51, v[2:5] offset:8448
; %bb.38:                               ;   in Loop: Header=BB121_7 Depth=2
	s_or_b64 exec, exec, s[14:15]
.LBB121_39:                             ;   in Loop: Header=BB121_7 Depth=2
	s_or_b64 exec, exec, s[12:13]
	buffer_load_dword v4, off, s[64:67], 0 offset:16 ; 4-byte Folded Reload
	buffer_load_dword v5, off, s[64:67], 0 offset:20 ; 4-byte Folded Reload
	v_mov_b32_e32 v1, s43
	v_add_co_u32_e32 v0, vcc, s42, v28
	v_addc_co_u32_e32 v1, vcc, v29, v1, vcc
	v_cmp_le_i64_e32 vcc, s[54:55], v[0:1]
	s_waitcnt vmcnt(1)
	v_add_co_u32_e64 v4, s[12:13], v4, v54
	s_waitcnt vmcnt(0)
	v_addc_co_u32_e64 v5, s[12:13], v5, v55, s[12:13]
	s_nor_b64 s[12:13], vcc, s[0:1]
	s_and_saveexec_b64 s[14:15], s[12:13]
	s_xor_b64 s[12:13], exec, s[14:15]
	s_cbranch_execz .LBB121_41
; %bb.40:                               ;   in Loop: Header=BB121_7 Depth=2
	global_load_dwordx4 v[6:9], v[4:5], off offset:-256
	s_waitcnt vmcnt(0)
	ds_write2_b64 v53, v[6:7], v[8:9] offset1:1
.LBB121_41:                             ;   in Loop: Header=BB121_7 Depth=2
	s_andn2_saveexec_b64 s[12:13], s[12:13]
; %bb.42:                               ;   in Loop: Header=BB121_7 Depth=2
	v_mov_b32_e32 v6, v2
	v_mov_b32_e32 v7, v2
	;; [unrolled: 1-line block ×4, first 2 shown]
	ds_write_b128 v53, v[6:9]
; %bb.43:                               ;   in Loop: Header=BB121_7 Depth=2
	s_or_b64 exec, exec, s[12:13]
	s_nor_b64 s[12:13], vcc, s[2:3]
	s_and_saveexec_b64 s[14:15], s[12:13]
	s_xor_b64 s[12:13], exec, s[14:15]
	s_cbranch_execz .LBB121_45
; %bb.44:                               ;   in Loop: Header=BB121_7 Depth=2
	global_load_dwordx4 v[4:7], v[4:5], off
	v_add_u32_e32 v8, 0x100, v53
	s_waitcnt vmcnt(0)
	ds_write2_b64 v8, v[4:5], v[6:7] offset1:1
.LBB121_45:                             ;   in Loop: Header=BB121_7 Depth=2
	s_andn2_saveexec_b64 s[12:13], s[12:13]
; %bb.46:                               ;   in Loop: Header=BB121_7 Depth=2
	v_mov_b32_e32 v4, v2
	v_mov_b32_e32 v5, v2
	;; [unrolled: 1-line block ×4, first 2 shown]
	ds_write_b128 v53, v[4:7] offset:256
; %bb.47:                               ;   in Loop: Header=BB121_7 Depth=2
	s_or_b64 exec, exec, s[12:13]
	v_cmp_le_i64_e32 vcc, s[34:35], v[0:1]
	buffer_load_dword v0, off, s[64:67], 0 offset:32 ; 4-byte Folded Reload
	buffer_load_dword v1, off, s[64:67], 0 offset:36 ; 4-byte Folded Reload
	s_waitcnt vmcnt(1)
	v_add_co_u32_e64 v0, s[12:13], v0, v54
	s_waitcnt vmcnt(0)
	v_addc_co_u32_e64 v1, s[12:13], v1, v55, s[12:13]
	s_nor_b64 s[12:13], vcc, s[0:1]
	s_and_saveexec_b64 s[14:15], s[12:13]
	s_xor_b64 s[12:13], exec, s[14:15]
	s_cbranch_execz .LBB121_49
; %bb.48:                               ;   in Loop: Header=BB121_7 Depth=2
	global_load_dwordx4 v[4:7], v[0:1], off
	v_add_u32_e32 v8, 0x2000, v53
	s_waitcnt vmcnt(0)
	ds_write2_b64 v8, v[4:5], v[6:7] offset1:1
.LBB121_49:                             ;   in Loop: Header=BB121_7 Depth=2
	s_andn2_saveexec_b64 s[12:13], s[12:13]
; %bb.50:                               ;   in Loop: Header=BB121_7 Depth=2
	v_mov_b32_e32 v4, v2
	v_mov_b32_e32 v5, v2
	;; [unrolled: 1-line block ×4, first 2 shown]
	ds_write_b128 v53, v[4:7] offset:8192
; %bb.51:                               ;   in Loop: Header=BB121_7 Depth=2
	s_or_b64 exec, exec, s[12:13]
	s_nor_b64 s[12:13], vcc, s[2:3]
	s_and_saveexec_b64 s[14:15], s[12:13]
	s_xor_b64 s[12:13], exec, s[14:15]
	s_cbranch_execz .LBB121_53
; %bb.52:                               ;   in Loop: Header=BB121_7 Depth=2
	global_load_dwordx4 v[4:7], v[0:1], off offset:256
	v_add_u32_e32 v0, 0x2100, v53
	s_waitcnt vmcnt(0)
	ds_write2_b64 v0, v[4:5], v[6:7] offset1:1
.LBB121_53:                             ;   in Loop: Header=BB121_7 Depth=2
	s_andn2_saveexec_b64 s[12:13], s[12:13]
	s_cbranch_execz .LBB121_6
; %bb.54:                               ;   in Loop: Header=BB121_7 Depth=2
	v_mov_b32_e32 v4, v2
	v_mov_b32_e32 v5, v2
	;; [unrolled: 1-line block ×4, first 2 shown]
	ds_write_b128 v53, v[4:7] offset:8448
	s_branch .LBB121_6
.LBB121_55:                             ;   in Loop: Header=BB121_4 Depth=1
	v_mov_b32_e32 v56, 0
	v_mov_b32_e32 v58, 0
	;; [unrolled: 1-line block ×16, first 2 shown]
.LBB121_56:                             ;   in Loop: Header=BB121_4 Depth=1
	v_mul_lo_u32 v4, s25, v34
	v_mul_lo_u32 v5, s24, v35
	v_mad_u64_u32 v[0:1], s[8:9], s24, v34, 0
	v_cmp_gt_i32_e32 vcc, s54, v34
	v_add3_u32 v1, v1, v5, v4
	v_lshlrev_b64 v[0:1], 4, v[0:1]
	v_mov_b32_e32 v4, s59
	v_add_co_u32_e64 v0, s[8:9], s58, v0
	v_addc_co_u32_e64 v1, s[8:9], v4, v1, s[8:9]
	s_and_b64 s[8:9], s[4:5], vcc
	s_and_saveexec_b64 s[10:11], s[8:9]
	s_cbranch_execz .LBB121_58
; %bb.57:                               ;   in Loop: Header=BB121_4 Depth=1
	buffer_load_dword v4, off, s[64:67], 0 offset:76 ; 4-byte Folded Reload
	buffer_load_dword v5, off, s[64:67], 0 offset:80 ; 4-byte Folded Reload
	v_mul_f64 v[10:11], s[30:31], v[58:59]
	v_mul_f64 v[20:21], s[28:29], v[58:59]
	v_fma_f64 v[10:11], s[28:29], v[56:57], -v[10:11]
	v_fma_f64 v[20:21], s[30:31], v[56:57], v[20:21]
	s_waitcnt vmcnt(1)
	v_add_co_u32_e64 v8, s[8:9], v0, v4
	s_waitcnt vmcnt(0)
	v_addc_co_u32_e64 v9, s[8:9], v1, v5, s[8:9]
	global_load_dwordx4 v[4:7], v[8:9], off
	s_waitcnt vmcnt(0)
	v_add_f64 v[4:5], v[4:5], v[10:11]
	v_add_f64 v[6:7], v[20:21], v[6:7]
	global_store_dwordx4 v[8:9], v[4:7], off
.LBB121_58:                             ;   in Loop: Header=BB121_4 Depth=1
	s_or_b64 exec, exec, s[10:11]
	s_and_b64 s[10:11], s[16:17], vcc
	s_and_saveexec_b64 s[8:9], s[10:11]
	s_cbranch_execz .LBB121_60
; %bb.59:                               ;   in Loop: Header=BB121_4 Depth=1
	buffer_load_dword v4, off, s[64:67], 0 offset:68 ; 4-byte Folded Reload
	buffer_load_dword v5, off, s[64:67], 0 offset:72 ; 4-byte Folded Reload
	v_mul_f64 v[8:9], s[30:31], v[18:19]
	v_mul_f64 v[10:11], s[28:29], v[18:19]
	v_fma_f64 v[8:9], s[28:29], v[16:17], -v[8:9]
	v_fma_f64 v[10:11], s[30:31], v[16:17], v[10:11]
	s_waitcnt vmcnt(0)
	v_lshlrev_b64 v[4:5], 4, v[4:5]
	v_add_co_u32_e32 v0, vcc, v0, v4
	v_addc_co_u32_e32 v1, vcc, v1, v5, vcc
	global_load_dwordx4 v[4:7], v[0:1], off
	s_waitcnt vmcnt(0)
	v_add_f64 v[4:5], v[4:5], v[8:9]
	v_add_f64 v[6:7], v[10:11], v[6:7]
	global_store_dwordx4 v[0:1], v[4:7], off
.LBB121_60:                             ;   in Loop: Header=BB121_4 Depth=1
	s_or_b64 exec, exec, s[8:9]
	v_add_u32_e32 v4, 16, v34
	v_ashrrev_i32_e32 v0, 31, v4
	v_mul_lo_u32 v5, s24, v0
	v_mul_lo_u32 v6, s25, v4
	v_mad_u64_u32 v[0:1], s[8:9], s24, v4, 0
	v_cmp_gt_i32_e32 vcc, s54, v4
	v_mov_b32_e32 v4, s59
	v_add3_u32 v1, v1, v5, v6
	v_lshlrev_b64 v[0:1], 4, v[0:1]
	v_add_co_u32_e64 v0, s[8:9], s58, v0
	v_addc_co_u32_e64 v1, s[8:9], v4, v1, s[8:9]
	s_and_b64 s[8:9], s[4:5], vcc
	s_mov_b64 s[10:11], exec
	buffer_load_dword v18, off, s[64:67], 0 offset:8 ; 4-byte Folded Reload
	buffer_load_dword v19, off, s[64:67], 0 offset:12 ; 4-byte Folded Reload
	s_and_b64 s[8:9], s[10:11], s[8:9]
	s_mov_b64 exec, s[8:9]
	s_cbranch_execz .LBB121_62
; %bb.61:                               ;   in Loop: Header=BB121_4 Depth=1
	buffer_load_dword v4, off, s[64:67], 0 offset:76 ; 4-byte Folded Reload
	buffer_load_dword v5, off, s[64:67], 0 offset:80 ; 4-byte Folded Reload
	v_mul_f64 v[10:11], s[30:31], v[62:63]
	v_mul_f64 v[16:17], s[28:29], v[62:63]
	v_fma_f64 v[10:11], s[28:29], v[60:61], -v[10:11]
	v_fma_f64 v[16:17], s[30:31], v[60:61], v[16:17]
	s_waitcnt vmcnt(1)
	v_add_co_u32_e64 v8, s[8:9], v0, v4
	s_waitcnt vmcnt(0)
	v_addc_co_u32_e64 v9, s[8:9], v1, v5, s[8:9]
	global_load_dwordx4 v[4:7], v[8:9], off
	s_waitcnt vmcnt(0)
	v_add_f64 v[4:5], v[4:5], v[10:11]
	v_add_f64 v[6:7], v[16:17], v[6:7]
	global_store_dwordx4 v[8:9], v[4:7], off
.LBB121_62:                             ;   in Loop: Header=BB121_4 Depth=1
	s_or_b64 exec, exec, s[10:11]
	s_and_b64 s[10:11], s[16:17], vcc
	s_and_saveexec_b64 s[8:9], s[10:11]
	s_cbranch_execz .LBB121_3
; %bb.63:                               ;   in Loop: Header=BB121_4 Depth=1
	buffer_load_dword v4, off, s[64:67], 0 offset:68 ; 4-byte Folded Reload
	buffer_load_dword v5, off, s[64:67], 0 offset:72 ; 4-byte Folded Reload
	v_mul_f64 v[8:9], s[30:31], v[12:13]
	v_mul_f64 v[10:11], s[28:29], v[12:13]
	v_fma_f64 v[8:9], s[28:29], v[14:15], -v[8:9]
	v_fma_f64 v[10:11], s[30:31], v[14:15], v[10:11]
	s_waitcnt vmcnt(0)
	v_lshlrev_b64 v[4:5], 4, v[4:5]
	v_add_co_u32_e32 v0, vcc, v0, v4
	v_addc_co_u32_e32 v1, vcc, v1, v5, vcc
	global_load_dwordx4 v[4:7], v[0:1], off
	s_waitcnt vmcnt(0)
	v_add_f64 v[4:5], v[4:5], v[8:9]
	v_add_f64 v[6:7], v[10:11], v[6:7]
	global_store_dwordx4 v[0:1], v[4:7], off
	s_branch .LBB121_3
.LBB121_64:
	s_endpgm
	.section	.rodata,"a",@progbits
	.p2align	6, 0x0
	.amdhsa_kernel _ZL30rocblas_trmm_outofplace_kernelI19rocblas_complex_numIdELi32ELi2ELb0ELb0ELb0ELb0ES1_KS1_S1_Ev17rocblas_diagonal_iiT6_lPT7_lllS6_lllPT8_llli
		.amdhsa_group_segment_fixed_size 32768
		.amdhsa_private_segment_fixed_size 96
		.amdhsa_kernarg_size 400
		.amdhsa_user_sgpr_count 6
		.amdhsa_user_sgpr_private_segment_buffer 1
		.amdhsa_user_sgpr_dispatch_ptr 0
		.amdhsa_user_sgpr_queue_ptr 0
		.amdhsa_user_sgpr_kernarg_segment_ptr 1
		.amdhsa_user_sgpr_dispatch_id 0
		.amdhsa_user_sgpr_flat_scratch_init 0
		.amdhsa_user_sgpr_private_segment_size 0
		.amdhsa_uses_dynamic_stack 0
		.amdhsa_system_sgpr_private_segment_wavefront_offset 1
		.amdhsa_system_sgpr_workgroup_id_x 1
		.amdhsa_system_sgpr_workgroup_id_y 1
		.amdhsa_system_sgpr_workgroup_id_z 1
		.amdhsa_system_sgpr_workgroup_info 0
		.amdhsa_system_vgpr_workitem_id 1
		.amdhsa_next_free_vgpr 64
		.amdhsa_next_free_sgpr 68
		.amdhsa_reserve_vcc 1
		.amdhsa_reserve_flat_scratch 0
		.amdhsa_float_round_mode_32 0
		.amdhsa_float_round_mode_16_64 0
		.amdhsa_float_denorm_mode_32 3
		.amdhsa_float_denorm_mode_16_64 3
		.amdhsa_dx10_clamp 1
		.amdhsa_ieee_mode 1
		.amdhsa_fp16_overflow 0
		.amdhsa_exception_fp_ieee_invalid_op 0
		.amdhsa_exception_fp_denorm_src 0
		.amdhsa_exception_fp_ieee_div_zero 0
		.amdhsa_exception_fp_ieee_overflow 0
		.amdhsa_exception_fp_ieee_underflow 0
		.amdhsa_exception_fp_ieee_inexact 0
		.amdhsa_exception_int_div_zero 0
	.end_amdhsa_kernel
	.section	.text._ZL30rocblas_trmm_outofplace_kernelI19rocblas_complex_numIdELi32ELi2ELb0ELb0ELb0ELb0ES1_KS1_S1_Ev17rocblas_diagonal_iiT6_lPT7_lllS6_lllPT8_llli,"axG",@progbits,_ZL30rocblas_trmm_outofplace_kernelI19rocblas_complex_numIdELi32ELi2ELb0ELb0ELb0ELb0ES1_KS1_S1_Ev17rocblas_diagonal_iiT6_lPT7_lllS6_lllPT8_llli,comdat
.Lfunc_end121:
	.size	_ZL30rocblas_trmm_outofplace_kernelI19rocblas_complex_numIdELi32ELi2ELb0ELb0ELb0ELb0ES1_KS1_S1_Ev17rocblas_diagonal_iiT6_lPT7_lllS6_lllPT8_llli, .Lfunc_end121-_ZL30rocblas_trmm_outofplace_kernelI19rocblas_complex_numIdELi32ELi2ELb0ELb0ELb0ELb0ES1_KS1_S1_Ev17rocblas_diagonal_iiT6_lPT7_lllS6_lllPT8_llli
                                        ; -- End function
	.set _ZL30rocblas_trmm_outofplace_kernelI19rocblas_complex_numIdELi32ELi2ELb0ELb0ELb0ELb0ES1_KS1_S1_Ev17rocblas_diagonal_iiT6_lPT7_lllS6_lllPT8_llli.num_vgpr, 64
	.set _ZL30rocblas_trmm_outofplace_kernelI19rocblas_complex_numIdELi32ELi2ELb0ELb0ELb0ELb0ES1_KS1_S1_Ev17rocblas_diagonal_iiT6_lPT7_lllS6_lllPT8_llli.num_agpr, 0
	.set _ZL30rocblas_trmm_outofplace_kernelI19rocblas_complex_numIdELi32ELi2ELb0ELb0ELb0ELb0ES1_KS1_S1_Ev17rocblas_diagonal_iiT6_lPT7_lllS6_lllPT8_llli.numbered_sgpr, 68
	.set _ZL30rocblas_trmm_outofplace_kernelI19rocblas_complex_numIdELi32ELi2ELb0ELb0ELb0ELb0ES1_KS1_S1_Ev17rocblas_diagonal_iiT6_lPT7_lllS6_lllPT8_llli.num_named_barrier, 0
	.set _ZL30rocblas_trmm_outofplace_kernelI19rocblas_complex_numIdELi32ELi2ELb0ELb0ELb0ELb0ES1_KS1_S1_Ev17rocblas_diagonal_iiT6_lPT7_lllS6_lllPT8_llli.private_seg_size, 96
	.set _ZL30rocblas_trmm_outofplace_kernelI19rocblas_complex_numIdELi32ELi2ELb0ELb0ELb0ELb0ES1_KS1_S1_Ev17rocblas_diagonal_iiT6_lPT7_lllS6_lllPT8_llli.uses_vcc, 1
	.set _ZL30rocblas_trmm_outofplace_kernelI19rocblas_complex_numIdELi32ELi2ELb0ELb0ELb0ELb0ES1_KS1_S1_Ev17rocblas_diagonal_iiT6_lPT7_lllS6_lllPT8_llli.uses_flat_scratch, 0
	.set _ZL30rocblas_trmm_outofplace_kernelI19rocblas_complex_numIdELi32ELi2ELb0ELb0ELb0ELb0ES1_KS1_S1_Ev17rocblas_diagonal_iiT6_lPT7_lllS6_lllPT8_llli.has_dyn_sized_stack, 0
	.set _ZL30rocblas_trmm_outofplace_kernelI19rocblas_complex_numIdELi32ELi2ELb0ELb0ELb0ELb0ES1_KS1_S1_Ev17rocblas_diagonal_iiT6_lPT7_lllS6_lllPT8_llli.has_recursion, 0
	.set _ZL30rocblas_trmm_outofplace_kernelI19rocblas_complex_numIdELi32ELi2ELb0ELb0ELb0ELb0ES1_KS1_S1_Ev17rocblas_diagonal_iiT6_lPT7_lllS6_lllPT8_llli.has_indirect_call, 0
	.section	.AMDGPU.csdata,"",@progbits
; Kernel info:
; codeLenInByte = 10560
; TotalNumSgprs: 72
; NumVgprs: 64
; ScratchSize: 96
; MemoryBound: 0
; FloatMode: 240
; IeeeMode: 1
; LDSByteSize: 32768 bytes/workgroup (compile time only)
; SGPRBlocks: 8
; VGPRBlocks: 15
; NumSGPRsForWavesPerEU: 72
; NumVGPRsForWavesPerEU: 64
; Occupancy: 4
; WaveLimiterHint : 0
; COMPUTE_PGM_RSRC2:SCRATCH_EN: 1
; COMPUTE_PGM_RSRC2:USER_SGPR: 6
; COMPUTE_PGM_RSRC2:TRAP_HANDLER: 0
; COMPUTE_PGM_RSRC2:TGID_X_EN: 1
; COMPUTE_PGM_RSRC2:TGID_Y_EN: 1
; COMPUTE_PGM_RSRC2:TGID_Z_EN: 1
; COMPUTE_PGM_RSRC2:TIDIG_COMP_CNT: 1
	.section	.text._ZL30rocblas_trmm_outofplace_kernelI19rocblas_complex_numIdELi32ELi2ELb0ELb1ELb0ELb0EPKS1_S2_S1_Ev17rocblas_diagonal_iiT6_lPT7_lllS7_lllPT8_llli,"axG",@progbits,_ZL30rocblas_trmm_outofplace_kernelI19rocblas_complex_numIdELi32ELi2ELb0ELb1ELb0ELb0EPKS1_S2_S1_Ev17rocblas_diagonal_iiT6_lPT7_lllS7_lllPT8_llli,comdat
	.globl	_ZL30rocblas_trmm_outofplace_kernelI19rocblas_complex_numIdELi32ELi2ELb0ELb1ELb0ELb0EPKS1_S2_S1_Ev17rocblas_diagonal_iiT6_lPT7_lllS7_lllPT8_llli ; -- Begin function _ZL30rocblas_trmm_outofplace_kernelI19rocblas_complex_numIdELi32ELi2ELb0ELb1ELb0ELb0EPKS1_S2_S1_Ev17rocblas_diagonal_iiT6_lPT7_lllS7_lllPT8_llli
	.p2align	8
	.type	_ZL30rocblas_trmm_outofplace_kernelI19rocblas_complex_numIdELi32ELi2ELb0ELb1ELb0ELb0EPKS1_S2_S1_Ev17rocblas_diagonal_iiT6_lPT7_lllS7_lllPT8_llli,@function
_ZL30rocblas_trmm_outofplace_kernelI19rocblas_complex_numIdELi32ELi2ELb0ELb1ELb0ELb0EPKS1_S2_S1_Ev17rocblas_diagonal_iiT6_lPT7_lllS7_lllPT8_llli: ; @_ZL30rocblas_trmm_outofplace_kernelI19rocblas_complex_numIdELi32ELi2ELb0ELb1ELb0ELb0EPKS1_S2_S1_Ev17rocblas_diagonal_iiT6_lPT7_lllS7_lllPT8_llli
; %bb.0:
	s_load_dwordx16 s[16:31], s[4:5], 0x10
	s_mov_b64 s[58:59], s[2:3]
	s_mov_b64 s[56:57], s[0:1]
	s_add_u32 s56, s56, s9
	s_addc_u32 s57, s57, 0
	s_waitcnt lgkmcnt(0)
	s_mul_i32 s0, s19, s8
	s_mul_hi_u32 s1, s18, s8
	s_add_i32 s1, s1, s0
	s_mul_i32 s0, s18, s8
	s_lshl_b64 s[0:1], s[0:1], 4
	s_add_u32 s0, s16, s0
	s_addc_u32 s1, s17, s1
	s_load_dwordx4 s[36:39], s[0:1], 0x0
	buffer_store_dword v0, off, s[56:59], 0 offset:24 ; 4-byte Folded Spill
	s_waitcnt lgkmcnt(0)
	v_cmp_eq_f64_e64 s[0:1], s[36:37], 0
	v_cmp_eq_f64_e64 s[2:3], s[38:39], 0
	s_and_b64 s[0:1], s[0:1], s[2:3]
	s_and_b64 vcc, exec, s[0:1]
	s_cbranch_vccnz .LBB122_63
; %bb.1:
	s_load_dwordx4 s[40:43], s[4:5], 0x0
	s_waitcnt lgkmcnt(0)
	s_add_i32 s0, s42, -1
	s_ashr_i32 s1, s0, 31
	s_lshr_b32 s1, s1, 27
	s_add_i32 s0, s0, s1
	s_ashr_i32 s33, s0, 5
	s_cmp_gt_i32 s7, s33
	s_cbranch_scc1 .LBB122_63
; %bb.2:
	s_load_dwordx8 s[12:19], s[4:5], 0x50
	s_load_dwordx4 s[44:47], s[4:5], 0x70
	buffer_load_dword v9, off, s[56:59], 0 offset:24 ; 4-byte Folded Reload
	s_load_dword s50, s[4:5], 0x8c
	v_mov_b32_e32 v32, v1
	s_waitcnt lgkmcnt(0)
	s_mul_i32 s1, s15, s8
	s_mul_hi_u32 s2, s14, s8
	s_mul_i32 s0, s14, s8
	s_add_i32 s1, s2, s1
	s_lshl_b64 s[0:1], s[0:1], 4
	s_add_u32 s2, s28, s0
	s_addc_u32 s3, s29, s1
	s_lshl_b64 s[0:1], s[30:31], 4
	s_add_u32 s2, s2, s0
	s_addc_u32 s3, s3, s1
	s_mul_i32 s0, s47, s8
	s_mul_hi_u32 s1, s46, s8
	s_add_i32 s1, s1, s0
	s_mul_i32 s0, s46, s8
	s_lshl_b64 s[0:1], s[0:1], 4
	s_add_u32 s4, s16, s0
	s_addc_u32 s5, s17, s1
	s_lshl_b64 s[0:1], s[18:19], 4
	s_add_u32 s51, s4, s0
	s_addc_u32 s52, s5, s1
	v_mov_b32_e32 v0, s3
	s_cmpk_eq_i32 s40, 0x84
	s_cselect_b64 s[28:29], -1, 0
	s_ashr_i32 s0, s41, 31
	v_lshlrev_b32_e32 v63, 9, v32
	s_ashr_i32 s43, s42, 31
	s_lshl_b64 s[30:31], s[12:13], 9
	s_add_u32 s34, s42, -16
	s_mul_i32 s9, s27, s8
	s_mul_hi_u32 s10, s26, s8
	s_addc_u32 s35, s43, -1
	s_add_i32 s9, s10, s9
	s_mul_i32 s8, s26, s8
	s_lshl_b64 s[8:9], s[8:9], 4
	s_lshl_b64 s[10:11], s[22:23], 4
	v_mov_b32_e32 v2, 0
	v_lshl_add_u32 v20, s7, 5, v32
	s_waitcnt vmcnt(0)
	v_lshl_add_u32 v3, s6, 5, v9
	v_ashrrev_i32_e32 v4, 31, v3
	v_lshlrev_b64 v[5:6], 4, v[3:4]
	v_lshlrev_b32_e32 v1, 4, v9
	v_add_co_u32_e32 v7, vcc, s2, v5
	buffer_store_dword v5, off, s[56:59], 0 offset:56 ; 4-byte Folded Spill
	s_nop 0
	buffer_store_dword v6, off, s[56:59], 0 offset:60 ; 4-byte Folded Spill
	v_add_u32_e32 v24, v63, v1
	v_mov_b32_e32 v30, v1
	v_or_b32_e32 v25, 0x4000, v1
	s_movk_i32 s6, 0x100
	v_add_u32_e32 v31, v25, v63
	v_addc_co_u32_e32 v8, vcc, v0, v6, vcc
	buffer_store_dword v7, off, s[56:59], 0 offset:72 ; 4-byte Folded Spill
	s_nop 0
	buffer_store_dword v8, off, s[56:59], 0 offset:76 ; 4-byte Folded Spill
	v_mov_b32_e32 v0, s0
	v_mad_u64_u32 v[7:8], s[0:1], s12, v32, 0
	v_sub_co_u32_e32 v5, vcc, s41, v3
	v_subb_co_u32_e32 v6, vcc, v0, v4, vcc
	v_mov_b32_e32 v0, v8
	v_cmp_gt_i64_e64 s[0:1], 1, v[5:6]
	v_cmp_gt_i64_e64 s[2:3], 17, v[5:6]
	v_mad_u64_u32 v[4:5], s[4:5], s13, v32, v[0:1]
	v_mov_b32_e32 v0, 0x100
	v_lshl_add_u32 v1, v32, 4, v0
	v_mad_u64_u32 v[10:11], s[4:5], s12, v1, 0
	v_mov_b32_e32 v8, v4
	v_lshlrev_b64 v[4:5], 4, v[7:8]
	v_mov_b32_e32 v0, v10
	buffer_store_dword v0, off, s[56:59], 0 offset:28 ; 4-byte Folded Spill
	s_nop 0
	buffer_store_dword v1, off, s[56:59], 0 offset:32 ; 4-byte Folded Spill
	v_mov_b32_e32 v0, v11
	v_mad_u64_u32 v[6:7], s[4:5], s13, v1, v[0:1]
	v_add_co_u32_e32 v0, vcc, s6, v4
	buffer_store_dword v0, off, s[56:59], 0 offset:36 ; 4-byte Folded Spill
	v_addc_co_u32_e32 v0, vcc, 0, v5, vcc
	v_add_u32_e32 v4, 16, v3
	s_lshl_b32 s6, s50, 5
	buffer_store_dword v0, off, s[56:59], 0 offset:40 ; 4-byte Folded Spill
	v_mov_b32_e32 v0, v6
	v_ashrrev_i32_e32 v5, 31, v4
	s_add_u32 s8, s8, s10
	buffer_store_dword v0, off, s[56:59], 0 offset:44 ; 4-byte Folded Spill
	s_addc_u32 s9, s9, s11
	v_lshlrev_b64 v[0:1], 4, v[4:5]
	s_add_u32 s8, s20, s8
	s_addc_u32 s9, s21, s9
	buffer_store_dword v0, off, s[56:59], 0 offset:64 ; 4-byte Folded Spill
	s_nop 0
	buffer_store_dword v1, off, s[56:59], 0 offset:68 ; 4-byte Folded Spill
	s_add_u32 s22, s8, 0x100
	v_sub_co_u32_e32 v0, vcc, 0, v9
	v_cmp_gt_i32_e64 s[4:5], s41, v3
	v_cmp_gt_i32_e64 s[16:17], s41, v4
	s_addc_u32 s23, s9, 0
	s_lshl_b64 s[26:27], s[24:25], 4
	v_mov_b32_e32 v3, 0x3ff00000
	buffer_store_dword v0, off, s[56:59], 0 offset:80 ; 4-byte Folded Spill
	v_subb_co_u32_e64 v0, s[8:9], 0, 0, vcc
	buffer_store_dword v0, off, s[56:59], 0 offset:84 ; 4-byte Folded Spill
	s_branch .LBB122_4
.LBB122_3:                              ;   in Loop: Header=BB122_4 Depth=1
	s_or_b64 exec, exec, s[8:9]
	s_add_i32 s7, s50, s7
	s_cmp_le_i32 s7, s33
	s_waitcnt vmcnt(1)
	v_add_u32_e32 v20, s6, v20
	s_cbranch_scc0 .LBB122_63
.LBB122_4:                              ; =>This Loop Header: Depth=1
                                        ;     Child Loop BB122_7 Depth 2
	s_lshl_b32 s53, s7, 5
	v_add_u32_e32 v33, s53, v32
	v_mov_b32_e32 v49, 0
	v_mov_b32_e32 v51, 0
	;; [unrolled: 1-line block ×9, first 2 shown]
	s_cmp_lt_i32 s7, 0
	v_mov_b32_e32 v52, 0
	v_mov_b32_e32 v17, 0
	;; [unrolled: 1-line block ×7, first 2 shown]
	v_ashrrev_i32_e32 v34, 31, v33
	buffer_store_dword v20, off, s[56:59], 0 offset:48 ; 4-byte Folded Spill
	s_waitcnt vmcnt(1)
	buffer_store_dword v21, off, s[56:59], 0 offset:52 ; 4-byte Folded Spill
	s_cbranch_scc1 .LBB122_55
; %bb.5:                                ;   in Loop: Header=BB122_4 Depth=1
	buffer_load_dword v0, off, s[56:59], 0 offset:48 ; 4-byte Folded Reload
	buffer_load_dword v1, off, s[56:59], 0 offset:52 ; 4-byte Folded Reload
	v_mov_b32_e32 v12, 0
	v_mov_b32_e32 v14, 0
	;; [unrolled: 1-line block ×9, first 2 shown]
	s_mov_b64 s[40:41], 0
	v_mov_b32_e32 v15, 0
	v_mov_b32_e32 v56, 0
	;; [unrolled: 1-line block ×7, first 2 shown]
	s_waitcnt vmcnt(1)
	v_mov_b32_e32 v7, v0
	v_ashrrev_i32_e32 v8, 31, v7
	v_lshlrev_b64 v[4:5], 4, v[7:8]
	v_add_co_u32_e32 v0, vcc, 0x100, v4
	s_waitcnt vmcnt(0)
	v_addc_co_u32_e32 v1, vcc, 0, v5, vcc
	v_mov_b32_e32 v4, s22
	v_mov_b32_e32 v5, s23
	v_mad_u64_u32 v[35:36], s[8:9], s24, v0, v[4:5]
	v_mad_u64_u32 v[37:38], s[8:9], s26, v7, v[4:5]
	buffer_load_dword v5, off, s[56:59], 0 offset:80 ; 4-byte Folded Reload
	v_mul_lo_u32 v6, s25, v0
	v_mul_lo_u32 v0, s27, v7
	;; [unrolled: 1-line block ×4, first 2 shown]
	v_cmp_le_i32_e64 s[8:9], s42, v33
	v_add3_u32 v38, v0, v38, v4
	v_add3_u32 v36, v6, v36, v1
	s_waitcnt vmcnt(0)
	v_add_co_u32_e32 v39, vcc, v5, v7
	buffer_load_dword v5, off, s[56:59], 0 offset:84 ; 4-byte Folded Reload
	s_nop 0
	buffer_store_dword v7, off, s[56:59], 0 offset:48 ; 4-byte Folded Spill
	s_nop 0
	buffer_store_dword v8, off, s[56:59], 0 offset:52 ; 4-byte Folded Spill
	s_waitcnt vmcnt(2)
	v_addc_co_u32_e32 v40, vcc, v5, v8, vcc
	v_add_co_u32_e32 v0, vcc, 16, v33
	v_addc_co_u32_e32 v1, vcc, 0, v34, vcc
	buffer_store_dword v0, off, s[56:59], 0 ; 4-byte Folded Spill
	s_nop 0
	buffer_store_dword v1, off, s[56:59], 0 offset:4 ; 4-byte Folded Spill
	v_cmp_le_i64_e64 s[10:11], s[42:43], v[0:1]
	v_add_co_u32_e32 v0, vcc, 16, v39
	v_addc_co_u32_e32 v1, vcc, 0, v40, vcc
	buffer_store_dword v0, off, s[56:59], 0 offset:8 ; 4-byte Folded Spill
	s_nop 0
	buffer_store_dword v1, off, s[56:59], 0 offset:12 ; 4-byte Folded Spill
	v_add_co_u32_e32 v0, vcc, -16, v39
	v_addc_co_u32_e32 v1, vcc, -1, v40, vcc
	buffer_store_dword v0, off, s[56:59], 0 offset:16 ; 4-byte Folded Spill
	s_nop 0
	buffer_store_dword v1, off, s[56:59], 0 offset:20 ; 4-byte Folded Spill
	buffer_load_dword v47, off, s[56:59], 0 offset:72 ; 4-byte Folded Reload
	buffer_load_dword v48, off, s[56:59], 0 offset:76 ; 4-byte Folded Reload
	s_branch .LBB122_7
.LBB122_6:                              ;   in Loop: Header=BB122_7 Depth=2
	s_or_b64 exec, exec, s[12:13]
	s_waitcnt lgkmcnt(0)
	s_barrier
	ds_read_b128 v[57:60], v63
	ds_read_b128 v[20:23], v63 offset:16
	ds_read_b128 v[8:11], v63 offset:32
	;; [unrolled: 1-line block ×3, first 2 shown]
	ds_read_b128 v[26:29], v25
	v_add_co_u32_e32 v47, vcc, s30, v47
	s_add_u32 s40, s40, 32
	s_addc_u32 s41, s41, 0
	s_waitcnt lgkmcnt(0)
	v_mul_f64 v[61:62], v[59:60], v[28:29]
	v_mul_f64 v[43:44], v[57:58], v[28:29]
	s_sub_i32 s12, s40, 32
	s_cmp_ge_i32 s12, s53
	v_fma_f64 v[61:62], v[57:58], v[26:27], -v[61:62]
	v_fma_f64 v[43:44], v[59:60], v[26:27], v[43:44]
	v_add_f64 v[0:1], v[49:50], v[61:62]
	v_add_f64 v[43:44], v[43:44], v[51:52]
	ds_read_b128 v[49:52], v25 offset:256
	s_waitcnt lgkmcnt(0)
	v_mul_f64 v[61:62], v[59:60], v[51:52]
	v_fma_f64 v[61:62], v[57:58], v[49:50], -v[61:62]
	v_mul_f64 v[57:58], v[57:58], v[51:52]
	v_add_f64 v[45:46], v[16:17], v[61:62]
	v_fma_f64 v[57:58], v[59:60], v[49:50], v[57:58]
	v_add_f64 v[41:42], v[57:58], v[18:19]
	ds_read_b128 v[16:19], v63 offset:8192
	s_waitcnt lgkmcnt(0)
	v_mul_f64 v[57:58], v[18:19], v[28:29]
	v_mul_f64 v[28:29], v[16:17], v[28:29]
	v_fma_f64 v[57:58], v[16:17], v[26:27], -v[57:58]
	v_fma_f64 v[26:27], v[18:19], v[26:27], v[28:29]
	v_mul_f64 v[28:29], v[18:19], v[51:52]
	v_add_f64 v[61:62], v[53:54], v[57:58]
	v_add_f64 v[26:27], v[26:27], v[55:56]
	v_fma_f64 v[28:29], v[16:17], v[49:50], -v[28:29]
	v_mul_f64 v[16:17], v[16:17], v[51:52]
	v_add_f64 v[57:58], v[14:15], v[28:29]
	v_fma_f64 v[16:17], v[18:19], v[49:50], v[16:17]
	v_add_f64 v[59:60], v[16:17], v[12:13]
	ds_read_b128 v[16:19], v25 offset:512
	s_waitcnt lgkmcnt(0)
	v_mul_f64 v[12:13], v[22:23], v[18:19]
	v_mul_f64 v[14:15], v[20:21], v[18:19]
	v_fma_f64 v[12:13], v[20:21], v[16:17], -v[12:13]
	v_fma_f64 v[14:15], v[22:23], v[16:17], v[14:15]
	v_add_f64 v[53:54], v[0:1], v[12:13]
	v_add_f64 v[55:56], v[14:15], v[43:44]
	ds_read_b128 v[12:15], v25 offset:768
	s_waitcnt lgkmcnt(0)
	v_mul_f64 v[0:1], v[22:23], v[14:15]
	v_fma_f64 v[0:1], v[20:21], v[12:13], -v[0:1]
	v_mul_f64 v[20:21], v[20:21], v[14:15]
	v_add_f64 v[49:50], v[45:46], v[0:1]
	v_fma_f64 v[20:21], v[22:23], v[12:13], v[20:21]
	v_add_f64 v[51:52], v[20:21], v[41:42]
	ds_read_b128 v[20:23], v63 offset:8208
	s_waitcnt lgkmcnt(0)
	v_mul_f64 v[0:1], v[22:23], v[18:19]
	v_mul_f64 v[18:19], v[20:21], v[18:19]
	v_fma_f64 v[0:1], v[20:21], v[16:17], -v[0:1]
	v_fma_f64 v[18:19], v[22:23], v[16:17], v[18:19]
	v_add_f64 v[16:17], v[61:62], v[0:1]
	v_mul_f64 v[0:1], v[22:23], v[14:15]
	v_mul_f64 v[14:15], v[20:21], v[14:15]
	v_add_f64 v[18:19], v[18:19], v[26:27]
	v_fma_f64 v[0:1], v[20:21], v[12:13], -v[0:1]
	v_fma_f64 v[14:15], v[22:23], v[12:13], v[14:15]
	ds_read_b128 v[20:23], v25 offset:1024
	s_waitcnt lgkmcnt(0)
	v_mul_f64 v[26:27], v[8:9], v[22:23]
	v_add_f64 v[12:13], v[57:58], v[0:1]
	v_mul_f64 v[0:1], v[10:11], v[22:23]
	v_add_f64 v[14:15], v[14:15], v[59:60]
	v_fma_f64 v[26:27], v[10:11], v[20:21], v[26:27]
	v_fma_f64 v[0:1], v[8:9], v[20:21], -v[0:1]
	v_add_f64 v[41:42], v[26:27], v[55:56]
	ds_read_b128 v[26:29], v25 offset:1280
	v_add_f64 v[0:1], v[53:54], v[0:1]
	s_waitcnt lgkmcnt(0)
	v_mul_f64 v[43:44], v[10:11], v[28:29]
	v_fma_f64 v[43:44], v[8:9], v[26:27], -v[43:44]
	v_mul_f64 v[8:9], v[8:9], v[28:29]
	v_add_f64 v[43:44], v[49:50], v[43:44]
	v_fma_f64 v[8:9], v[10:11], v[26:27], v[8:9]
	v_add_f64 v[45:46], v[8:9], v[51:52]
	ds_read_b128 v[8:11], v63 offset:8224
	ds_read_b128 v[51:54], v63 offset:8240
	s_waitcnt lgkmcnt(1)
	v_mul_f64 v[49:50], v[10:11], v[22:23]
	v_mul_f64 v[22:23], v[8:9], v[22:23]
	v_fma_f64 v[49:50], v[8:9], v[20:21], -v[49:50]
	v_fma_f64 v[22:23], v[10:11], v[20:21], v[22:23]
	v_add_f64 v[20:21], v[16:17], v[49:50]
	v_mul_f64 v[16:17], v[10:11], v[28:29]
	v_add_f64 v[22:23], v[22:23], v[18:19]
	v_fma_f64 v[16:17], v[8:9], v[26:27], -v[16:17]
	v_mul_f64 v[8:9], v[8:9], v[28:29]
	v_fma_f64 v[8:9], v[10:11], v[26:27], v[8:9]
	v_add_f64 v[26:27], v[12:13], v[16:17]
	v_add_f64 v[49:50], v[8:9], v[14:15]
	ds_read_b128 v[8:11], v25 offset:1536
	s_waitcnt lgkmcnt(0)
	v_mul_f64 v[12:13], v[6:7], v[10:11]
	v_mul_f64 v[14:15], v[4:5], v[10:11]
	v_fma_f64 v[12:13], v[4:5], v[8:9], -v[12:13]
	v_fma_f64 v[14:15], v[6:7], v[8:9], v[14:15]
	v_add_f64 v[16:17], v[0:1], v[12:13]
	v_add_f64 v[18:19], v[14:15], v[41:42]
	ds_read_b128 v[12:15], v25 offset:1792
	s_waitcnt lgkmcnt(0)
	v_mul_f64 v[0:1], v[6:7], v[14:15]
	v_fma_f64 v[0:1], v[4:5], v[12:13], -v[0:1]
	v_mul_f64 v[4:5], v[4:5], v[14:15]
	v_fma_f64 v[6:7], v[6:7], v[12:13], v[4:5]
	v_add_f64 v[4:5], v[43:44], v[0:1]
	v_mul_f64 v[0:1], v[53:54], v[10:11]
	v_mul_f64 v[10:11], v[51:52], v[10:11]
	v_add_f64 v[6:7], v[6:7], v[45:46]
	v_fma_f64 v[0:1], v[51:52], v[8:9], -v[0:1]
	v_fma_f64 v[8:9], v[53:54], v[8:9], v[10:11]
	v_mul_f64 v[10:11], v[51:52], v[14:15]
	v_add_f64 v[0:1], v[20:21], v[0:1]
	v_add_f64 v[41:42], v[8:9], v[22:23]
	v_mul_f64 v[8:9], v[53:54], v[14:15]
	v_fma_f64 v[10:11], v[53:54], v[12:13], v[10:11]
	v_fma_f64 v[8:9], v[51:52], v[12:13], -v[8:9]
	v_add_f64 v[45:46], v[10:11], v[49:50]
	v_add_f64 v[43:44], v[26:27], v[8:9]
	ds_read_b128 v[8:11], v63 offset:64
	ds_read_b128 v[12:15], v25 offset:2048
	;; [unrolled: 1-line block ×3, first 2 shown]
	s_waitcnt lgkmcnt(1)
	v_mul_f64 v[20:21], v[10:11], v[14:15]
	v_mul_f64 v[22:23], v[8:9], v[14:15]
	v_fma_f64 v[20:21], v[8:9], v[12:13], -v[20:21]
	v_fma_f64 v[22:23], v[10:11], v[12:13], v[22:23]
	v_add_f64 v[20:21], v[16:17], v[20:21]
	s_waitcnt lgkmcnt(0)
	v_mul_f64 v[16:17], v[10:11], v[28:29]
	v_add_f64 v[22:23], v[22:23], v[18:19]
	v_fma_f64 v[16:17], v[8:9], v[26:27], -v[16:17]
	v_mul_f64 v[8:9], v[8:9], v[28:29]
	v_add_f64 v[53:54], v[4:5], v[16:17]
	v_fma_f64 v[8:9], v[10:11], v[26:27], v[8:9]
	v_add_f64 v[55:56], v[8:9], v[6:7]
	ds_read_b128 v[4:7], v63 offset:8256
	s_waitcnt lgkmcnt(0)
	v_mul_f64 v[8:9], v[6:7], v[14:15]
	v_mul_f64 v[10:11], v[4:5], v[14:15]
	v_fma_f64 v[8:9], v[4:5], v[12:13], -v[8:9]
	v_fma_f64 v[10:11], v[6:7], v[12:13], v[10:11]
	v_add_f64 v[16:17], v[0:1], v[8:9]
	v_mul_f64 v[0:1], v[6:7], v[28:29]
	v_add_f64 v[18:19], v[10:11], v[41:42]
	v_fma_f64 v[0:1], v[4:5], v[26:27], -v[0:1]
	v_mul_f64 v[4:5], v[4:5], v[28:29]
	v_add_f64 v[12:13], v[43:44], v[0:1]
	v_fma_f64 v[4:5], v[6:7], v[26:27], v[4:5]
	ds_read_b128 v[26:29], v63 offset:80
	ds_read_b128 v[8:11], v25 offset:2560
	s_waitcnt lgkmcnt(0)
	v_mul_f64 v[0:1], v[28:29], v[10:11]
	v_add_f64 v[14:15], v[4:5], v[45:46]
	v_mul_f64 v[4:5], v[26:27], v[10:11]
	v_fma_f64 v[0:1], v[26:27], v[8:9], -v[0:1]
	v_fma_f64 v[4:5], v[28:29], v[8:9], v[4:5]
	v_add_f64 v[49:50], v[20:21], v[0:1]
	v_add_f64 v[51:52], v[4:5], v[22:23]
	ds_read_b128 v[4:7], v25 offset:2816
	s_waitcnt lgkmcnt(0)
	v_mul_f64 v[0:1], v[28:29], v[6:7]
	v_mul_f64 v[20:21], v[26:27], v[6:7]
	v_fma_f64 v[0:1], v[26:27], v[4:5], -v[0:1]
	v_fma_f64 v[22:23], v[28:29], v[4:5], v[20:21]
	ds_read_b128 v[26:29], v63 offset:8272
	v_add_f64 v[20:21], v[53:54], v[0:1]
	s_waitcnt lgkmcnt(0)
	v_mul_f64 v[0:1], v[28:29], v[10:11]
	v_mul_f64 v[10:11], v[26:27], v[10:11]
	v_add_f64 v[22:23], v[22:23], v[55:56]
	v_fma_f64 v[0:1], v[26:27], v[8:9], -v[0:1]
	v_fma_f64 v[8:9], v[28:29], v[8:9], v[10:11]
	v_add_f64 v[0:1], v[16:17], v[0:1]
	v_add_f64 v[41:42], v[8:9], v[18:19]
	v_mul_f64 v[8:9], v[28:29], v[6:7]
	v_mul_f64 v[6:7], v[26:27], v[6:7]
	v_fma_f64 v[8:9], v[26:27], v[4:5], -v[8:9]
	v_fma_f64 v[4:5], v[28:29], v[4:5], v[6:7]
	v_add_f64 v[26:27], v[12:13], v[8:9]
	v_add_f64 v[28:29], v[4:5], v[14:15]
	ds_read_b128 v[8:11], v63 offset:96
	ds_read_b128 v[12:15], v25 offset:3072
	ds_read_b128 v[16:19], v25 offset:3328
	s_waitcnt lgkmcnt(1)
	v_mul_f64 v[4:5], v[10:11], v[14:15]
	s_waitcnt lgkmcnt(0)
	v_mul_f64 v[43:44], v[10:11], v[18:19]
	v_mul_f64 v[6:7], v[8:9], v[14:15]
	v_fma_f64 v[4:5], v[8:9], v[12:13], -v[4:5]
	v_fma_f64 v[43:44], v[8:9], v[16:17], -v[43:44]
	v_mul_f64 v[8:9], v[8:9], v[18:19]
	v_fma_f64 v[6:7], v[10:11], v[12:13], v[6:7]
	v_add_f64 v[4:5], v[49:50], v[4:5]
	v_add_f64 v[43:44], v[20:21], v[43:44]
	v_fma_f64 v[8:9], v[10:11], v[16:17], v[8:9]
	v_add_f64 v[6:7], v[6:7], v[51:52]
	v_add_f64 v[45:46], v[8:9], v[22:23]
	ds_read_b128 v[8:11], v63 offset:8288
	s_waitcnt lgkmcnt(0)
	v_mul_f64 v[20:21], v[10:11], v[14:15]
	v_mul_f64 v[14:15], v[8:9], v[14:15]
	v_fma_f64 v[20:21], v[8:9], v[12:13], -v[20:21]
	v_fma_f64 v[12:13], v[10:11], v[12:13], v[14:15]
	v_add_f64 v[20:21], v[0:1], v[20:21]
	v_mul_f64 v[0:1], v[10:11], v[18:19]
	v_add_f64 v[22:23], v[12:13], v[41:42]
	v_fma_f64 v[0:1], v[8:9], v[16:17], -v[0:1]
	v_mul_f64 v[8:9], v[8:9], v[18:19]
	v_fma_f64 v[8:9], v[10:11], v[16:17], v[8:9]
	v_add_f64 v[16:17], v[26:27], v[0:1]
	v_add_f64 v[18:19], v[8:9], v[28:29]
	ds_read_b128 v[12:15], v63 offset:112
	ds_read_b128 v[8:11], v25 offset:3584
	s_waitcnt lgkmcnt(0)
	v_mul_f64 v[0:1], v[14:15], v[10:11]
	v_mul_f64 v[26:27], v[12:13], v[10:11]
	v_fma_f64 v[0:1], v[12:13], v[8:9], -v[0:1]
	v_fma_f64 v[26:27], v[14:15], v[8:9], v[26:27]
	v_add_f64 v[53:54], v[4:5], v[0:1]
	v_add_f64 v[55:56], v[26:27], v[6:7]
	ds_read_b128 v[4:7], v25 offset:3840
	s_waitcnt lgkmcnt(0)
	v_mul_f64 v[0:1], v[14:15], v[6:7]
	v_fma_f64 v[0:1], v[12:13], v[4:5], -v[0:1]
	v_mul_f64 v[12:13], v[12:13], v[6:7]
	v_add_f64 v[49:50], v[43:44], v[0:1]
	v_fma_f64 v[12:13], v[14:15], v[4:5], v[12:13]
	v_add_f64 v[51:52], v[12:13], v[45:46]
	ds_read_b128 v[12:15], v63 offset:8304
	s_waitcnt lgkmcnt(0)
	v_mul_f64 v[0:1], v[14:15], v[10:11]
	v_mul_f64 v[10:11], v[12:13], v[10:11]
	v_fma_f64 v[0:1], v[12:13], v[8:9], -v[0:1]
	v_fma_f64 v[8:9], v[14:15], v[8:9], v[10:11]
	v_add_f64 v[0:1], v[20:21], v[0:1]
	v_add_f64 v[22:23], v[8:9], v[22:23]
	v_mul_f64 v[8:9], v[14:15], v[6:7]
	v_mul_f64 v[6:7], v[12:13], v[6:7]
	v_fma_f64 v[8:9], v[12:13], v[4:5], -v[8:9]
	v_fma_f64 v[4:5], v[14:15], v[4:5], v[6:7]
	v_add_f64 v[26:27], v[16:17], v[8:9]
	v_add_f64 v[28:29], v[4:5], v[18:19]
	ds_read_b128 v[8:11], v63 offset:128
	ds_read_b128 v[12:15], v25 offset:4096
	ds_read_b128 v[16:19], v25 offset:4352
	s_waitcnt lgkmcnt(1)
	v_mul_f64 v[4:5], v[10:11], v[14:15]
	s_waitcnt lgkmcnt(0)
	v_mul_f64 v[20:21], v[10:11], v[18:19]
	v_mul_f64 v[6:7], v[8:9], v[14:15]
	v_fma_f64 v[4:5], v[8:9], v[12:13], -v[4:5]
	v_fma_f64 v[20:21], v[8:9], v[16:17], -v[20:21]
	v_mul_f64 v[8:9], v[8:9], v[18:19]
	v_fma_f64 v[6:7], v[10:11], v[12:13], v[6:7]
	v_add_f64 v[4:5], v[53:54], v[4:5]
	v_add_f64 v[41:42], v[49:50], v[20:21]
	v_fma_f64 v[8:9], v[10:11], v[16:17], v[8:9]
	v_add_f64 v[6:7], v[6:7], v[55:56]
	v_add_f64 v[43:44], v[8:9], v[51:52]
	ds_read_b128 v[8:11], v63 offset:8320
	s_waitcnt lgkmcnt(0)
	v_mul_f64 v[20:21], v[10:11], v[14:15]
	v_mul_f64 v[14:15], v[8:9], v[14:15]
	v_fma_f64 v[20:21], v[8:9], v[12:13], -v[20:21]
	v_fma_f64 v[12:13], v[10:11], v[12:13], v[14:15]
	v_add_f64 v[20:21], v[0:1], v[20:21]
	v_mul_f64 v[0:1], v[10:11], v[18:19]
	v_add_f64 v[22:23], v[12:13], v[22:23]
	v_fma_f64 v[0:1], v[8:9], v[16:17], -v[0:1]
	v_mul_f64 v[8:9], v[8:9], v[18:19]
	v_fma_f64 v[8:9], v[10:11], v[16:17], v[8:9]
	v_add_f64 v[16:17], v[26:27], v[0:1]
	v_add_f64 v[18:19], v[8:9], v[28:29]
	ds_read_b128 v[12:15], v63 offset:144
	ds_read_b128 v[8:11], v25 offset:4608
	s_waitcnt lgkmcnt(0)
	v_mul_f64 v[0:1], v[14:15], v[10:11]
	v_mul_f64 v[26:27], v[12:13], v[10:11]
	v_fma_f64 v[0:1], v[12:13], v[8:9], -v[0:1]
	v_fma_f64 v[26:27], v[14:15], v[8:9], v[26:27]
	v_add_f64 v[53:54], v[4:5], v[0:1]
	v_add_f64 v[55:56], v[26:27], v[6:7]
	ds_read_b128 v[4:7], v25 offset:4864
	s_waitcnt lgkmcnt(0)
	v_mul_f64 v[0:1], v[14:15], v[6:7]
	v_fma_f64 v[0:1], v[12:13], v[4:5], -v[0:1]
	v_mul_f64 v[12:13], v[12:13], v[6:7]
	v_add_f64 v[49:50], v[41:42], v[0:1]
	v_fma_f64 v[12:13], v[14:15], v[4:5], v[12:13]
	v_add_f64 v[51:52], v[12:13], v[43:44]
	ds_read_b128 v[12:15], v63 offset:8336
	s_waitcnt lgkmcnt(0)
	v_mul_f64 v[0:1], v[14:15], v[10:11]
	v_mul_f64 v[10:11], v[12:13], v[10:11]
	;; [unrolled: 62-line block ×3, first 2 shown]
	v_fma_f64 v[0:1], v[12:13], v[8:9], -v[0:1]
	v_fma_f64 v[8:9], v[14:15], v[8:9], v[10:11]
	v_add_f64 v[0:1], v[20:21], v[0:1]
	v_add_f64 v[20:21], v[8:9], v[22:23]
	v_mul_f64 v[8:9], v[14:15], v[6:7]
	v_mul_f64 v[6:7], v[12:13], v[6:7]
	v_fma_f64 v[8:9], v[12:13], v[4:5], -v[8:9]
	v_fma_f64 v[4:5], v[14:15], v[4:5], v[6:7]
	v_add_f64 v[22:23], v[16:17], v[8:9]
	v_add_f64 v[28:29], v[4:5], v[18:19]
	ds_read_b128 v[4:7], v63 offset:192
	ds_read_b128 v[12:15], v25 offset:6144
	;; [unrolled: 1-line block ×3, first 2 shown]
	s_waitcnt lgkmcnt(1)
	v_mul_f64 v[8:9], v[6:7], v[14:15]
	v_mul_f64 v[10:11], v[4:5], v[14:15]
	v_fma_f64 v[8:9], v[4:5], v[12:13], -v[8:9]
	v_fma_f64 v[10:11], v[6:7], v[12:13], v[10:11]
	v_add_f64 v[8:9], v[26:27], v[8:9]
	s_waitcnt lgkmcnt(0)
	v_mul_f64 v[26:27], v[6:7], v[18:19]
	v_add_f64 v[10:11], v[10:11], v[53:54]
	v_fma_f64 v[26:27], v[4:5], v[16:17], -v[26:27]
	v_mul_f64 v[4:5], v[4:5], v[18:19]
	v_add_f64 v[26:27], v[49:50], v[26:27]
	v_fma_f64 v[4:5], v[6:7], v[16:17], v[4:5]
	v_add_f64 v[41:42], v[4:5], v[51:52]
	ds_read_b128 v[4:7], v63 offset:8384
	s_waitcnt lgkmcnt(0)
	v_mul_f64 v[43:44], v[6:7], v[14:15]
	v_mul_f64 v[14:15], v[4:5], v[14:15]
	v_fma_f64 v[43:44], v[4:5], v[12:13], -v[43:44]
	v_fma_f64 v[14:15], v[6:7], v[12:13], v[14:15]
	v_add_f64 v[12:13], v[0:1], v[43:44]
	v_mul_f64 v[0:1], v[6:7], v[18:19]
	v_add_f64 v[14:15], v[14:15], v[20:21]
	v_fma_f64 v[0:1], v[4:5], v[16:17], -v[0:1]
	v_mul_f64 v[4:5], v[4:5], v[18:19]
	v_fma_f64 v[4:5], v[6:7], v[16:17], v[4:5]
	v_add_f64 v[16:17], v[22:23], v[0:1]
	v_add_f64 v[18:19], v[4:5], v[28:29]
	ds_read_b128 v[20:23], v63 offset:208
	ds_read_b128 v[4:7], v25 offset:6656
	s_waitcnt lgkmcnt(0)
	v_mul_f64 v[0:1], v[22:23], v[6:7]
	v_mul_f64 v[28:29], v[20:21], v[6:7]
	v_fma_f64 v[0:1], v[20:21], v[4:5], -v[0:1]
	v_fma_f64 v[28:29], v[22:23], v[4:5], v[28:29]
	v_add_f64 v[49:50], v[8:9], v[0:1]
	v_add_f64 v[51:52], v[28:29], v[10:11]
	ds_read_b128 v[8:11], v25 offset:6912
	s_waitcnt lgkmcnt(0)
	v_mul_f64 v[0:1], v[22:23], v[10:11]
	v_fma_f64 v[0:1], v[20:21], v[8:9], -v[0:1]
	v_mul_f64 v[20:21], v[20:21], v[10:11]
	v_fma_f64 v[22:23], v[22:23], v[8:9], v[20:21]
	v_add_f64 v[20:21], v[26:27], v[0:1]
	ds_read_b128 v[26:29], v63 offset:8400
	s_waitcnt lgkmcnt(0)
	v_mul_f64 v[0:1], v[28:29], v[6:7]
	v_mul_f64 v[6:7], v[26:27], v[6:7]
	v_add_f64 v[22:23], v[22:23], v[41:42]
	v_fma_f64 v[0:1], v[26:27], v[4:5], -v[0:1]
	v_fma_f64 v[4:5], v[28:29], v[4:5], v[6:7]
	v_mul_f64 v[6:7], v[26:27], v[10:11]
	v_add_f64 v[0:1], v[12:13], v[0:1]
	v_add_f64 v[41:42], v[4:5], v[14:15]
	v_mul_f64 v[4:5], v[28:29], v[10:11]
	v_fma_f64 v[6:7], v[28:29], v[8:9], v[6:7]
	v_fma_f64 v[4:5], v[26:27], v[8:9], -v[4:5]
	ds_read_b128 v[8:11], v63 offset:224
	ds_read_b128 v[12:15], v25 offset:7168
	ds_read_b128 v[26:29], v25 offset:7424
	v_add_f64 v[45:46], v[6:7], v[18:19]
	s_waitcnt lgkmcnt(1)
	v_mul_f64 v[6:7], v[8:9], v[14:15]
	v_add_f64 v[43:44], v[16:17], v[4:5]
	v_mul_f64 v[4:5], v[10:11], v[14:15]
	s_waitcnt lgkmcnt(0)
	v_mul_f64 v[16:17], v[10:11], v[28:29]
	v_fma_f64 v[6:7], v[10:11], v[12:13], v[6:7]
	v_fma_f64 v[4:5], v[8:9], v[12:13], -v[4:5]
	v_fma_f64 v[16:17], v[8:9], v[26:27], -v[16:17]
	v_mul_f64 v[8:9], v[8:9], v[28:29]
	v_add_f64 v[6:7], v[6:7], v[51:52]
	v_add_f64 v[4:5], v[49:50], v[4:5]
	;; [unrolled: 1-line block ×3, first 2 shown]
	v_fma_f64 v[8:9], v[10:11], v[26:27], v[8:9]
	v_add_f64 v[55:56], v[8:9], v[22:23]
	ds_read_b128 v[8:11], v63 offset:8416
	s_waitcnt lgkmcnt(0)
	v_mul_f64 v[16:17], v[10:11], v[14:15]
	v_mul_f64 v[14:15], v[8:9], v[14:15]
	v_fma_f64 v[16:17], v[8:9], v[12:13], -v[16:17]
	v_fma_f64 v[12:13], v[10:11], v[12:13], v[14:15]
	v_add_f64 v[16:17], v[0:1], v[16:17]
	v_mul_f64 v[0:1], v[10:11], v[28:29]
	v_add_f64 v[18:19], v[12:13], v[41:42]
	v_fma_f64 v[0:1], v[8:9], v[26:27], -v[0:1]
	v_mul_f64 v[8:9], v[8:9], v[28:29]
	v_add_f64 v[12:13], v[43:44], v[0:1]
	v_fma_f64 v[8:9], v[10:11], v[26:27], v[8:9]
	v_add_f64 v[14:15], v[8:9], v[45:46]
	ds_read_b128 v[20:23], v63 offset:240
	ds_read_b128 v[8:11], v25 offset:7680
	s_waitcnt lgkmcnt(0)
	v_mul_f64 v[0:1], v[22:23], v[10:11]
	v_mul_f64 v[26:27], v[20:21], v[10:11]
	v_fma_f64 v[0:1], v[20:21], v[8:9], -v[0:1]
	v_fma_f64 v[26:27], v[22:23], v[8:9], v[26:27]
	v_add_f64 v[49:50], v[4:5], v[0:1]
	v_add_f64 v[51:52], v[26:27], v[6:7]
	ds_read_b128 v[4:7], v25 offset:7936
	ds_read_b128 v[26:29], v63 offset:8432
	s_waitcnt lgkmcnt(1)
	v_mul_f64 v[0:1], v[22:23], v[6:7]
	v_fma_f64 v[0:1], v[20:21], v[4:5], -v[0:1]
	v_mul_f64 v[20:21], v[20:21], v[6:7]
	v_fma_f64 v[22:23], v[22:23], v[4:5], v[20:21]
	v_add_f64 v[20:21], v[53:54], v[0:1]
	s_waitcnt lgkmcnt(0)
	v_mul_f64 v[0:1], v[28:29], v[10:11]
	v_mul_f64 v[10:11], v[26:27], v[10:11]
	v_add_f64 v[22:23], v[22:23], v[55:56]
	v_fma_f64 v[0:1], v[26:27], v[8:9], -v[0:1]
	v_fma_f64 v[8:9], v[28:29], v[8:9], v[10:11]
	v_add_f64 v[0:1], v[16:17], v[0:1]
	v_add_f64 v[41:42], v[8:9], v[18:19]
	v_mul_f64 v[8:9], v[28:29], v[6:7]
	v_mul_f64 v[6:7], v[26:27], v[6:7]
	v_fma_f64 v[8:9], v[26:27], v[4:5], -v[8:9]
	v_fma_f64 v[4:5], v[28:29], v[4:5], v[6:7]
	v_add_f64 v[26:27], v[12:13], v[8:9]
	v_add_f64 v[28:29], v[4:5], v[14:15]
	ds_read_b128 v[8:11], v63 offset:256
	ds_read_b128 v[12:15], v25 offset:8192
	ds_read_b128 v[16:19], v25 offset:8448
	s_waitcnt lgkmcnt(1)
	v_mul_f64 v[4:5], v[10:11], v[14:15]
	s_waitcnt lgkmcnt(0)
	v_mul_f64 v[43:44], v[10:11], v[18:19]
	v_mul_f64 v[6:7], v[8:9], v[14:15]
	v_fma_f64 v[4:5], v[8:9], v[12:13], -v[4:5]
	v_fma_f64 v[43:44], v[8:9], v[16:17], -v[43:44]
	v_mul_f64 v[8:9], v[8:9], v[18:19]
	v_fma_f64 v[6:7], v[10:11], v[12:13], v[6:7]
	v_add_f64 v[4:5], v[49:50], v[4:5]
	v_add_f64 v[43:44], v[20:21], v[43:44]
	v_fma_f64 v[8:9], v[10:11], v[16:17], v[8:9]
	v_add_f64 v[6:7], v[6:7], v[51:52]
	v_add_f64 v[45:46], v[8:9], v[22:23]
	ds_read_b128 v[8:11], v63 offset:8448
	s_waitcnt lgkmcnt(0)
	v_mul_f64 v[20:21], v[10:11], v[14:15]
	v_mul_f64 v[14:15], v[8:9], v[14:15]
	v_fma_f64 v[20:21], v[8:9], v[12:13], -v[20:21]
	v_fma_f64 v[12:13], v[10:11], v[12:13], v[14:15]
	v_add_f64 v[20:21], v[0:1], v[20:21]
	v_mul_f64 v[0:1], v[10:11], v[18:19]
	v_add_f64 v[22:23], v[12:13], v[41:42]
	v_fma_f64 v[0:1], v[8:9], v[16:17], -v[0:1]
	v_mul_f64 v[8:9], v[8:9], v[18:19]
	v_fma_f64 v[8:9], v[10:11], v[16:17], v[8:9]
	v_add_f64 v[16:17], v[26:27], v[0:1]
	v_add_f64 v[18:19], v[8:9], v[28:29]
	ds_read_b128 v[12:15], v63 offset:272
	ds_read_b128 v[8:11], v25 offset:8704
	s_waitcnt lgkmcnt(0)
	v_mul_f64 v[0:1], v[14:15], v[10:11]
	v_mul_f64 v[26:27], v[12:13], v[10:11]
	v_fma_f64 v[0:1], v[12:13], v[8:9], -v[0:1]
	v_fma_f64 v[26:27], v[14:15], v[8:9], v[26:27]
	v_add_f64 v[53:54], v[4:5], v[0:1]
	v_add_f64 v[55:56], v[26:27], v[6:7]
	ds_read_b128 v[4:7], v25 offset:8960
	s_waitcnt lgkmcnt(0)
	v_mul_f64 v[0:1], v[14:15], v[6:7]
	v_fma_f64 v[0:1], v[12:13], v[4:5], -v[0:1]
	v_mul_f64 v[12:13], v[12:13], v[6:7]
	v_add_f64 v[49:50], v[43:44], v[0:1]
	v_fma_f64 v[12:13], v[14:15], v[4:5], v[12:13]
	v_add_f64 v[51:52], v[12:13], v[45:46]
	ds_read_b128 v[12:15], v63 offset:8464
	s_waitcnt lgkmcnt(0)
	v_mul_f64 v[0:1], v[14:15], v[10:11]
	v_mul_f64 v[10:11], v[12:13], v[10:11]
	v_fma_f64 v[0:1], v[12:13], v[8:9], -v[0:1]
	v_fma_f64 v[8:9], v[14:15], v[8:9], v[10:11]
	v_add_f64 v[0:1], v[20:21], v[0:1]
	v_add_f64 v[22:23], v[8:9], v[22:23]
	v_mul_f64 v[8:9], v[14:15], v[6:7]
	v_mul_f64 v[6:7], v[12:13], v[6:7]
	v_fma_f64 v[8:9], v[12:13], v[4:5], -v[8:9]
	v_fma_f64 v[4:5], v[14:15], v[4:5], v[6:7]
	v_add_f64 v[26:27], v[16:17], v[8:9]
	v_add_f64 v[28:29], v[4:5], v[18:19]
	ds_read_b128 v[8:11], v63 offset:288
	ds_read_b128 v[12:15], v25 offset:9216
	ds_read_b128 v[16:19], v25 offset:9472
	s_waitcnt lgkmcnt(1)
	v_mul_f64 v[4:5], v[10:11], v[14:15]
	s_waitcnt lgkmcnt(0)
	v_mul_f64 v[20:21], v[10:11], v[18:19]
	v_mul_f64 v[6:7], v[8:9], v[14:15]
	v_fma_f64 v[4:5], v[8:9], v[12:13], -v[4:5]
	v_fma_f64 v[20:21], v[8:9], v[16:17], -v[20:21]
	v_mul_f64 v[8:9], v[8:9], v[18:19]
	v_fma_f64 v[6:7], v[10:11], v[12:13], v[6:7]
	v_add_f64 v[4:5], v[53:54], v[4:5]
	v_add_f64 v[41:42], v[49:50], v[20:21]
	v_fma_f64 v[8:9], v[10:11], v[16:17], v[8:9]
	v_add_f64 v[6:7], v[6:7], v[55:56]
	v_add_f64 v[43:44], v[8:9], v[51:52]
	ds_read_b128 v[8:11], v63 offset:8480
	s_waitcnt lgkmcnt(0)
	v_mul_f64 v[20:21], v[10:11], v[14:15]
	v_mul_f64 v[14:15], v[8:9], v[14:15]
	v_fma_f64 v[20:21], v[8:9], v[12:13], -v[20:21]
	v_fma_f64 v[12:13], v[10:11], v[12:13], v[14:15]
	v_add_f64 v[20:21], v[0:1], v[20:21]
	v_mul_f64 v[0:1], v[10:11], v[18:19]
	v_add_f64 v[22:23], v[12:13], v[22:23]
	v_fma_f64 v[0:1], v[8:9], v[16:17], -v[0:1]
	v_mul_f64 v[8:9], v[8:9], v[18:19]
	v_fma_f64 v[8:9], v[10:11], v[16:17], v[8:9]
	v_add_f64 v[16:17], v[26:27], v[0:1]
	v_add_f64 v[18:19], v[8:9], v[28:29]
	ds_read_b128 v[12:15], v63 offset:304
	ds_read_b128 v[8:11], v25 offset:9728
	s_waitcnt lgkmcnt(0)
	v_mul_f64 v[0:1], v[14:15], v[10:11]
	v_mul_f64 v[26:27], v[12:13], v[10:11]
	v_fma_f64 v[0:1], v[12:13], v[8:9], -v[0:1]
	v_fma_f64 v[26:27], v[14:15], v[8:9], v[26:27]
	v_add_f64 v[53:54], v[4:5], v[0:1]
	v_add_f64 v[55:56], v[26:27], v[6:7]
	ds_read_b128 v[4:7], v25 offset:9984
	s_waitcnt lgkmcnt(0)
	v_mul_f64 v[0:1], v[14:15], v[6:7]
	v_fma_f64 v[0:1], v[12:13], v[4:5], -v[0:1]
	v_mul_f64 v[12:13], v[12:13], v[6:7]
	v_add_f64 v[49:50], v[41:42], v[0:1]
	v_fma_f64 v[12:13], v[14:15], v[4:5], v[12:13]
	v_add_f64 v[51:52], v[12:13], v[43:44]
	ds_read_b128 v[12:15], v63 offset:8496
	s_waitcnt lgkmcnt(0)
	v_mul_f64 v[0:1], v[14:15], v[10:11]
	v_mul_f64 v[10:11], v[12:13], v[10:11]
	;; [unrolled: 62-line block ×3, first 2 shown]
	v_fma_f64 v[0:1], v[12:13], v[8:9], -v[0:1]
	v_fma_f64 v[8:9], v[14:15], v[8:9], v[10:11]
	v_add_f64 v[0:1], v[20:21], v[0:1]
	v_add_f64 v[20:21], v[8:9], v[22:23]
	v_mul_f64 v[8:9], v[14:15], v[6:7]
	v_mul_f64 v[6:7], v[12:13], v[6:7]
	v_fma_f64 v[8:9], v[12:13], v[4:5], -v[8:9]
	v_fma_f64 v[4:5], v[14:15], v[4:5], v[6:7]
	v_add_f64 v[22:23], v[16:17], v[8:9]
	v_add_f64 v[28:29], v[4:5], v[18:19]
	ds_read_b128 v[4:7], v63 offset:352
	ds_read_b128 v[12:15], v25 offset:11264
	;; [unrolled: 1-line block ×3, first 2 shown]
	s_waitcnt lgkmcnt(1)
	v_mul_f64 v[8:9], v[6:7], v[14:15]
	v_mul_f64 v[10:11], v[4:5], v[14:15]
	v_fma_f64 v[8:9], v[4:5], v[12:13], -v[8:9]
	v_fma_f64 v[10:11], v[6:7], v[12:13], v[10:11]
	v_add_f64 v[8:9], v[26:27], v[8:9]
	s_waitcnt lgkmcnt(0)
	v_mul_f64 v[26:27], v[6:7], v[18:19]
	v_add_f64 v[10:11], v[10:11], v[53:54]
	v_fma_f64 v[26:27], v[4:5], v[16:17], -v[26:27]
	v_mul_f64 v[4:5], v[4:5], v[18:19]
	v_add_f64 v[26:27], v[49:50], v[26:27]
	v_fma_f64 v[4:5], v[6:7], v[16:17], v[4:5]
	v_add_f64 v[41:42], v[4:5], v[51:52]
	ds_read_b128 v[4:7], v63 offset:8544
	s_waitcnt lgkmcnt(0)
	v_mul_f64 v[43:44], v[6:7], v[14:15]
	v_mul_f64 v[14:15], v[4:5], v[14:15]
	v_fma_f64 v[43:44], v[4:5], v[12:13], -v[43:44]
	v_fma_f64 v[14:15], v[6:7], v[12:13], v[14:15]
	v_add_f64 v[12:13], v[0:1], v[43:44]
	v_mul_f64 v[0:1], v[6:7], v[18:19]
	v_add_f64 v[14:15], v[14:15], v[20:21]
	v_fma_f64 v[0:1], v[4:5], v[16:17], -v[0:1]
	v_mul_f64 v[4:5], v[4:5], v[18:19]
	v_fma_f64 v[4:5], v[6:7], v[16:17], v[4:5]
	v_add_f64 v[16:17], v[22:23], v[0:1]
	v_add_f64 v[18:19], v[4:5], v[28:29]
	ds_read_b128 v[20:23], v63 offset:368
	ds_read_b128 v[4:7], v25 offset:11776
	s_waitcnt lgkmcnt(0)
	v_mul_f64 v[0:1], v[22:23], v[6:7]
	v_mul_f64 v[28:29], v[20:21], v[6:7]
	v_fma_f64 v[0:1], v[20:21], v[4:5], -v[0:1]
	v_fma_f64 v[28:29], v[22:23], v[4:5], v[28:29]
	v_add_f64 v[49:50], v[8:9], v[0:1]
	v_add_f64 v[51:52], v[28:29], v[10:11]
	ds_read_b128 v[8:11], v25 offset:12032
	s_waitcnt lgkmcnt(0)
	v_mul_f64 v[0:1], v[22:23], v[10:11]
	v_fma_f64 v[0:1], v[20:21], v[8:9], -v[0:1]
	v_mul_f64 v[20:21], v[20:21], v[10:11]
	v_fma_f64 v[22:23], v[22:23], v[8:9], v[20:21]
	v_add_f64 v[20:21], v[26:27], v[0:1]
	ds_read_b128 v[26:29], v63 offset:8560
	s_waitcnt lgkmcnt(0)
	v_mul_f64 v[0:1], v[28:29], v[6:7]
	v_mul_f64 v[6:7], v[26:27], v[6:7]
	v_add_f64 v[22:23], v[22:23], v[41:42]
	v_fma_f64 v[0:1], v[26:27], v[4:5], -v[0:1]
	v_fma_f64 v[4:5], v[28:29], v[4:5], v[6:7]
	v_mul_f64 v[6:7], v[26:27], v[10:11]
	v_add_f64 v[0:1], v[12:13], v[0:1]
	v_add_f64 v[41:42], v[4:5], v[14:15]
	v_mul_f64 v[4:5], v[28:29], v[10:11]
	v_fma_f64 v[6:7], v[28:29], v[8:9], v[6:7]
	v_fma_f64 v[4:5], v[26:27], v[8:9], -v[4:5]
	ds_read_b128 v[8:11], v63 offset:384
	ds_read_b128 v[12:15], v25 offset:12288
	;; [unrolled: 1-line block ×3, first 2 shown]
	v_add_f64 v[45:46], v[6:7], v[18:19]
	s_waitcnt lgkmcnt(1)
	v_mul_f64 v[6:7], v[8:9], v[14:15]
	v_add_f64 v[43:44], v[16:17], v[4:5]
	v_mul_f64 v[4:5], v[10:11], v[14:15]
	s_waitcnt lgkmcnt(0)
	v_mul_f64 v[16:17], v[10:11], v[28:29]
	v_fma_f64 v[6:7], v[10:11], v[12:13], v[6:7]
	v_fma_f64 v[4:5], v[8:9], v[12:13], -v[4:5]
	v_fma_f64 v[16:17], v[8:9], v[26:27], -v[16:17]
	v_mul_f64 v[8:9], v[8:9], v[28:29]
	v_add_f64 v[6:7], v[6:7], v[51:52]
	v_add_f64 v[4:5], v[49:50], v[4:5]
	;; [unrolled: 1-line block ×3, first 2 shown]
	v_fma_f64 v[8:9], v[10:11], v[26:27], v[8:9]
	v_add_f64 v[55:56], v[8:9], v[22:23]
	ds_read_b128 v[8:11], v63 offset:8576
	s_waitcnt lgkmcnt(0)
	v_mul_f64 v[16:17], v[10:11], v[14:15]
	v_mul_f64 v[14:15], v[8:9], v[14:15]
	v_fma_f64 v[16:17], v[8:9], v[12:13], -v[16:17]
	v_fma_f64 v[12:13], v[10:11], v[12:13], v[14:15]
	v_add_f64 v[16:17], v[0:1], v[16:17]
	v_mul_f64 v[0:1], v[10:11], v[28:29]
	v_add_f64 v[18:19], v[12:13], v[41:42]
	v_fma_f64 v[0:1], v[8:9], v[26:27], -v[0:1]
	v_mul_f64 v[8:9], v[8:9], v[28:29]
	v_add_f64 v[12:13], v[43:44], v[0:1]
	v_fma_f64 v[8:9], v[10:11], v[26:27], v[8:9]
	v_add_f64 v[14:15], v[8:9], v[45:46]
	ds_read_b128 v[20:23], v63 offset:400
	ds_read_b128 v[8:11], v25 offset:12800
	s_waitcnt lgkmcnt(0)
	v_mul_f64 v[0:1], v[22:23], v[10:11]
	v_mul_f64 v[26:27], v[20:21], v[10:11]
	v_fma_f64 v[0:1], v[20:21], v[8:9], -v[0:1]
	v_fma_f64 v[26:27], v[22:23], v[8:9], v[26:27]
	v_add_f64 v[49:50], v[4:5], v[0:1]
	v_add_f64 v[51:52], v[26:27], v[6:7]
	ds_read_b128 v[4:7], v25 offset:13056
	ds_read_b128 v[26:29], v63 offset:8592
	s_waitcnt lgkmcnt(1)
	v_mul_f64 v[0:1], v[22:23], v[6:7]
	v_fma_f64 v[0:1], v[20:21], v[4:5], -v[0:1]
	v_mul_f64 v[20:21], v[20:21], v[6:7]
	v_fma_f64 v[22:23], v[22:23], v[4:5], v[20:21]
	v_add_f64 v[20:21], v[53:54], v[0:1]
	s_waitcnt lgkmcnt(0)
	v_mul_f64 v[0:1], v[28:29], v[10:11]
	v_mul_f64 v[10:11], v[26:27], v[10:11]
	v_add_f64 v[22:23], v[22:23], v[55:56]
	v_fma_f64 v[0:1], v[26:27], v[8:9], -v[0:1]
	v_fma_f64 v[8:9], v[28:29], v[8:9], v[10:11]
	v_add_f64 v[0:1], v[16:17], v[0:1]
	v_add_f64 v[41:42], v[8:9], v[18:19]
	v_mul_f64 v[8:9], v[28:29], v[6:7]
	v_mul_f64 v[6:7], v[26:27], v[6:7]
	v_fma_f64 v[8:9], v[26:27], v[4:5], -v[8:9]
	v_fma_f64 v[4:5], v[28:29], v[4:5], v[6:7]
	v_add_f64 v[26:27], v[12:13], v[8:9]
	v_add_f64 v[28:29], v[4:5], v[14:15]
	ds_read_b128 v[8:11], v63 offset:416
	ds_read_b128 v[12:15], v25 offset:13312
	;; [unrolled: 1-line block ×3, first 2 shown]
	s_waitcnt lgkmcnt(1)
	v_mul_f64 v[4:5], v[10:11], v[14:15]
	s_waitcnt lgkmcnt(0)
	v_mul_f64 v[43:44], v[10:11], v[18:19]
	v_mul_f64 v[6:7], v[8:9], v[14:15]
	v_fma_f64 v[4:5], v[8:9], v[12:13], -v[4:5]
	v_fma_f64 v[43:44], v[8:9], v[16:17], -v[43:44]
	v_mul_f64 v[8:9], v[8:9], v[18:19]
	v_fma_f64 v[6:7], v[10:11], v[12:13], v[6:7]
	v_add_f64 v[4:5], v[49:50], v[4:5]
	v_add_f64 v[43:44], v[20:21], v[43:44]
	v_fma_f64 v[8:9], v[10:11], v[16:17], v[8:9]
	v_add_f64 v[6:7], v[6:7], v[51:52]
	v_add_f64 v[45:46], v[8:9], v[22:23]
	ds_read_b128 v[8:11], v63 offset:8608
	s_waitcnt lgkmcnt(0)
	v_mul_f64 v[20:21], v[10:11], v[14:15]
	v_mul_f64 v[14:15], v[8:9], v[14:15]
	v_fma_f64 v[20:21], v[8:9], v[12:13], -v[20:21]
	v_fma_f64 v[12:13], v[10:11], v[12:13], v[14:15]
	v_add_f64 v[20:21], v[0:1], v[20:21]
	v_mul_f64 v[0:1], v[10:11], v[18:19]
	v_add_f64 v[22:23], v[12:13], v[41:42]
	v_fma_f64 v[0:1], v[8:9], v[16:17], -v[0:1]
	v_mul_f64 v[8:9], v[8:9], v[18:19]
	v_fma_f64 v[8:9], v[10:11], v[16:17], v[8:9]
	v_add_f64 v[16:17], v[26:27], v[0:1]
	v_add_f64 v[18:19], v[8:9], v[28:29]
	ds_read_b128 v[12:15], v63 offset:432
	ds_read_b128 v[8:11], v25 offset:13824
	s_waitcnt lgkmcnt(0)
	v_mul_f64 v[0:1], v[14:15], v[10:11]
	v_mul_f64 v[26:27], v[12:13], v[10:11]
	v_fma_f64 v[0:1], v[12:13], v[8:9], -v[0:1]
	v_fma_f64 v[26:27], v[14:15], v[8:9], v[26:27]
	v_add_f64 v[53:54], v[4:5], v[0:1]
	v_add_f64 v[55:56], v[26:27], v[6:7]
	ds_read_b128 v[4:7], v25 offset:14080
	s_waitcnt lgkmcnt(0)
	v_mul_f64 v[0:1], v[14:15], v[6:7]
	v_fma_f64 v[0:1], v[12:13], v[4:5], -v[0:1]
	v_mul_f64 v[12:13], v[12:13], v[6:7]
	v_add_f64 v[49:50], v[43:44], v[0:1]
	v_fma_f64 v[12:13], v[14:15], v[4:5], v[12:13]
	v_add_f64 v[51:52], v[12:13], v[45:46]
	ds_read_b128 v[12:15], v63 offset:8624
	s_waitcnt lgkmcnt(0)
	v_mul_f64 v[0:1], v[14:15], v[10:11]
	v_mul_f64 v[10:11], v[12:13], v[10:11]
	v_fma_f64 v[0:1], v[12:13], v[8:9], -v[0:1]
	v_fma_f64 v[8:9], v[14:15], v[8:9], v[10:11]
	v_add_f64 v[0:1], v[20:21], v[0:1]
	v_add_f64 v[22:23], v[8:9], v[22:23]
	v_mul_f64 v[8:9], v[14:15], v[6:7]
	v_mul_f64 v[6:7], v[12:13], v[6:7]
	v_fma_f64 v[8:9], v[12:13], v[4:5], -v[8:9]
	v_fma_f64 v[4:5], v[14:15], v[4:5], v[6:7]
	v_add_f64 v[26:27], v[16:17], v[8:9]
	v_add_f64 v[28:29], v[4:5], v[18:19]
	ds_read_b128 v[8:11], v63 offset:448
	ds_read_b128 v[12:15], v25 offset:14336
	;; [unrolled: 1-line block ×3, first 2 shown]
	s_waitcnt lgkmcnt(1)
	v_mul_f64 v[4:5], v[10:11], v[14:15]
	s_waitcnt lgkmcnt(0)
	v_mul_f64 v[20:21], v[10:11], v[18:19]
	v_mul_f64 v[6:7], v[8:9], v[14:15]
	v_fma_f64 v[4:5], v[8:9], v[12:13], -v[4:5]
	v_fma_f64 v[20:21], v[8:9], v[16:17], -v[20:21]
	v_mul_f64 v[8:9], v[8:9], v[18:19]
	v_fma_f64 v[6:7], v[10:11], v[12:13], v[6:7]
	v_add_f64 v[4:5], v[53:54], v[4:5]
	v_add_f64 v[41:42], v[49:50], v[20:21]
	v_fma_f64 v[8:9], v[10:11], v[16:17], v[8:9]
	v_add_f64 v[6:7], v[6:7], v[55:56]
	v_add_f64 v[43:44], v[8:9], v[51:52]
	ds_read_b128 v[8:11], v63 offset:8640
	s_waitcnt lgkmcnt(0)
	v_mul_f64 v[20:21], v[10:11], v[14:15]
	v_mul_f64 v[14:15], v[8:9], v[14:15]
	v_fma_f64 v[20:21], v[8:9], v[12:13], -v[20:21]
	v_fma_f64 v[12:13], v[10:11], v[12:13], v[14:15]
	v_add_f64 v[20:21], v[0:1], v[20:21]
	v_mul_f64 v[0:1], v[10:11], v[18:19]
	v_add_f64 v[22:23], v[12:13], v[22:23]
	v_fma_f64 v[0:1], v[8:9], v[16:17], -v[0:1]
	v_mul_f64 v[8:9], v[8:9], v[18:19]
	v_fma_f64 v[8:9], v[10:11], v[16:17], v[8:9]
	v_add_f64 v[16:17], v[26:27], v[0:1]
	v_add_f64 v[18:19], v[8:9], v[28:29]
	ds_read_b128 v[12:15], v63 offset:464
	ds_read_b128 v[8:11], v25 offset:14848
	s_waitcnt lgkmcnt(0)
	v_mul_f64 v[0:1], v[14:15], v[10:11]
	v_mul_f64 v[26:27], v[12:13], v[10:11]
	v_fma_f64 v[0:1], v[12:13], v[8:9], -v[0:1]
	v_fma_f64 v[26:27], v[14:15], v[8:9], v[26:27]
	v_add_f64 v[53:54], v[4:5], v[0:1]
	v_add_f64 v[55:56], v[26:27], v[6:7]
	ds_read_b128 v[4:7], v25 offset:15104
	s_waitcnt lgkmcnt(0)
	v_mul_f64 v[0:1], v[14:15], v[6:7]
	v_fma_f64 v[0:1], v[12:13], v[4:5], -v[0:1]
	v_mul_f64 v[12:13], v[12:13], v[6:7]
	v_add_f64 v[49:50], v[41:42], v[0:1]
	v_fma_f64 v[12:13], v[14:15], v[4:5], v[12:13]
	v_add_f64 v[51:52], v[12:13], v[43:44]
	ds_read_b128 v[12:15], v63 offset:8656
	s_waitcnt lgkmcnt(0)
	v_mul_f64 v[0:1], v[14:15], v[10:11]
	v_mul_f64 v[10:11], v[12:13], v[10:11]
	v_fma_f64 v[0:1], v[12:13], v[8:9], -v[0:1]
	v_fma_f64 v[8:9], v[14:15], v[8:9], v[10:11]
	v_add_f64 v[0:1], v[20:21], v[0:1]
	v_add_f64 v[20:21], v[8:9], v[22:23]
	v_mul_f64 v[8:9], v[14:15], v[6:7]
	v_mul_f64 v[6:7], v[12:13], v[6:7]
	v_fma_f64 v[8:9], v[12:13], v[4:5], -v[8:9]
	v_fma_f64 v[4:5], v[14:15], v[4:5], v[6:7]
	v_add_f64 v[22:23], v[16:17], v[8:9]
	v_add_f64 v[26:27], v[4:5], v[18:19]
	ds_read_b128 v[8:11], v63 offset:480
	ds_read_b128 v[12:15], v25 offset:15360
	;; [unrolled: 1-line block ×3, first 2 shown]
	s_waitcnt lgkmcnt(1)
	v_mul_f64 v[4:5], v[10:11], v[14:15]
	s_waitcnt lgkmcnt(0)
	v_mul_f64 v[28:29], v[10:11], v[18:19]
	v_mul_f64 v[6:7], v[8:9], v[14:15]
	v_fma_f64 v[4:5], v[8:9], v[12:13], -v[4:5]
	v_fma_f64 v[28:29], v[8:9], v[16:17], -v[28:29]
	v_mul_f64 v[8:9], v[8:9], v[18:19]
	v_fma_f64 v[6:7], v[10:11], v[12:13], v[6:7]
	v_add_f64 v[4:5], v[53:54], v[4:5]
	v_add_f64 v[28:29], v[49:50], v[28:29]
	v_fma_f64 v[8:9], v[10:11], v[16:17], v[8:9]
	v_add_f64 v[6:7], v[6:7], v[55:56]
	v_add_f64 v[41:42], v[8:9], v[51:52]
	ds_read_b128 v[8:11], v63 offset:8672
	s_waitcnt lgkmcnt(0)
	v_mul_f64 v[43:44], v[10:11], v[14:15]
	v_mul_f64 v[14:15], v[8:9], v[14:15]
	v_fma_f64 v[43:44], v[8:9], v[12:13], -v[43:44]
	v_fma_f64 v[12:13], v[10:11], v[12:13], v[14:15]
	v_add_f64 v[53:54], v[0:1], v[43:44]
	v_mul_f64 v[0:1], v[10:11], v[18:19]
	v_add_f64 v[55:56], v[12:13], v[20:21]
	v_fma_f64 v[0:1], v[8:9], v[16:17], -v[0:1]
	v_mul_f64 v[8:9], v[8:9], v[18:19]
	v_add_f64 v[20:21], v[22:23], v[0:1]
	v_fma_f64 v[8:9], v[10:11], v[16:17], v[8:9]
	v_add_f64 v[22:23], v[8:9], v[26:27]
	ds_read_b128 v[12:15], v63 offset:496
	ds_read_b128 v[8:11], v25 offset:15872
	s_waitcnt lgkmcnt(0)
	v_mul_f64 v[0:1], v[14:15], v[10:11]
	v_mul_f64 v[16:17], v[12:13], v[10:11]
	v_fma_f64 v[0:1], v[12:13], v[8:9], -v[0:1]
	v_fma_f64 v[16:17], v[14:15], v[8:9], v[16:17]
	v_add_f64 v[49:50], v[4:5], v[0:1]
	v_add_f64 v[51:52], v[16:17], v[6:7]
	ds_read_b128 v[4:7], v25 offset:16128
	s_waitcnt lgkmcnt(0)
	v_mul_f64 v[0:1], v[14:15], v[6:7]
	v_fma_f64 v[0:1], v[12:13], v[4:5], -v[0:1]
	v_mul_f64 v[12:13], v[12:13], v[6:7]
	v_add_f64 v[16:17], v[28:29], v[0:1]
	v_fma_f64 v[12:13], v[14:15], v[4:5], v[12:13]
	v_add_f64 v[18:19], v[12:13], v[41:42]
	ds_read_b128 v[12:15], v63 offset:8688
	s_waitcnt lgkmcnt(0)
	s_barrier
	v_mul_f64 v[0:1], v[14:15], v[10:11]
	v_mul_f64 v[10:11], v[12:13], v[10:11]
	v_fma_f64 v[0:1], v[12:13], v[8:9], -v[0:1]
	v_fma_f64 v[8:9], v[14:15], v[8:9], v[10:11]
	v_add_f64 v[53:54], v[53:54], v[0:1]
	v_mul_f64 v[0:1], v[14:15], v[6:7]
	v_mul_f64 v[6:7], v[12:13], v[6:7]
	v_add_f64 v[55:56], v[8:9], v[55:56]
	v_fma_f64 v[0:1], v[12:13], v[4:5], -v[0:1]
	v_fma_f64 v[4:5], v[14:15], v[4:5], v[6:7]
	v_add_f64 v[14:15], v[20:21], v[0:1]
	v_add_f64 v[12:13], v[4:5], v[22:23]
	v_mov_b32_e32 v0, s31
	v_addc_co_u32_e32 v48, vcc, v48, v0, vcc
	v_add_co_u32_e32 v35, vcc, 0x200, v35
	v_addc_co_u32_e32 v36, vcc, 0, v36, vcc
	v_add_co_u32_e32 v37, vcc, 0x200, v37
	v_addc_co_u32_e32 v38, vcc, 0, v38, vcc
	s_cbranch_scc1 .LBB122_55
.LBB122_7:                              ;   Parent Loop BB122_4 Depth=1
                                        ; =>  This Inner Loop Header: Depth=2
	buffer_load_dword v1, off, s[56:59], 0 offset:24 ; 4-byte Folded Reload
	v_mov_b32_e32 v0, s41
	v_add_co_u32_e64 v8, s[12:13], v37, v30
	v_addc_co_u32_e64 v9, s[12:13], 0, v38, s[12:13]
	s_waitcnt vmcnt(0)
	v_add_co_u32_e32 v6, vcc, s40, v1
	v_addc_co_u32_e32 v7, vcc, 0, v0, vcc
	v_cmp_eq_u64_e32 vcc, s[40:41], v[39:40]
	v_cmp_le_i64_e64 s[12:13], s[42:43], v[6:7]
	s_and_b64 s[48:49], s[28:29], vcc
	v_cmp_gt_i64_e32 vcc, v[6:7], v[33:34]
	s_or_b64 s[14:15], s[8:9], vcc
	s_or_b64 s[14:15], s[14:15], s[48:49]
	s_nor_b64 s[14:15], s[12:13], s[14:15]
	s_and_saveexec_b64 s[18:19], s[14:15]
	s_xor_b64 s[14:15], exec, s[18:19]
	s_cbranch_execz .LBB122_9
; %bb.8:                                ;   in Loop: Header=BB122_7 Depth=2
	global_load_dwordx4 v[20:23], v[8:9], off offset:-256
	s_waitcnt vmcnt(0)
	ds_write2_b64 v24, v[20:21], v[22:23] offset1:1
.LBB122_9:                              ;   in Loop: Header=BB122_7 Depth=2
	s_or_saveexec_b64 s[14:15], s[14:15]
	s_xor_b64 s[46:47], s[48:49], -1
	s_xor_b64 exec, exec, s[14:15]
	s_cbranch_execz .LBB122_15
; %bb.10:                               ;   in Loop: Header=BB122_7 Depth=2
	s_and_saveexec_b64 s[18:19], s[46:47]
	s_xor_b64 s[18:19], exec, s[18:19]
; %bb.11:                               ;   in Loop: Header=BB122_7 Depth=2
	v_mov_b32_e32 v20, v2
	v_mov_b32_e32 v21, v2
	;; [unrolled: 1-line block ×4, first 2 shown]
	ds_write_b128 v24, v[20:23]
; %bb.12:                               ;   in Loop: Header=BB122_7 Depth=2
	s_andn2_saveexec_b64 s[18:19], s[18:19]
; %bb.13:                               ;   in Loop: Header=BB122_7 Depth=2
	v_mov_b32_e32 v4, v2
	v_mov_b32_e32 v5, v2
	ds_write_b128 v24, v[2:5]
; %bb.14:                               ;   in Loop: Header=BB122_7 Depth=2
	s_or_b64 exec, exec, s[18:19]
.LBB122_15:                             ;   in Loop: Header=BB122_7 Depth=2
	s_or_b64 exec, exec, s[14:15]
	buffer_load_dword v0, off, s[56:59], 0 offset:16 ; 4-byte Folded Reload
	buffer_load_dword v1, off, s[56:59], 0 offset:20 ; 4-byte Folded Reload
	v_add_co_u32_e64 v4, s[18:19], 16, v6
	v_addc_co_u32_e64 v5, s[18:19], 0, v7, s[18:19]
	v_cmp_gt_i64_e64 s[18:19], v[4:5], v[33:34]
	s_or_b64 s[18:19], s[8:9], s[18:19]
	s_waitcnt vmcnt(0)
	v_cmp_eq_u64_e64 s[14:15], s[40:41], v[0:1]
	s_and_b64 s[20:21], s[28:29], s[14:15]
	v_cmp_le_i64_e64 s[14:15], s[42:43], v[4:5]
	s_or_b64 s[18:19], s[18:19], s[20:21]
	s_nor_b64 s[18:19], s[14:15], s[18:19]
	s_and_saveexec_b64 s[54:55], s[18:19]
	s_xor_b64 s[18:19], exec, s[54:55]
	s_cbranch_execz .LBB122_17
; %bb.16:                               ;   in Loop: Header=BB122_7 Depth=2
	global_load_dwordx4 v[8:11], v[8:9], off
	v_add_u32_e32 v0, 0x100, v24
	s_waitcnt vmcnt(0)
	ds_write2_b64 v0, v[8:9], v[10:11] offset1:1
.LBB122_17:                             ;   in Loop: Header=BB122_7 Depth=2
	s_andn2_saveexec_b64 s[18:19], s[18:19]
	s_cbranch_execz .LBB122_23
; %bb.18:                               ;   in Loop: Header=BB122_7 Depth=2
	s_xor_b64 s[20:21], s[20:21], -1
	s_and_saveexec_b64 s[54:55], s[20:21]
	s_xor_b64 s[20:21], exec, s[54:55]
; %bb.19:                               ;   in Loop: Header=BB122_7 Depth=2
	v_mov_b32_e32 v8, v2
	v_mov_b32_e32 v9, v2
	;; [unrolled: 1-line block ×4, first 2 shown]
	ds_write_b128 v24, v[8:11] offset:256
; %bb.20:                               ;   in Loop: Header=BB122_7 Depth=2
	s_andn2_saveexec_b64 s[20:21], s[20:21]
; %bb.21:                               ;   in Loop: Header=BB122_7 Depth=2
	v_mov_b32_e32 v4, v2
	v_mov_b32_e32 v5, v2
	ds_write_b128 v24, v[2:5] offset:256
; %bb.22:                               ;   in Loop: Header=BB122_7 Depth=2
	s_or_b64 exec, exec, s[20:21]
.LBB122_23:                             ;   in Loop: Header=BB122_7 Depth=2
	s_or_b64 exec, exec, s[18:19]
	buffer_load_dword v0, off, s[56:59], 0 offset:8 ; 4-byte Folded Reload
	buffer_load_dword v1, off, s[56:59], 0 offset:12 ; 4-byte Folded Reload
	v_add_co_u32_e64 v8, s[18:19], v35, v30
	v_addc_co_u32_e64 v9, s[18:19], 0, v36, s[18:19]
	s_waitcnt vmcnt(0)
	v_cmp_eq_u64_e64 s[18:19], s[40:41], v[0:1]
	buffer_load_dword v0, off, s[56:59], 0  ; 4-byte Folded Reload
	buffer_load_dword v1, off, s[56:59], 0 offset:4 ; 4-byte Folded Reload
	s_and_b64 s[18:19], s[28:29], s[18:19]
	s_waitcnt vmcnt(0)
	v_cmp_gt_i64_e64 s[20:21], v[6:7], v[0:1]
	s_or_b64 s[20:21], s[10:11], s[20:21]
	s_or_b64 s[20:21], s[20:21], s[18:19]
	s_nor_b64 s[12:13], s[12:13], s[20:21]
	s_and_saveexec_b64 s[20:21], s[12:13]
	s_xor_b64 s[12:13], exec, s[20:21]
	s_cbranch_execz .LBB122_25
; %bb.24:                               ;   in Loop: Header=BB122_7 Depth=2
	global_load_dwordx4 v[4:7], v[8:9], off offset:-256
	v_add_u32_e32 v0, 0x2000, v24
	s_waitcnt vmcnt(0)
	ds_write2_b64 v0, v[4:5], v[6:7] offset1:1
.LBB122_25:                             ;   in Loop: Header=BB122_7 Depth=2
	s_andn2_saveexec_b64 s[12:13], s[12:13]
	s_cbranch_execz .LBB122_31
; %bb.26:                               ;   in Loop: Header=BB122_7 Depth=2
	s_xor_b64 s[18:19], s[18:19], -1
	s_and_saveexec_b64 s[20:21], s[18:19]
	s_xor_b64 s[18:19], exec, s[20:21]
; %bb.27:                               ;   in Loop: Header=BB122_7 Depth=2
	v_mov_b32_e32 v4, v2
	v_mov_b32_e32 v5, v2
	;; [unrolled: 1-line block ×4, first 2 shown]
	ds_write_b128 v24, v[4:7] offset:8192
; %bb.28:                               ;   in Loop: Header=BB122_7 Depth=2
	s_andn2_saveexec_b64 s[18:19], s[18:19]
; %bb.29:                               ;   in Loop: Header=BB122_7 Depth=2
	v_mov_b32_e32 v4, v2
	v_mov_b32_e32 v5, v2
	ds_write_b128 v24, v[2:5] offset:8192
; %bb.30:                               ;   in Loop: Header=BB122_7 Depth=2
	s_or_b64 exec, exec, s[18:19]
.LBB122_31:                             ;   in Loop: Header=BB122_7 Depth=2
	s_or_b64 exec, exec, s[12:13]
	s_or_b64 s[12:13], s[10:11], vcc
	s_or_b64 s[12:13], s[12:13], s[48:49]
	s_nor_b64 s[12:13], s[14:15], s[12:13]
	s_and_saveexec_b64 s[14:15], s[12:13]
	s_xor_b64 s[12:13], exec, s[14:15]
	s_cbranch_execz .LBB122_33
; %bb.32:                               ;   in Loop: Header=BB122_7 Depth=2
	global_load_dwordx4 v[4:7], v[8:9], off
	v_add_u32_e32 v0, 0x2100, v24
	s_waitcnt vmcnt(0)
	ds_write2_b64 v0, v[4:5], v[6:7] offset1:1
.LBB122_33:                             ;   in Loop: Header=BB122_7 Depth=2
	s_andn2_saveexec_b64 s[12:13], s[12:13]
	s_cbranch_execz .LBB122_39
; %bb.34:                               ;   in Loop: Header=BB122_7 Depth=2
	s_and_saveexec_b64 s[14:15], s[46:47]
	s_xor_b64 s[14:15], exec, s[14:15]
; %bb.35:                               ;   in Loop: Header=BB122_7 Depth=2
	v_mov_b32_e32 v4, v2
	v_mov_b32_e32 v5, v2
	;; [unrolled: 1-line block ×4, first 2 shown]
	ds_write_b128 v24, v[4:7] offset:8448
; %bb.36:                               ;   in Loop: Header=BB122_7 Depth=2
	s_andn2_saveexec_b64 s[14:15], s[14:15]
; %bb.37:                               ;   in Loop: Header=BB122_7 Depth=2
	v_mov_b32_e32 v4, v2
	v_mov_b32_e32 v5, v2
	ds_write_b128 v24, v[2:5] offset:8448
; %bb.38:                               ;   in Loop: Header=BB122_7 Depth=2
	s_or_b64 exec, exec, s[14:15]
.LBB122_39:                             ;   in Loop: Header=BB122_7 Depth=2
	s_or_b64 exec, exec, s[12:13]
	v_mov_b32_e32 v0, s41
	v_add_co_u32_e32 v4, vcc, s40, v32
	v_addc_co_u32_e32 v5, vcc, 0, v0, vcc
	buffer_load_dword v0, off, s[56:59], 0 offset:36 ; 4-byte Folded Reload
	v_cmp_le_i64_e32 vcc, s[42:43], v[4:5]
	s_waitcnt vmcnt(0)
	v_add_co_u32_e64 v6, s[12:13], v47, v0
	buffer_load_dword v0, off, s[56:59], 0 offset:40 ; 4-byte Folded Reload
	s_waitcnt vmcnt(0)
	v_addc_co_u32_e64 v7, s[12:13], v48, v0, s[12:13]
	s_nor_b64 s[12:13], vcc, s[0:1]
	s_and_saveexec_b64 s[14:15], s[12:13]
	s_xor_b64 s[12:13], exec, s[14:15]
	s_cbranch_execz .LBB122_41
; %bb.40:                               ;   in Loop: Header=BB122_7 Depth=2
	global_load_dwordx4 v[8:11], v[6:7], off offset:-256
	s_waitcnt vmcnt(0)
	ds_write2_b64 v31, v[8:9], v[10:11] offset1:1
.LBB122_41:                             ;   in Loop: Header=BB122_7 Depth=2
	s_andn2_saveexec_b64 s[12:13], s[12:13]
; %bb.42:                               ;   in Loop: Header=BB122_7 Depth=2
	v_mov_b32_e32 v8, v2
	v_mov_b32_e32 v9, v2
	;; [unrolled: 1-line block ×4, first 2 shown]
	ds_write_b128 v31, v[8:11]
; %bb.43:                               ;   in Loop: Header=BB122_7 Depth=2
	s_or_b64 exec, exec, s[12:13]
	s_nor_b64 s[12:13], vcc, s[2:3]
	s_and_saveexec_b64 s[14:15], s[12:13]
	s_xor_b64 s[12:13], exec, s[14:15]
	s_cbranch_execz .LBB122_45
; %bb.44:                               ;   in Loop: Header=BB122_7 Depth=2
	global_load_dwordx4 v[6:9], v[6:7], off
	v_add_u32_e32 v0, 0x100, v31
	s_waitcnt vmcnt(0)
	ds_write2_b64 v0, v[6:7], v[8:9] offset1:1
.LBB122_45:                             ;   in Loop: Header=BB122_7 Depth=2
	s_andn2_saveexec_b64 s[12:13], s[12:13]
; %bb.46:                               ;   in Loop: Header=BB122_7 Depth=2
	v_mov_b32_e32 v6, v2
	v_mov_b32_e32 v7, v2
	;; [unrolled: 1-line block ×4, first 2 shown]
	ds_write_b128 v31, v[6:9] offset:256
; %bb.47:                               ;   in Loop: Header=BB122_7 Depth=2
	s_or_b64 exec, exec, s[12:13]
	buffer_load_dword v0, off, s[56:59], 0 offset:28 ; 4-byte Folded Reload
	buffer_load_dword v1, off, s[56:59], 0 offset:32 ; 4-byte Folded Reload
	v_cmp_le_i64_e32 vcc, s[34:35], v[4:5]
	s_waitcnt vmcnt(1)
	v_add_co_u32_e64 v4, s[12:13], v47, v0
	buffer_load_dword v0, off, s[56:59], 0 offset:44 ; 4-byte Folded Reload
	s_waitcnt vmcnt(0)
	v_addc_co_u32_e64 v5, s[12:13], v48, v0, s[12:13]
	s_nor_b64 s[12:13], vcc, s[0:1]
	s_and_saveexec_b64 s[14:15], s[12:13]
	s_xor_b64 s[12:13], exec, s[14:15]
	s_cbranch_execz .LBB122_49
; %bb.48:                               ;   in Loop: Header=BB122_7 Depth=2
	global_load_dwordx4 v[6:9], v[4:5], off
	v_add_u32_e32 v0, 0x2000, v31
	s_waitcnt vmcnt(0)
	ds_write2_b64 v0, v[6:7], v[8:9] offset1:1
.LBB122_49:                             ;   in Loop: Header=BB122_7 Depth=2
	s_andn2_saveexec_b64 s[12:13], s[12:13]
; %bb.50:                               ;   in Loop: Header=BB122_7 Depth=2
	v_mov_b32_e32 v6, v2
	v_mov_b32_e32 v7, v2
	;; [unrolled: 1-line block ×4, first 2 shown]
	ds_write_b128 v31, v[6:9] offset:8192
; %bb.51:                               ;   in Loop: Header=BB122_7 Depth=2
	s_or_b64 exec, exec, s[12:13]
	s_nor_b64 s[12:13], vcc, s[2:3]
	s_and_saveexec_b64 s[14:15], s[12:13]
	s_xor_b64 s[12:13], exec, s[14:15]
	s_cbranch_execz .LBB122_53
; %bb.52:                               ;   in Loop: Header=BB122_7 Depth=2
	global_load_dwordx4 v[4:7], v[4:5], off offset:256
	v_add_u32_e32 v0, 0x2100, v31
	s_waitcnt vmcnt(0)
	ds_write2_b64 v0, v[4:5], v[6:7] offset1:1
.LBB122_53:                             ;   in Loop: Header=BB122_7 Depth=2
	s_andn2_saveexec_b64 s[12:13], s[12:13]
	s_cbranch_execz .LBB122_6
; %bb.54:                               ;   in Loop: Header=BB122_7 Depth=2
	v_mov_b32_e32 v4, v2
	v_mov_b32_e32 v5, v2
	;; [unrolled: 1-line block ×4, first 2 shown]
	ds_write_b128 v31, v[4:7] offset:8448
	s_branch .LBB122_6
.LBB122_55:                             ;   in Loop: Header=BB122_4 Depth=1
	v_mul_lo_u32 v0, s45, v33
	v_mul_lo_u32 v1, s44, v34
	v_mad_u64_u32 v[4:5], s[8:9], s44, v33, 0
	v_cmp_gt_i32_e32 vcc, s42, v33
	v_add3_u32 v5, v5, v1, v0
	v_lshlrev_b64 v[4:5], 4, v[4:5]
	v_mov_b32_e32 v0, s52
	v_add_co_u32_e64 v4, s[8:9], s51, v4
	v_addc_co_u32_e64 v5, s[8:9], v0, v5, s[8:9]
	s_and_b64 s[8:9], s[4:5], vcc
	s_and_saveexec_b64 s[10:11], s[8:9]
	s_cbranch_execz .LBB122_57
; %bb.56:                               ;   in Loop: Header=BB122_4 Depth=1
	buffer_load_dword v0, off, s[56:59], 0 offset:56 ; 4-byte Folded Reload
	buffer_load_dword v1, off, s[56:59], 0 offset:60 ; 4-byte Folded Reload
	v_mul_f64 v[10:11], s[38:39], v[51:52]
	v_mul_f64 v[20:21], s[36:37], v[51:52]
	v_fma_f64 v[10:11], s[36:37], v[49:50], -v[10:11]
	v_fma_f64 v[20:21], s[38:39], v[49:50], v[20:21]
	s_waitcnt vmcnt(1)
	v_add_co_u32_e64 v0, s[8:9], v4, v0
	s_waitcnt vmcnt(0)
	v_addc_co_u32_e64 v1, s[8:9], v5, v1, s[8:9]
	global_load_dwordx4 v[6:9], v[0:1], off
	s_waitcnt vmcnt(0)
	v_add_f64 v[6:7], v[6:7], v[10:11]
	v_add_f64 v[8:9], v[20:21], v[8:9]
	global_store_dwordx4 v[0:1], v[6:9], off
.LBB122_57:                             ;   in Loop: Header=BB122_4 Depth=1
	s_or_b64 exec, exec, s[10:11]
	s_and_b64 s[10:11], s[16:17], vcc
	s_mov_b64 s[8:9], exec
	buffer_load_dword v20, off, s[56:59], 0 offset:48 ; 4-byte Folded Reload
	buffer_load_dword v21, off, s[56:59], 0 offset:52 ; 4-byte Folded Reload
	s_and_b64 s[10:11], s[8:9], s[10:11]
	s_mov_b64 exec, s[10:11]
	s_cbranch_execz .LBB122_59
; %bb.58:                               ;   in Loop: Header=BB122_4 Depth=1
	buffer_load_dword v0, off, s[56:59], 0 offset:64 ; 4-byte Folded Reload
	buffer_load_dword v1, off, s[56:59], 0 offset:68 ; 4-byte Folded Reload
	v_mul_f64 v[8:9], s[38:39], v[18:19]
	v_mul_f64 v[10:11], s[36:37], v[18:19]
	v_fma_f64 v[8:9], s[36:37], v[16:17], -v[8:9]
	v_fma_f64 v[10:11], s[38:39], v[16:17], v[10:11]
	s_waitcnt vmcnt(1)
	v_add_co_u32_e32 v0, vcc, v4, v0
	s_waitcnt vmcnt(0)
	v_addc_co_u32_e32 v1, vcc, v5, v1, vcc
	global_load_dwordx4 v[4:7], v[0:1], off
	s_waitcnt vmcnt(0)
	v_add_f64 v[4:5], v[4:5], v[8:9]
	v_add_f64 v[6:7], v[10:11], v[6:7]
	global_store_dwordx4 v[0:1], v[4:7], off
.LBB122_59:                             ;   in Loop: Header=BB122_4 Depth=1
	s_or_b64 exec, exec, s[8:9]
	v_add_u32_e32 v4, 16, v33
	v_ashrrev_i32_e32 v0, 31, v4
	v_mul_lo_u32 v5, s44, v0
	v_mul_lo_u32 v6, s45, v4
	v_mad_u64_u32 v[0:1], s[8:9], s44, v4, 0
	v_cmp_gt_i32_e32 vcc, s42, v4
	v_add3_u32 v1, v1, v5, v6
	v_lshlrev_b64 v[0:1], 4, v[0:1]
	v_mov_b32_e32 v5, s52
	v_add_co_u32_e64 v4, s[8:9], s51, v0
	v_addc_co_u32_e64 v5, s[8:9], v5, v1, s[8:9]
	s_and_b64 s[8:9], s[4:5], vcc
	s_and_saveexec_b64 s[10:11], s[8:9]
	s_cbranch_execz .LBB122_61
; %bb.60:                               ;   in Loop: Header=BB122_4 Depth=1
	buffer_load_dword v0, off, s[56:59], 0 offset:56 ; 4-byte Folded Reload
	buffer_load_dword v1, off, s[56:59], 0 offset:60 ; 4-byte Folded Reload
	v_mul_f64 v[10:11], s[38:39], v[55:56]
	v_mul_f64 v[16:17], s[36:37], v[55:56]
	v_fma_f64 v[10:11], s[36:37], v[53:54], -v[10:11]
	v_fma_f64 v[16:17], s[38:39], v[53:54], v[16:17]
	s_waitcnt vmcnt(1)
	v_add_co_u32_e64 v0, s[8:9], v4, v0
	s_waitcnt vmcnt(0)
	v_addc_co_u32_e64 v1, s[8:9], v5, v1, s[8:9]
	global_load_dwordx4 v[6:9], v[0:1], off
	s_waitcnt vmcnt(0)
	v_add_f64 v[6:7], v[6:7], v[10:11]
	v_add_f64 v[8:9], v[16:17], v[8:9]
	global_store_dwordx4 v[0:1], v[6:9], off
.LBB122_61:                             ;   in Loop: Header=BB122_4 Depth=1
	s_or_b64 exec, exec, s[10:11]
	s_and_b64 s[10:11], s[16:17], vcc
	s_and_saveexec_b64 s[8:9], s[10:11]
	s_cbranch_execz .LBB122_3
; %bb.62:                               ;   in Loop: Header=BB122_4 Depth=1
	buffer_load_dword v0, off, s[56:59], 0 offset:64 ; 4-byte Folded Reload
	buffer_load_dword v1, off, s[56:59], 0 offset:68 ; 4-byte Folded Reload
	v_mul_f64 v[8:9], s[38:39], v[12:13]
	v_mul_f64 v[10:11], s[36:37], v[12:13]
	v_fma_f64 v[8:9], s[36:37], v[14:15], -v[8:9]
	v_fma_f64 v[10:11], s[38:39], v[14:15], v[10:11]
	s_waitcnt vmcnt(1)
	v_add_co_u32_e32 v0, vcc, v4, v0
	s_waitcnt vmcnt(0)
	v_addc_co_u32_e32 v1, vcc, v5, v1, vcc
	global_load_dwordx4 v[4:7], v[0:1], off
	s_waitcnt vmcnt(0)
	v_add_f64 v[4:5], v[4:5], v[8:9]
	v_add_f64 v[6:7], v[10:11], v[6:7]
	global_store_dwordx4 v[0:1], v[4:7], off
	s_branch .LBB122_3
.LBB122_63:
	s_endpgm
	.section	.rodata,"a",@progbits
	.p2align	6, 0x0
	.amdhsa_kernel _ZL30rocblas_trmm_outofplace_kernelI19rocblas_complex_numIdELi32ELi2ELb0ELb1ELb0ELb0EPKS1_S2_S1_Ev17rocblas_diagonal_iiT6_lPT7_lllS7_lllPT8_llli
		.amdhsa_group_segment_fixed_size 32768
		.amdhsa_private_segment_fixed_size 92
		.amdhsa_kernarg_size 392
		.amdhsa_user_sgpr_count 6
		.amdhsa_user_sgpr_private_segment_buffer 1
		.amdhsa_user_sgpr_dispatch_ptr 0
		.amdhsa_user_sgpr_queue_ptr 0
		.amdhsa_user_sgpr_kernarg_segment_ptr 1
		.amdhsa_user_sgpr_dispatch_id 0
		.amdhsa_user_sgpr_flat_scratch_init 0
		.amdhsa_user_sgpr_private_segment_size 0
		.amdhsa_uses_dynamic_stack 0
		.amdhsa_system_sgpr_private_segment_wavefront_offset 1
		.amdhsa_system_sgpr_workgroup_id_x 1
		.amdhsa_system_sgpr_workgroup_id_y 1
		.amdhsa_system_sgpr_workgroup_id_z 1
		.amdhsa_system_sgpr_workgroup_info 0
		.amdhsa_system_vgpr_workitem_id 1
		.amdhsa_next_free_vgpr 64
		.amdhsa_next_free_sgpr 61
		.amdhsa_reserve_vcc 1
		.amdhsa_reserve_flat_scratch 0
		.amdhsa_float_round_mode_32 0
		.amdhsa_float_round_mode_16_64 0
		.amdhsa_float_denorm_mode_32 3
		.amdhsa_float_denorm_mode_16_64 3
		.amdhsa_dx10_clamp 1
		.amdhsa_ieee_mode 1
		.amdhsa_fp16_overflow 0
		.amdhsa_exception_fp_ieee_invalid_op 0
		.amdhsa_exception_fp_denorm_src 0
		.amdhsa_exception_fp_ieee_div_zero 0
		.amdhsa_exception_fp_ieee_overflow 0
		.amdhsa_exception_fp_ieee_underflow 0
		.amdhsa_exception_fp_ieee_inexact 0
		.amdhsa_exception_int_div_zero 0
	.end_amdhsa_kernel
	.section	.text._ZL30rocblas_trmm_outofplace_kernelI19rocblas_complex_numIdELi32ELi2ELb0ELb1ELb0ELb0EPKS1_S2_S1_Ev17rocblas_diagonal_iiT6_lPT7_lllS7_lllPT8_llli,"axG",@progbits,_ZL30rocblas_trmm_outofplace_kernelI19rocblas_complex_numIdELi32ELi2ELb0ELb1ELb0ELb0EPKS1_S2_S1_Ev17rocblas_diagonal_iiT6_lPT7_lllS7_lllPT8_llli,comdat
.Lfunc_end122:
	.size	_ZL30rocblas_trmm_outofplace_kernelI19rocblas_complex_numIdELi32ELi2ELb0ELb1ELb0ELb0EPKS1_S2_S1_Ev17rocblas_diagonal_iiT6_lPT7_lllS7_lllPT8_llli, .Lfunc_end122-_ZL30rocblas_trmm_outofplace_kernelI19rocblas_complex_numIdELi32ELi2ELb0ELb1ELb0ELb0EPKS1_S2_S1_Ev17rocblas_diagonal_iiT6_lPT7_lllS7_lllPT8_llli
                                        ; -- End function
	.set _ZL30rocblas_trmm_outofplace_kernelI19rocblas_complex_numIdELi32ELi2ELb0ELb1ELb0ELb0EPKS1_S2_S1_Ev17rocblas_diagonal_iiT6_lPT7_lllS7_lllPT8_llli.num_vgpr, 64
	.set _ZL30rocblas_trmm_outofplace_kernelI19rocblas_complex_numIdELi32ELi2ELb0ELb1ELb0ELb0EPKS1_S2_S1_Ev17rocblas_diagonal_iiT6_lPT7_lllS7_lllPT8_llli.num_agpr, 0
	.set _ZL30rocblas_trmm_outofplace_kernelI19rocblas_complex_numIdELi32ELi2ELb0ELb1ELb0ELb0EPKS1_S2_S1_Ev17rocblas_diagonal_iiT6_lPT7_lllS7_lllPT8_llli.numbered_sgpr, 60
	.set _ZL30rocblas_trmm_outofplace_kernelI19rocblas_complex_numIdELi32ELi2ELb0ELb1ELb0ELb0EPKS1_S2_S1_Ev17rocblas_diagonal_iiT6_lPT7_lllS7_lllPT8_llli.num_named_barrier, 0
	.set _ZL30rocblas_trmm_outofplace_kernelI19rocblas_complex_numIdELi32ELi2ELb0ELb1ELb0ELb0EPKS1_S2_S1_Ev17rocblas_diagonal_iiT6_lPT7_lllS7_lllPT8_llli.private_seg_size, 92
	.set _ZL30rocblas_trmm_outofplace_kernelI19rocblas_complex_numIdELi32ELi2ELb0ELb1ELb0ELb0EPKS1_S2_S1_Ev17rocblas_diagonal_iiT6_lPT7_lllS7_lllPT8_llli.uses_vcc, 1
	.set _ZL30rocblas_trmm_outofplace_kernelI19rocblas_complex_numIdELi32ELi2ELb0ELb1ELb0ELb0EPKS1_S2_S1_Ev17rocblas_diagonal_iiT6_lPT7_lllS7_lllPT8_llli.uses_flat_scratch, 0
	.set _ZL30rocblas_trmm_outofplace_kernelI19rocblas_complex_numIdELi32ELi2ELb0ELb1ELb0ELb0EPKS1_S2_S1_Ev17rocblas_diagonal_iiT6_lPT7_lllS7_lllPT8_llli.has_dyn_sized_stack, 0
	.set _ZL30rocblas_trmm_outofplace_kernelI19rocblas_complex_numIdELi32ELi2ELb0ELb1ELb0ELb0EPKS1_S2_S1_Ev17rocblas_diagonal_iiT6_lPT7_lllS7_lllPT8_llli.has_recursion, 0
	.set _ZL30rocblas_trmm_outofplace_kernelI19rocblas_complex_numIdELi32ELi2ELb0ELb1ELb0ELb0EPKS1_S2_S1_Ev17rocblas_diagonal_iiT6_lPT7_lllS7_lllPT8_llli.has_indirect_call, 0
	.section	.AMDGPU.csdata,"",@progbits
; Kernel info:
; codeLenInByte = 10576
; TotalNumSgprs: 64
; NumVgprs: 64
; ScratchSize: 92
; MemoryBound: 0
; FloatMode: 240
; IeeeMode: 1
; LDSByteSize: 32768 bytes/workgroup (compile time only)
; SGPRBlocks: 8
; VGPRBlocks: 15
; NumSGPRsForWavesPerEU: 65
; NumVGPRsForWavesPerEU: 64
; Occupancy: 4
; WaveLimiterHint : 0
; COMPUTE_PGM_RSRC2:SCRATCH_EN: 1
; COMPUTE_PGM_RSRC2:USER_SGPR: 6
; COMPUTE_PGM_RSRC2:TRAP_HANDLER: 0
; COMPUTE_PGM_RSRC2:TGID_X_EN: 1
; COMPUTE_PGM_RSRC2:TGID_Y_EN: 1
; COMPUTE_PGM_RSRC2:TGID_Z_EN: 1
; COMPUTE_PGM_RSRC2:TIDIG_COMP_CNT: 1
	.section	.text._ZL30rocblas_trmm_outofplace_kernelI19rocblas_complex_numIdELi32ELi2ELb0ELb1ELb0ELb0ES1_KS1_S1_Ev17rocblas_diagonal_iiT6_lPT7_lllS6_lllPT8_llli,"axG",@progbits,_ZL30rocblas_trmm_outofplace_kernelI19rocblas_complex_numIdELi32ELi2ELb0ELb1ELb0ELb0ES1_KS1_S1_Ev17rocblas_diagonal_iiT6_lPT7_lllS6_lllPT8_llli,comdat
	.globl	_ZL30rocblas_trmm_outofplace_kernelI19rocblas_complex_numIdELi32ELi2ELb0ELb1ELb0ELb0ES1_KS1_S1_Ev17rocblas_diagonal_iiT6_lPT7_lllS6_lllPT8_llli ; -- Begin function _ZL30rocblas_trmm_outofplace_kernelI19rocblas_complex_numIdELi32ELi2ELb0ELb1ELb0ELb0ES1_KS1_S1_Ev17rocblas_diagonal_iiT6_lPT7_lllS6_lllPT8_llli
	.p2align	8
	.type	_ZL30rocblas_trmm_outofplace_kernelI19rocblas_complex_numIdELi32ELi2ELb0ELb1ELb0ELb0ES1_KS1_S1_Ev17rocblas_diagonal_iiT6_lPT7_lllS6_lllPT8_llli,@function
_ZL30rocblas_trmm_outofplace_kernelI19rocblas_complex_numIdELi32ELi2ELb0ELb1ELb0ELb0ES1_KS1_S1_Ev17rocblas_diagonal_iiT6_lPT7_lllS6_lllPT8_llli: ; @_ZL30rocblas_trmm_outofplace_kernelI19rocblas_complex_numIdELi32ELi2ELb0ELb1ELb0ELb0ES1_KS1_S1_Ev17rocblas_diagonal_iiT6_lPT7_lllS6_lllPT8_llli
; %bb.0:
	s_load_dwordx4 s[28:31], s[4:5], 0x10
	s_mov_b64 s[58:59], s[2:3]
	s_mov_b64 s[56:57], s[0:1]
	s_add_u32 s56, s56, s9
	s_addc_u32 s57, s57, 0
	s_waitcnt lgkmcnt(0)
	v_cmp_eq_f64_e64 s[0:1], s[28:29], 0
	v_cmp_eq_f64_e64 s[2:3], s[30:31], 0
	s_and_b64 s[0:1], s[0:1], s[2:3]
	s_and_b64 vcc, exec, s[0:1]
	s_cbranch_vccnz .LBB123_63
; %bb.1:
	s_load_dwordx4 s[52:55], s[4:5], 0x0
	s_waitcnt lgkmcnt(0)
	s_add_i32 s0, s54, -1
	s_ashr_i32 s1, s0, 31
	s_lshr_b32 s1, s1, 27
	s_add_i32 s0, s0, s1
	s_ashr_i32 s33, s0, 5
	s_cmp_gt_i32 s7, s33
	s_cbranch_scc1 .LBB123_63
; %bb.2:
	s_load_dwordx16 s[36:51], s[4:5], 0x28
	s_load_dwordx8 s[20:27], s[4:5], 0x68
	v_mov_b32_e32 v30, v0
	v_lshl_add_u32 v3, s6, 5, v30
	v_ashrrev_i32_e32 v4, 31, v3
	s_waitcnt lgkmcnt(0)
	s_mul_i32 s1, s51, s8
	s_mul_hi_u32 s2, s50, s8
	s_mul_i32 s0, s50, s8
	s_add_i32 s1, s2, s1
	s_lshl_b64 s[0:1], s[0:1], 4
	s_add_u32 s2, s44, s0
	s_addc_u32 s3, s45, s1
	s_lshl_b64 s[0:1], s[46:47], 4
	v_lshlrev_b64 v[5:6], 4, v[3:4]
	s_add_u32 s2, s2, s0
	v_add_co_u32_e32 v7, vcc, s2, v5
	buffer_store_dword v5, off, s[56:59], 0 offset:52 ; 4-byte Folded Spill
	s_nop 0
	buffer_store_dword v6, off, s[56:59], 0 offset:56 ; 4-byte Folded Spill
	s_addc_u32 s3, s3, s1
	s_mul_i32 s0, s27, s8
	s_mul_hi_u32 s1, s26, s8
	s_add_i32 s1, s1, s0
	s_mul_i32 s0, s26, s8
	s_lshl_b64 s[0:1], s[0:1], 4
	s_add_u32 s9, s20, s0
	s_addc_u32 s10, s21, s1
	s_lshl_b64 s[0:1], s[22:23], 4
	s_add_u32 s50, s9, s0
	s_addc_u32 s51, s10, s1
	v_mov_b32_e32 v0, s3
	s_cmpk_eq_i32 s52, 0x84
	v_mov_b32_e32 v32, v1
	s_cselect_b64 s[22:23], -1, 0
	s_ashr_i32 s0, s53, 31
	s_ashr_i32 s55, s54, 31
	s_lshl_b64 s[26:27], s[48:49], 9
	s_movk_i32 s9, 0x100
	v_lshlrev_b32_e32 v63, 9, v32
	v_lshlrev_b32_e32 v1, 4, v30
	s_add_u32 s34, s54, -16
	s_mul_hi_u32 s10, s42, s8
	v_mov_b32_e32 v2, 0
	v_add_u32_e32 v24, v63, v1
	v_or_b32_e32 v25, 0x4000, v1
	s_addc_u32 s35, s55, -1
	v_add_u32_e32 v31, v25, v63
	v_lshl_add_u32 v20, s7, 5, v32
	v_addc_co_u32_e32 v8, vcc, v0, v6, vcc
	buffer_store_dword v7, off, s[56:59], 0 offset:68 ; 4-byte Folded Spill
	s_nop 0
	buffer_store_dword v8, off, s[56:59], 0 offset:72 ; 4-byte Folded Spill
	v_mov_b32_e32 v0, s0
	v_mad_u64_u32 v[7:8], s[0:1], s48, v32, 0
	v_sub_co_u32_e32 v5, vcc, s53, v3
	v_subb_co_u32_e32 v6, vcc, v0, v4, vcc
	v_mov_b32_e32 v4, v8
	v_mov_b32_e32 v0, 0x100
	s_load_dword s6, s[4:5], 0x94
	v_cmp_gt_i64_e64 s[0:1], 1, v[5:6]
	v_cmp_gt_i64_e64 s[2:3], 17, v[5:6]
	v_mad_u64_u32 v[4:5], s[4:5], s49, v32, v[4:5]
	v_lshl_add_u32 v0, v32, 4, v0
	v_mad_u64_u32 v[9:10], s[4:5], s48, v0, 0
	v_mov_b32_e32 v8, v4
	v_lshlrev_b64 v[4:5], 4, v[7:8]
	v_mov_b32_e32 v6, v10
	v_mad_u64_u32 v[6:7], s[4:5], s49, v0, v[6:7]
	v_add_co_u32_e32 v0, vcc, s9, v4
	s_mul_i32 s9, s43, s8
	v_mov_b32_e32 v1, v9
	s_add_i32 s9, s10, s9
	s_mul_i32 s8, s42, s8
	buffer_store_dword v1, off, s[56:59], 0 offset:24 ; 4-byte Folded Spill
	s_nop 0
	buffer_store_dword v2, off, s[56:59], 0 offset:28 ; 4-byte Folded Spill
	buffer_store_dword v0, off, s[56:59], 0 offset:32 ; 4-byte Folded Spill
	v_addc_co_u32_e32 v0, vcc, 0, v5, vcc
	v_add_u32_e32 v4, 16, v3
	s_waitcnt lgkmcnt(0)
	s_lshl_b32 s48, s6, 5
	s_lshl_b64 s[8:9], s[8:9], 4
	s_lshl_b64 s[10:11], s[38:39], 4
	buffer_store_dword v0, off, s[56:59], 0 offset:36 ; 4-byte Folded Spill
	v_mov_b32_e32 v0, v6
	v_ashrrev_i32_e32 v5, 31, v4
	s_add_u32 s8, s8, s10
	buffer_store_dword v0, off, s[56:59], 0 offset:40 ; 4-byte Folded Spill
	s_addc_u32 s9, s9, s11
	v_lshlrev_b64 v[0:1], 4, v[4:5]
	s_add_u32 s8, s36, s8
	s_addc_u32 s9, s37, s9
	buffer_store_dword v0, off, s[56:59], 0 offset:60 ; 4-byte Folded Spill
	s_nop 0
	buffer_store_dword v1, off, s[56:59], 0 offset:64 ; 4-byte Folded Spill
	s_add_u32 s36, s8, 0x100
	v_sub_co_u32_e32 v0, vcc, 0, v30
	v_cmp_gt_i32_e64 s[4:5], s53, v3
	v_cmp_gt_i32_e64 s[16:17], s53, v4
	s_addc_u32 s37, s9, 0
	s_lshl_b64 s[38:39], s[40:41], 4
	v_mov_b32_e32 v3, 0x3ff00000
	buffer_store_dword v0, off, s[56:59], 0 offset:76 ; 4-byte Folded Spill
	v_subb_co_u32_e64 v0, s[8:9], 0, 0, vcc
	buffer_store_dword v0, off, s[56:59], 0 offset:80 ; 4-byte Folded Spill
	s_branch .LBB123_4
.LBB123_3:                              ;   in Loop: Header=BB123_4 Depth=1
	s_or_b64 exec, exec, s[8:9]
	s_add_i32 s7, s6, s7
	s_cmp_le_i32 s7, s33
	s_waitcnt vmcnt(1)
	v_add_u32_e32 v20, s48, v20
	s_cbranch_scc0 .LBB123_63
.LBB123_4:                              ; =>This Loop Header: Depth=1
                                        ;     Child Loop BB123_7 Depth 2
	s_lshl_b32 s49, s7, 5
	v_add_u32_e32 v33, s49, v32
	v_mov_b32_e32 v49, 0
	v_mov_b32_e32 v51, 0
	;; [unrolled: 1-line block ×9, first 2 shown]
	s_cmp_lt_i32 s7, 0
	v_mov_b32_e32 v52, 0
	v_mov_b32_e32 v17, 0
	;; [unrolled: 1-line block ×7, first 2 shown]
	v_ashrrev_i32_e32 v34, 31, v33
	buffer_store_dword v20, off, s[56:59], 0 offset:44 ; 4-byte Folded Spill
	s_waitcnt vmcnt(1)
	buffer_store_dword v21, off, s[56:59], 0 offset:48 ; 4-byte Folded Spill
	s_cbranch_scc1 .LBB123_55
; %bb.5:                                ;   in Loop: Header=BB123_4 Depth=1
	buffer_load_dword v0, off, s[56:59], 0 offset:44 ; 4-byte Folded Reload
	buffer_load_dword v1, off, s[56:59], 0 offset:48 ; 4-byte Folded Reload
	v_mov_b32_e32 v12, 0
	v_mov_b32_e32 v14, 0
	;; [unrolled: 1-line block ×9, first 2 shown]
	s_mov_b64 s[42:43], 0
	v_mov_b32_e32 v15, 0
	v_mov_b32_e32 v56, 0
	;; [unrolled: 1-line block ×7, first 2 shown]
	s_waitcnt vmcnt(1)
	v_mov_b32_e32 v7, v0
	v_ashrrev_i32_e32 v8, 31, v7
	v_lshlrev_b64 v[4:5], 4, v[7:8]
	v_add_co_u32_e32 v0, vcc, 0x100, v4
	s_waitcnt vmcnt(0)
	v_addc_co_u32_e32 v1, vcc, 0, v5, vcc
	v_mov_b32_e32 v4, s36
	v_mov_b32_e32 v5, s37
	v_mad_u64_u32 v[35:36], s[8:9], s40, v0, v[4:5]
	v_mad_u64_u32 v[37:38], s[8:9], s38, v7, v[4:5]
	buffer_load_dword v5, off, s[56:59], 0 offset:76 ; 4-byte Folded Reload
	v_mul_lo_u32 v6, s41, v0
	v_mul_lo_u32 v0, s39, v7
	;; [unrolled: 1-line block ×4, first 2 shown]
	v_cmp_le_i32_e64 s[8:9], s54, v33
	v_add3_u32 v38, v0, v38, v4
	v_add3_u32 v36, v6, v36, v1
	s_waitcnt vmcnt(0)
	v_add_co_u32_e32 v39, vcc, v5, v7
	buffer_load_dword v5, off, s[56:59], 0 offset:80 ; 4-byte Folded Reload
	s_nop 0
	buffer_store_dword v7, off, s[56:59], 0 offset:44 ; 4-byte Folded Spill
	s_nop 0
	buffer_store_dword v8, off, s[56:59], 0 offset:48 ; 4-byte Folded Spill
	s_waitcnt vmcnt(2)
	v_addc_co_u32_e32 v40, vcc, v5, v8, vcc
	v_add_co_u32_e32 v0, vcc, 16, v33
	v_addc_co_u32_e32 v1, vcc, 0, v34, vcc
	buffer_store_dword v0, off, s[56:59], 0 ; 4-byte Folded Spill
	s_nop 0
	buffer_store_dword v1, off, s[56:59], 0 offset:4 ; 4-byte Folded Spill
	v_cmp_le_i64_e64 s[10:11], s[54:55], v[0:1]
	v_add_co_u32_e32 v0, vcc, 16, v39
	v_addc_co_u32_e32 v1, vcc, 0, v40, vcc
	buffer_store_dword v0, off, s[56:59], 0 offset:8 ; 4-byte Folded Spill
	s_nop 0
	buffer_store_dword v1, off, s[56:59], 0 offset:12 ; 4-byte Folded Spill
	v_add_co_u32_e32 v0, vcc, -16, v39
	v_addc_co_u32_e32 v1, vcc, -1, v40, vcc
	buffer_store_dword v0, off, s[56:59], 0 offset:16 ; 4-byte Folded Spill
	s_nop 0
	buffer_store_dword v1, off, s[56:59], 0 offset:20 ; 4-byte Folded Spill
	buffer_load_dword v47, off, s[56:59], 0 offset:68 ; 4-byte Folded Reload
	buffer_load_dword v48, off, s[56:59], 0 offset:72 ; 4-byte Folded Reload
	s_branch .LBB123_7
.LBB123_6:                              ;   in Loop: Header=BB123_7 Depth=2
	s_or_b64 exec, exec, s[12:13]
	s_waitcnt lgkmcnt(0)
	s_barrier
	ds_read_b128 v[57:60], v63
	ds_read_b128 v[20:23], v63 offset:16
	ds_read_b128 v[8:11], v63 offset:32
	;; [unrolled: 1-line block ×3, first 2 shown]
	ds_read_b128 v[26:29], v25
	v_add_co_u32_e32 v47, vcc, s26, v47
	s_add_u32 s42, s42, 32
	s_addc_u32 s43, s43, 0
	s_waitcnt lgkmcnt(0)
	v_mul_f64 v[61:62], v[59:60], v[28:29]
	v_mul_f64 v[43:44], v[57:58], v[28:29]
	s_sub_i32 s12, s42, 32
	s_cmp_ge_i32 s12, s49
	v_fma_f64 v[61:62], v[57:58], v[26:27], -v[61:62]
	v_fma_f64 v[43:44], v[59:60], v[26:27], v[43:44]
	v_add_f64 v[0:1], v[49:50], v[61:62]
	v_add_f64 v[43:44], v[43:44], v[51:52]
	ds_read_b128 v[49:52], v25 offset:256
	s_waitcnt lgkmcnt(0)
	v_mul_f64 v[61:62], v[59:60], v[51:52]
	v_fma_f64 v[61:62], v[57:58], v[49:50], -v[61:62]
	v_mul_f64 v[57:58], v[57:58], v[51:52]
	v_add_f64 v[45:46], v[16:17], v[61:62]
	v_fma_f64 v[57:58], v[59:60], v[49:50], v[57:58]
	v_add_f64 v[41:42], v[57:58], v[18:19]
	ds_read_b128 v[16:19], v63 offset:8192
	s_waitcnt lgkmcnt(0)
	v_mul_f64 v[57:58], v[18:19], v[28:29]
	v_mul_f64 v[28:29], v[16:17], v[28:29]
	v_fma_f64 v[57:58], v[16:17], v[26:27], -v[57:58]
	v_fma_f64 v[26:27], v[18:19], v[26:27], v[28:29]
	v_mul_f64 v[28:29], v[18:19], v[51:52]
	v_add_f64 v[61:62], v[53:54], v[57:58]
	v_add_f64 v[26:27], v[26:27], v[55:56]
	v_fma_f64 v[28:29], v[16:17], v[49:50], -v[28:29]
	v_mul_f64 v[16:17], v[16:17], v[51:52]
	v_add_f64 v[57:58], v[14:15], v[28:29]
	v_fma_f64 v[16:17], v[18:19], v[49:50], v[16:17]
	v_add_f64 v[59:60], v[16:17], v[12:13]
	ds_read_b128 v[16:19], v25 offset:512
	s_waitcnt lgkmcnt(0)
	v_mul_f64 v[12:13], v[22:23], v[18:19]
	v_mul_f64 v[14:15], v[20:21], v[18:19]
	v_fma_f64 v[12:13], v[20:21], v[16:17], -v[12:13]
	v_fma_f64 v[14:15], v[22:23], v[16:17], v[14:15]
	v_add_f64 v[53:54], v[0:1], v[12:13]
	v_add_f64 v[55:56], v[14:15], v[43:44]
	ds_read_b128 v[12:15], v25 offset:768
	s_waitcnt lgkmcnt(0)
	v_mul_f64 v[0:1], v[22:23], v[14:15]
	v_fma_f64 v[0:1], v[20:21], v[12:13], -v[0:1]
	v_mul_f64 v[20:21], v[20:21], v[14:15]
	v_add_f64 v[49:50], v[45:46], v[0:1]
	v_fma_f64 v[20:21], v[22:23], v[12:13], v[20:21]
	v_add_f64 v[51:52], v[20:21], v[41:42]
	ds_read_b128 v[20:23], v63 offset:8208
	s_waitcnt lgkmcnt(0)
	v_mul_f64 v[0:1], v[22:23], v[18:19]
	v_mul_f64 v[18:19], v[20:21], v[18:19]
	v_fma_f64 v[0:1], v[20:21], v[16:17], -v[0:1]
	v_fma_f64 v[18:19], v[22:23], v[16:17], v[18:19]
	v_add_f64 v[16:17], v[61:62], v[0:1]
	v_mul_f64 v[0:1], v[22:23], v[14:15]
	v_mul_f64 v[14:15], v[20:21], v[14:15]
	v_add_f64 v[18:19], v[18:19], v[26:27]
	v_fma_f64 v[0:1], v[20:21], v[12:13], -v[0:1]
	v_fma_f64 v[14:15], v[22:23], v[12:13], v[14:15]
	ds_read_b128 v[20:23], v25 offset:1024
	s_waitcnt lgkmcnt(0)
	v_mul_f64 v[26:27], v[8:9], v[22:23]
	v_add_f64 v[12:13], v[57:58], v[0:1]
	v_mul_f64 v[0:1], v[10:11], v[22:23]
	v_add_f64 v[14:15], v[14:15], v[59:60]
	v_fma_f64 v[26:27], v[10:11], v[20:21], v[26:27]
	v_fma_f64 v[0:1], v[8:9], v[20:21], -v[0:1]
	v_add_f64 v[41:42], v[26:27], v[55:56]
	ds_read_b128 v[26:29], v25 offset:1280
	v_add_f64 v[0:1], v[53:54], v[0:1]
	s_waitcnt lgkmcnt(0)
	v_mul_f64 v[43:44], v[10:11], v[28:29]
	v_fma_f64 v[43:44], v[8:9], v[26:27], -v[43:44]
	v_mul_f64 v[8:9], v[8:9], v[28:29]
	v_add_f64 v[43:44], v[49:50], v[43:44]
	v_fma_f64 v[8:9], v[10:11], v[26:27], v[8:9]
	v_add_f64 v[45:46], v[8:9], v[51:52]
	ds_read_b128 v[8:11], v63 offset:8224
	ds_read_b128 v[51:54], v63 offset:8240
	s_waitcnt lgkmcnt(1)
	v_mul_f64 v[49:50], v[10:11], v[22:23]
	v_mul_f64 v[22:23], v[8:9], v[22:23]
	v_fma_f64 v[49:50], v[8:9], v[20:21], -v[49:50]
	v_fma_f64 v[22:23], v[10:11], v[20:21], v[22:23]
	v_add_f64 v[20:21], v[16:17], v[49:50]
	v_mul_f64 v[16:17], v[10:11], v[28:29]
	v_add_f64 v[22:23], v[22:23], v[18:19]
	v_fma_f64 v[16:17], v[8:9], v[26:27], -v[16:17]
	v_mul_f64 v[8:9], v[8:9], v[28:29]
	v_fma_f64 v[8:9], v[10:11], v[26:27], v[8:9]
	v_add_f64 v[26:27], v[12:13], v[16:17]
	v_add_f64 v[49:50], v[8:9], v[14:15]
	ds_read_b128 v[8:11], v25 offset:1536
	s_waitcnt lgkmcnt(0)
	v_mul_f64 v[12:13], v[6:7], v[10:11]
	v_mul_f64 v[14:15], v[4:5], v[10:11]
	v_fma_f64 v[12:13], v[4:5], v[8:9], -v[12:13]
	v_fma_f64 v[14:15], v[6:7], v[8:9], v[14:15]
	v_add_f64 v[16:17], v[0:1], v[12:13]
	v_add_f64 v[18:19], v[14:15], v[41:42]
	ds_read_b128 v[12:15], v25 offset:1792
	s_waitcnt lgkmcnt(0)
	v_mul_f64 v[0:1], v[6:7], v[14:15]
	v_fma_f64 v[0:1], v[4:5], v[12:13], -v[0:1]
	v_mul_f64 v[4:5], v[4:5], v[14:15]
	v_fma_f64 v[6:7], v[6:7], v[12:13], v[4:5]
	v_add_f64 v[4:5], v[43:44], v[0:1]
	v_mul_f64 v[0:1], v[53:54], v[10:11]
	v_mul_f64 v[10:11], v[51:52], v[10:11]
	v_add_f64 v[6:7], v[6:7], v[45:46]
	v_fma_f64 v[0:1], v[51:52], v[8:9], -v[0:1]
	v_fma_f64 v[8:9], v[53:54], v[8:9], v[10:11]
	v_mul_f64 v[10:11], v[51:52], v[14:15]
	v_add_f64 v[0:1], v[20:21], v[0:1]
	v_add_f64 v[41:42], v[8:9], v[22:23]
	v_mul_f64 v[8:9], v[53:54], v[14:15]
	v_fma_f64 v[10:11], v[53:54], v[12:13], v[10:11]
	v_fma_f64 v[8:9], v[51:52], v[12:13], -v[8:9]
	v_add_f64 v[45:46], v[10:11], v[49:50]
	v_add_f64 v[43:44], v[26:27], v[8:9]
	ds_read_b128 v[8:11], v63 offset:64
	ds_read_b128 v[12:15], v25 offset:2048
	ds_read_b128 v[26:29], v25 offset:2304
	s_waitcnt lgkmcnt(1)
	v_mul_f64 v[20:21], v[10:11], v[14:15]
	v_mul_f64 v[22:23], v[8:9], v[14:15]
	v_fma_f64 v[20:21], v[8:9], v[12:13], -v[20:21]
	v_fma_f64 v[22:23], v[10:11], v[12:13], v[22:23]
	v_add_f64 v[20:21], v[16:17], v[20:21]
	s_waitcnt lgkmcnt(0)
	v_mul_f64 v[16:17], v[10:11], v[28:29]
	v_add_f64 v[22:23], v[22:23], v[18:19]
	v_fma_f64 v[16:17], v[8:9], v[26:27], -v[16:17]
	v_mul_f64 v[8:9], v[8:9], v[28:29]
	v_add_f64 v[53:54], v[4:5], v[16:17]
	v_fma_f64 v[8:9], v[10:11], v[26:27], v[8:9]
	v_add_f64 v[55:56], v[8:9], v[6:7]
	ds_read_b128 v[4:7], v63 offset:8256
	s_waitcnt lgkmcnt(0)
	v_mul_f64 v[8:9], v[6:7], v[14:15]
	v_mul_f64 v[10:11], v[4:5], v[14:15]
	v_fma_f64 v[8:9], v[4:5], v[12:13], -v[8:9]
	v_fma_f64 v[10:11], v[6:7], v[12:13], v[10:11]
	v_add_f64 v[16:17], v[0:1], v[8:9]
	v_mul_f64 v[0:1], v[6:7], v[28:29]
	v_add_f64 v[18:19], v[10:11], v[41:42]
	v_fma_f64 v[0:1], v[4:5], v[26:27], -v[0:1]
	v_mul_f64 v[4:5], v[4:5], v[28:29]
	v_add_f64 v[12:13], v[43:44], v[0:1]
	v_fma_f64 v[4:5], v[6:7], v[26:27], v[4:5]
	ds_read_b128 v[26:29], v63 offset:80
	ds_read_b128 v[8:11], v25 offset:2560
	s_waitcnt lgkmcnt(0)
	v_mul_f64 v[0:1], v[28:29], v[10:11]
	v_add_f64 v[14:15], v[4:5], v[45:46]
	v_mul_f64 v[4:5], v[26:27], v[10:11]
	v_fma_f64 v[0:1], v[26:27], v[8:9], -v[0:1]
	v_fma_f64 v[4:5], v[28:29], v[8:9], v[4:5]
	v_add_f64 v[49:50], v[20:21], v[0:1]
	v_add_f64 v[51:52], v[4:5], v[22:23]
	ds_read_b128 v[4:7], v25 offset:2816
	s_waitcnt lgkmcnt(0)
	v_mul_f64 v[0:1], v[28:29], v[6:7]
	v_mul_f64 v[20:21], v[26:27], v[6:7]
	v_fma_f64 v[0:1], v[26:27], v[4:5], -v[0:1]
	v_fma_f64 v[22:23], v[28:29], v[4:5], v[20:21]
	ds_read_b128 v[26:29], v63 offset:8272
	v_add_f64 v[20:21], v[53:54], v[0:1]
	s_waitcnt lgkmcnt(0)
	v_mul_f64 v[0:1], v[28:29], v[10:11]
	v_mul_f64 v[10:11], v[26:27], v[10:11]
	v_add_f64 v[22:23], v[22:23], v[55:56]
	v_fma_f64 v[0:1], v[26:27], v[8:9], -v[0:1]
	v_fma_f64 v[8:9], v[28:29], v[8:9], v[10:11]
	v_add_f64 v[0:1], v[16:17], v[0:1]
	v_add_f64 v[41:42], v[8:9], v[18:19]
	v_mul_f64 v[8:9], v[28:29], v[6:7]
	v_mul_f64 v[6:7], v[26:27], v[6:7]
	v_fma_f64 v[8:9], v[26:27], v[4:5], -v[8:9]
	v_fma_f64 v[4:5], v[28:29], v[4:5], v[6:7]
	v_add_f64 v[26:27], v[12:13], v[8:9]
	v_add_f64 v[28:29], v[4:5], v[14:15]
	ds_read_b128 v[8:11], v63 offset:96
	ds_read_b128 v[12:15], v25 offset:3072
	ds_read_b128 v[16:19], v25 offset:3328
	s_waitcnt lgkmcnt(1)
	v_mul_f64 v[4:5], v[10:11], v[14:15]
	s_waitcnt lgkmcnt(0)
	v_mul_f64 v[43:44], v[10:11], v[18:19]
	v_mul_f64 v[6:7], v[8:9], v[14:15]
	v_fma_f64 v[4:5], v[8:9], v[12:13], -v[4:5]
	v_fma_f64 v[43:44], v[8:9], v[16:17], -v[43:44]
	v_mul_f64 v[8:9], v[8:9], v[18:19]
	v_fma_f64 v[6:7], v[10:11], v[12:13], v[6:7]
	v_add_f64 v[4:5], v[49:50], v[4:5]
	v_add_f64 v[43:44], v[20:21], v[43:44]
	v_fma_f64 v[8:9], v[10:11], v[16:17], v[8:9]
	v_add_f64 v[6:7], v[6:7], v[51:52]
	v_add_f64 v[45:46], v[8:9], v[22:23]
	ds_read_b128 v[8:11], v63 offset:8288
	s_waitcnt lgkmcnt(0)
	v_mul_f64 v[20:21], v[10:11], v[14:15]
	v_mul_f64 v[14:15], v[8:9], v[14:15]
	v_fma_f64 v[20:21], v[8:9], v[12:13], -v[20:21]
	v_fma_f64 v[12:13], v[10:11], v[12:13], v[14:15]
	v_add_f64 v[20:21], v[0:1], v[20:21]
	v_mul_f64 v[0:1], v[10:11], v[18:19]
	v_add_f64 v[22:23], v[12:13], v[41:42]
	v_fma_f64 v[0:1], v[8:9], v[16:17], -v[0:1]
	v_mul_f64 v[8:9], v[8:9], v[18:19]
	v_fma_f64 v[8:9], v[10:11], v[16:17], v[8:9]
	v_add_f64 v[16:17], v[26:27], v[0:1]
	v_add_f64 v[18:19], v[8:9], v[28:29]
	ds_read_b128 v[12:15], v63 offset:112
	ds_read_b128 v[8:11], v25 offset:3584
	s_waitcnt lgkmcnt(0)
	v_mul_f64 v[0:1], v[14:15], v[10:11]
	v_mul_f64 v[26:27], v[12:13], v[10:11]
	v_fma_f64 v[0:1], v[12:13], v[8:9], -v[0:1]
	v_fma_f64 v[26:27], v[14:15], v[8:9], v[26:27]
	v_add_f64 v[53:54], v[4:5], v[0:1]
	v_add_f64 v[55:56], v[26:27], v[6:7]
	ds_read_b128 v[4:7], v25 offset:3840
	s_waitcnt lgkmcnt(0)
	v_mul_f64 v[0:1], v[14:15], v[6:7]
	v_fma_f64 v[0:1], v[12:13], v[4:5], -v[0:1]
	v_mul_f64 v[12:13], v[12:13], v[6:7]
	v_add_f64 v[49:50], v[43:44], v[0:1]
	v_fma_f64 v[12:13], v[14:15], v[4:5], v[12:13]
	v_add_f64 v[51:52], v[12:13], v[45:46]
	ds_read_b128 v[12:15], v63 offset:8304
	s_waitcnt lgkmcnt(0)
	v_mul_f64 v[0:1], v[14:15], v[10:11]
	v_mul_f64 v[10:11], v[12:13], v[10:11]
	v_fma_f64 v[0:1], v[12:13], v[8:9], -v[0:1]
	v_fma_f64 v[8:9], v[14:15], v[8:9], v[10:11]
	v_add_f64 v[0:1], v[20:21], v[0:1]
	v_add_f64 v[22:23], v[8:9], v[22:23]
	v_mul_f64 v[8:9], v[14:15], v[6:7]
	v_mul_f64 v[6:7], v[12:13], v[6:7]
	v_fma_f64 v[8:9], v[12:13], v[4:5], -v[8:9]
	v_fma_f64 v[4:5], v[14:15], v[4:5], v[6:7]
	v_add_f64 v[26:27], v[16:17], v[8:9]
	v_add_f64 v[28:29], v[4:5], v[18:19]
	ds_read_b128 v[8:11], v63 offset:128
	ds_read_b128 v[12:15], v25 offset:4096
	ds_read_b128 v[16:19], v25 offset:4352
	s_waitcnt lgkmcnt(1)
	v_mul_f64 v[4:5], v[10:11], v[14:15]
	s_waitcnt lgkmcnt(0)
	v_mul_f64 v[20:21], v[10:11], v[18:19]
	v_mul_f64 v[6:7], v[8:9], v[14:15]
	v_fma_f64 v[4:5], v[8:9], v[12:13], -v[4:5]
	v_fma_f64 v[20:21], v[8:9], v[16:17], -v[20:21]
	v_mul_f64 v[8:9], v[8:9], v[18:19]
	v_fma_f64 v[6:7], v[10:11], v[12:13], v[6:7]
	v_add_f64 v[4:5], v[53:54], v[4:5]
	v_add_f64 v[41:42], v[49:50], v[20:21]
	v_fma_f64 v[8:9], v[10:11], v[16:17], v[8:9]
	v_add_f64 v[6:7], v[6:7], v[55:56]
	v_add_f64 v[43:44], v[8:9], v[51:52]
	ds_read_b128 v[8:11], v63 offset:8320
	s_waitcnt lgkmcnt(0)
	v_mul_f64 v[20:21], v[10:11], v[14:15]
	v_mul_f64 v[14:15], v[8:9], v[14:15]
	v_fma_f64 v[20:21], v[8:9], v[12:13], -v[20:21]
	v_fma_f64 v[12:13], v[10:11], v[12:13], v[14:15]
	v_add_f64 v[20:21], v[0:1], v[20:21]
	v_mul_f64 v[0:1], v[10:11], v[18:19]
	v_add_f64 v[22:23], v[12:13], v[22:23]
	v_fma_f64 v[0:1], v[8:9], v[16:17], -v[0:1]
	v_mul_f64 v[8:9], v[8:9], v[18:19]
	v_fma_f64 v[8:9], v[10:11], v[16:17], v[8:9]
	v_add_f64 v[16:17], v[26:27], v[0:1]
	v_add_f64 v[18:19], v[8:9], v[28:29]
	ds_read_b128 v[12:15], v63 offset:144
	ds_read_b128 v[8:11], v25 offset:4608
	s_waitcnt lgkmcnt(0)
	v_mul_f64 v[0:1], v[14:15], v[10:11]
	v_mul_f64 v[26:27], v[12:13], v[10:11]
	v_fma_f64 v[0:1], v[12:13], v[8:9], -v[0:1]
	v_fma_f64 v[26:27], v[14:15], v[8:9], v[26:27]
	v_add_f64 v[53:54], v[4:5], v[0:1]
	v_add_f64 v[55:56], v[26:27], v[6:7]
	ds_read_b128 v[4:7], v25 offset:4864
	s_waitcnt lgkmcnt(0)
	v_mul_f64 v[0:1], v[14:15], v[6:7]
	v_fma_f64 v[0:1], v[12:13], v[4:5], -v[0:1]
	v_mul_f64 v[12:13], v[12:13], v[6:7]
	v_add_f64 v[49:50], v[41:42], v[0:1]
	v_fma_f64 v[12:13], v[14:15], v[4:5], v[12:13]
	v_add_f64 v[51:52], v[12:13], v[43:44]
	ds_read_b128 v[12:15], v63 offset:8336
	s_waitcnt lgkmcnt(0)
	v_mul_f64 v[0:1], v[14:15], v[10:11]
	v_mul_f64 v[10:11], v[12:13], v[10:11]
	;; [unrolled: 62-line block ×3, first 2 shown]
	v_fma_f64 v[0:1], v[12:13], v[8:9], -v[0:1]
	v_fma_f64 v[8:9], v[14:15], v[8:9], v[10:11]
	v_add_f64 v[0:1], v[20:21], v[0:1]
	v_add_f64 v[20:21], v[8:9], v[22:23]
	v_mul_f64 v[8:9], v[14:15], v[6:7]
	v_mul_f64 v[6:7], v[12:13], v[6:7]
	v_fma_f64 v[8:9], v[12:13], v[4:5], -v[8:9]
	v_fma_f64 v[4:5], v[14:15], v[4:5], v[6:7]
	v_add_f64 v[22:23], v[16:17], v[8:9]
	v_add_f64 v[28:29], v[4:5], v[18:19]
	ds_read_b128 v[4:7], v63 offset:192
	ds_read_b128 v[12:15], v25 offset:6144
	;; [unrolled: 1-line block ×3, first 2 shown]
	s_waitcnt lgkmcnt(1)
	v_mul_f64 v[8:9], v[6:7], v[14:15]
	v_mul_f64 v[10:11], v[4:5], v[14:15]
	v_fma_f64 v[8:9], v[4:5], v[12:13], -v[8:9]
	v_fma_f64 v[10:11], v[6:7], v[12:13], v[10:11]
	v_add_f64 v[8:9], v[26:27], v[8:9]
	s_waitcnt lgkmcnt(0)
	v_mul_f64 v[26:27], v[6:7], v[18:19]
	v_add_f64 v[10:11], v[10:11], v[53:54]
	v_fma_f64 v[26:27], v[4:5], v[16:17], -v[26:27]
	v_mul_f64 v[4:5], v[4:5], v[18:19]
	v_add_f64 v[26:27], v[49:50], v[26:27]
	v_fma_f64 v[4:5], v[6:7], v[16:17], v[4:5]
	v_add_f64 v[41:42], v[4:5], v[51:52]
	ds_read_b128 v[4:7], v63 offset:8384
	s_waitcnt lgkmcnt(0)
	v_mul_f64 v[43:44], v[6:7], v[14:15]
	v_mul_f64 v[14:15], v[4:5], v[14:15]
	v_fma_f64 v[43:44], v[4:5], v[12:13], -v[43:44]
	v_fma_f64 v[14:15], v[6:7], v[12:13], v[14:15]
	v_add_f64 v[12:13], v[0:1], v[43:44]
	v_mul_f64 v[0:1], v[6:7], v[18:19]
	v_add_f64 v[14:15], v[14:15], v[20:21]
	v_fma_f64 v[0:1], v[4:5], v[16:17], -v[0:1]
	v_mul_f64 v[4:5], v[4:5], v[18:19]
	v_fma_f64 v[4:5], v[6:7], v[16:17], v[4:5]
	v_add_f64 v[16:17], v[22:23], v[0:1]
	v_add_f64 v[18:19], v[4:5], v[28:29]
	ds_read_b128 v[20:23], v63 offset:208
	ds_read_b128 v[4:7], v25 offset:6656
	s_waitcnt lgkmcnt(0)
	v_mul_f64 v[0:1], v[22:23], v[6:7]
	v_mul_f64 v[28:29], v[20:21], v[6:7]
	v_fma_f64 v[0:1], v[20:21], v[4:5], -v[0:1]
	v_fma_f64 v[28:29], v[22:23], v[4:5], v[28:29]
	v_add_f64 v[49:50], v[8:9], v[0:1]
	v_add_f64 v[51:52], v[28:29], v[10:11]
	ds_read_b128 v[8:11], v25 offset:6912
	s_waitcnt lgkmcnt(0)
	v_mul_f64 v[0:1], v[22:23], v[10:11]
	v_fma_f64 v[0:1], v[20:21], v[8:9], -v[0:1]
	v_mul_f64 v[20:21], v[20:21], v[10:11]
	v_fma_f64 v[22:23], v[22:23], v[8:9], v[20:21]
	v_add_f64 v[20:21], v[26:27], v[0:1]
	ds_read_b128 v[26:29], v63 offset:8400
	s_waitcnt lgkmcnt(0)
	v_mul_f64 v[0:1], v[28:29], v[6:7]
	v_mul_f64 v[6:7], v[26:27], v[6:7]
	v_add_f64 v[22:23], v[22:23], v[41:42]
	v_fma_f64 v[0:1], v[26:27], v[4:5], -v[0:1]
	v_fma_f64 v[4:5], v[28:29], v[4:5], v[6:7]
	v_mul_f64 v[6:7], v[26:27], v[10:11]
	v_add_f64 v[0:1], v[12:13], v[0:1]
	v_add_f64 v[41:42], v[4:5], v[14:15]
	v_mul_f64 v[4:5], v[28:29], v[10:11]
	v_fma_f64 v[6:7], v[28:29], v[8:9], v[6:7]
	v_fma_f64 v[4:5], v[26:27], v[8:9], -v[4:5]
	ds_read_b128 v[8:11], v63 offset:224
	ds_read_b128 v[12:15], v25 offset:7168
	;; [unrolled: 1-line block ×3, first 2 shown]
	v_add_f64 v[45:46], v[6:7], v[18:19]
	s_waitcnt lgkmcnt(1)
	v_mul_f64 v[6:7], v[8:9], v[14:15]
	v_add_f64 v[43:44], v[16:17], v[4:5]
	v_mul_f64 v[4:5], v[10:11], v[14:15]
	s_waitcnt lgkmcnt(0)
	v_mul_f64 v[16:17], v[10:11], v[28:29]
	v_fma_f64 v[6:7], v[10:11], v[12:13], v[6:7]
	v_fma_f64 v[4:5], v[8:9], v[12:13], -v[4:5]
	v_fma_f64 v[16:17], v[8:9], v[26:27], -v[16:17]
	v_mul_f64 v[8:9], v[8:9], v[28:29]
	v_add_f64 v[6:7], v[6:7], v[51:52]
	v_add_f64 v[4:5], v[49:50], v[4:5]
	;; [unrolled: 1-line block ×3, first 2 shown]
	v_fma_f64 v[8:9], v[10:11], v[26:27], v[8:9]
	v_add_f64 v[55:56], v[8:9], v[22:23]
	ds_read_b128 v[8:11], v63 offset:8416
	s_waitcnt lgkmcnt(0)
	v_mul_f64 v[16:17], v[10:11], v[14:15]
	v_mul_f64 v[14:15], v[8:9], v[14:15]
	v_fma_f64 v[16:17], v[8:9], v[12:13], -v[16:17]
	v_fma_f64 v[12:13], v[10:11], v[12:13], v[14:15]
	v_add_f64 v[16:17], v[0:1], v[16:17]
	v_mul_f64 v[0:1], v[10:11], v[28:29]
	v_add_f64 v[18:19], v[12:13], v[41:42]
	v_fma_f64 v[0:1], v[8:9], v[26:27], -v[0:1]
	v_mul_f64 v[8:9], v[8:9], v[28:29]
	v_add_f64 v[12:13], v[43:44], v[0:1]
	v_fma_f64 v[8:9], v[10:11], v[26:27], v[8:9]
	v_add_f64 v[14:15], v[8:9], v[45:46]
	ds_read_b128 v[20:23], v63 offset:240
	ds_read_b128 v[8:11], v25 offset:7680
	s_waitcnt lgkmcnt(0)
	v_mul_f64 v[0:1], v[22:23], v[10:11]
	v_mul_f64 v[26:27], v[20:21], v[10:11]
	v_fma_f64 v[0:1], v[20:21], v[8:9], -v[0:1]
	v_fma_f64 v[26:27], v[22:23], v[8:9], v[26:27]
	v_add_f64 v[49:50], v[4:5], v[0:1]
	v_add_f64 v[51:52], v[26:27], v[6:7]
	ds_read_b128 v[4:7], v25 offset:7936
	ds_read_b128 v[26:29], v63 offset:8432
	s_waitcnt lgkmcnt(1)
	v_mul_f64 v[0:1], v[22:23], v[6:7]
	v_fma_f64 v[0:1], v[20:21], v[4:5], -v[0:1]
	v_mul_f64 v[20:21], v[20:21], v[6:7]
	v_fma_f64 v[22:23], v[22:23], v[4:5], v[20:21]
	v_add_f64 v[20:21], v[53:54], v[0:1]
	s_waitcnt lgkmcnt(0)
	v_mul_f64 v[0:1], v[28:29], v[10:11]
	v_mul_f64 v[10:11], v[26:27], v[10:11]
	v_add_f64 v[22:23], v[22:23], v[55:56]
	v_fma_f64 v[0:1], v[26:27], v[8:9], -v[0:1]
	v_fma_f64 v[8:9], v[28:29], v[8:9], v[10:11]
	v_add_f64 v[0:1], v[16:17], v[0:1]
	v_add_f64 v[41:42], v[8:9], v[18:19]
	v_mul_f64 v[8:9], v[28:29], v[6:7]
	v_mul_f64 v[6:7], v[26:27], v[6:7]
	v_fma_f64 v[8:9], v[26:27], v[4:5], -v[8:9]
	v_fma_f64 v[4:5], v[28:29], v[4:5], v[6:7]
	v_add_f64 v[26:27], v[12:13], v[8:9]
	v_add_f64 v[28:29], v[4:5], v[14:15]
	ds_read_b128 v[8:11], v63 offset:256
	ds_read_b128 v[12:15], v25 offset:8192
	ds_read_b128 v[16:19], v25 offset:8448
	s_waitcnt lgkmcnt(1)
	v_mul_f64 v[4:5], v[10:11], v[14:15]
	s_waitcnt lgkmcnt(0)
	v_mul_f64 v[43:44], v[10:11], v[18:19]
	v_mul_f64 v[6:7], v[8:9], v[14:15]
	v_fma_f64 v[4:5], v[8:9], v[12:13], -v[4:5]
	v_fma_f64 v[43:44], v[8:9], v[16:17], -v[43:44]
	v_mul_f64 v[8:9], v[8:9], v[18:19]
	v_fma_f64 v[6:7], v[10:11], v[12:13], v[6:7]
	v_add_f64 v[4:5], v[49:50], v[4:5]
	v_add_f64 v[43:44], v[20:21], v[43:44]
	v_fma_f64 v[8:9], v[10:11], v[16:17], v[8:9]
	v_add_f64 v[6:7], v[6:7], v[51:52]
	v_add_f64 v[45:46], v[8:9], v[22:23]
	ds_read_b128 v[8:11], v63 offset:8448
	s_waitcnt lgkmcnt(0)
	v_mul_f64 v[20:21], v[10:11], v[14:15]
	v_mul_f64 v[14:15], v[8:9], v[14:15]
	v_fma_f64 v[20:21], v[8:9], v[12:13], -v[20:21]
	v_fma_f64 v[12:13], v[10:11], v[12:13], v[14:15]
	v_add_f64 v[20:21], v[0:1], v[20:21]
	v_mul_f64 v[0:1], v[10:11], v[18:19]
	v_add_f64 v[22:23], v[12:13], v[41:42]
	v_fma_f64 v[0:1], v[8:9], v[16:17], -v[0:1]
	v_mul_f64 v[8:9], v[8:9], v[18:19]
	v_fma_f64 v[8:9], v[10:11], v[16:17], v[8:9]
	v_add_f64 v[16:17], v[26:27], v[0:1]
	v_add_f64 v[18:19], v[8:9], v[28:29]
	ds_read_b128 v[12:15], v63 offset:272
	ds_read_b128 v[8:11], v25 offset:8704
	s_waitcnt lgkmcnt(0)
	v_mul_f64 v[0:1], v[14:15], v[10:11]
	v_mul_f64 v[26:27], v[12:13], v[10:11]
	v_fma_f64 v[0:1], v[12:13], v[8:9], -v[0:1]
	v_fma_f64 v[26:27], v[14:15], v[8:9], v[26:27]
	v_add_f64 v[53:54], v[4:5], v[0:1]
	v_add_f64 v[55:56], v[26:27], v[6:7]
	ds_read_b128 v[4:7], v25 offset:8960
	s_waitcnt lgkmcnt(0)
	v_mul_f64 v[0:1], v[14:15], v[6:7]
	v_fma_f64 v[0:1], v[12:13], v[4:5], -v[0:1]
	v_mul_f64 v[12:13], v[12:13], v[6:7]
	v_add_f64 v[49:50], v[43:44], v[0:1]
	v_fma_f64 v[12:13], v[14:15], v[4:5], v[12:13]
	v_add_f64 v[51:52], v[12:13], v[45:46]
	ds_read_b128 v[12:15], v63 offset:8464
	s_waitcnt lgkmcnt(0)
	v_mul_f64 v[0:1], v[14:15], v[10:11]
	v_mul_f64 v[10:11], v[12:13], v[10:11]
	v_fma_f64 v[0:1], v[12:13], v[8:9], -v[0:1]
	v_fma_f64 v[8:9], v[14:15], v[8:9], v[10:11]
	v_add_f64 v[0:1], v[20:21], v[0:1]
	v_add_f64 v[22:23], v[8:9], v[22:23]
	v_mul_f64 v[8:9], v[14:15], v[6:7]
	v_mul_f64 v[6:7], v[12:13], v[6:7]
	v_fma_f64 v[8:9], v[12:13], v[4:5], -v[8:9]
	v_fma_f64 v[4:5], v[14:15], v[4:5], v[6:7]
	v_add_f64 v[26:27], v[16:17], v[8:9]
	v_add_f64 v[28:29], v[4:5], v[18:19]
	ds_read_b128 v[8:11], v63 offset:288
	ds_read_b128 v[12:15], v25 offset:9216
	ds_read_b128 v[16:19], v25 offset:9472
	s_waitcnt lgkmcnt(1)
	v_mul_f64 v[4:5], v[10:11], v[14:15]
	s_waitcnt lgkmcnt(0)
	v_mul_f64 v[20:21], v[10:11], v[18:19]
	v_mul_f64 v[6:7], v[8:9], v[14:15]
	v_fma_f64 v[4:5], v[8:9], v[12:13], -v[4:5]
	v_fma_f64 v[20:21], v[8:9], v[16:17], -v[20:21]
	v_mul_f64 v[8:9], v[8:9], v[18:19]
	v_fma_f64 v[6:7], v[10:11], v[12:13], v[6:7]
	v_add_f64 v[4:5], v[53:54], v[4:5]
	v_add_f64 v[41:42], v[49:50], v[20:21]
	v_fma_f64 v[8:9], v[10:11], v[16:17], v[8:9]
	v_add_f64 v[6:7], v[6:7], v[55:56]
	v_add_f64 v[43:44], v[8:9], v[51:52]
	ds_read_b128 v[8:11], v63 offset:8480
	s_waitcnt lgkmcnt(0)
	v_mul_f64 v[20:21], v[10:11], v[14:15]
	v_mul_f64 v[14:15], v[8:9], v[14:15]
	v_fma_f64 v[20:21], v[8:9], v[12:13], -v[20:21]
	v_fma_f64 v[12:13], v[10:11], v[12:13], v[14:15]
	v_add_f64 v[20:21], v[0:1], v[20:21]
	v_mul_f64 v[0:1], v[10:11], v[18:19]
	v_add_f64 v[22:23], v[12:13], v[22:23]
	v_fma_f64 v[0:1], v[8:9], v[16:17], -v[0:1]
	v_mul_f64 v[8:9], v[8:9], v[18:19]
	v_fma_f64 v[8:9], v[10:11], v[16:17], v[8:9]
	v_add_f64 v[16:17], v[26:27], v[0:1]
	v_add_f64 v[18:19], v[8:9], v[28:29]
	ds_read_b128 v[12:15], v63 offset:304
	ds_read_b128 v[8:11], v25 offset:9728
	s_waitcnt lgkmcnt(0)
	v_mul_f64 v[0:1], v[14:15], v[10:11]
	v_mul_f64 v[26:27], v[12:13], v[10:11]
	v_fma_f64 v[0:1], v[12:13], v[8:9], -v[0:1]
	v_fma_f64 v[26:27], v[14:15], v[8:9], v[26:27]
	v_add_f64 v[53:54], v[4:5], v[0:1]
	v_add_f64 v[55:56], v[26:27], v[6:7]
	ds_read_b128 v[4:7], v25 offset:9984
	s_waitcnt lgkmcnt(0)
	v_mul_f64 v[0:1], v[14:15], v[6:7]
	v_fma_f64 v[0:1], v[12:13], v[4:5], -v[0:1]
	v_mul_f64 v[12:13], v[12:13], v[6:7]
	v_add_f64 v[49:50], v[41:42], v[0:1]
	v_fma_f64 v[12:13], v[14:15], v[4:5], v[12:13]
	v_add_f64 v[51:52], v[12:13], v[43:44]
	ds_read_b128 v[12:15], v63 offset:8496
	s_waitcnt lgkmcnt(0)
	v_mul_f64 v[0:1], v[14:15], v[10:11]
	v_mul_f64 v[10:11], v[12:13], v[10:11]
	;; [unrolled: 62-line block ×3, first 2 shown]
	v_fma_f64 v[0:1], v[12:13], v[8:9], -v[0:1]
	v_fma_f64 v[8:9], v[14:15], v[8:9], v[10:11]
	v_add_f64 v[0:1], v[20:21], v[0:1]
	v_add_f64 v[20:21], v[8:9], v[22:23]
	v_mul_f64 v[8:9], v[14:15], v[6:7]
	v_mul_f64 v[6:7], v[12:13], v[6:7]
	v_fma_f64 v[8:9], v[12:13], v[4:5], -v[8:9]
	v_fma_f64 v[4:5], v[14:15], v[4:5], v[6:7]
	v_add_f64 v[22:23], v[16:17], v[8:9]
	v_add_f64 v[28:29], v[4:5], v[18:19]
	ds_read_b128 v[4:7], v63 offset:352
	ds_read_b128 v[12:15], v25 offset:11264
	;; [unrolled: 1-line block ×3, first 2 shown]
	s_waitcnt lgkmcnt(1)
	v_mul_f64 v[8:9], v[6:7], v[14:15]
	v_mul_f64 v[10:11], v[4:5], v[14:15]
	v_fma_f64 v[8:9], v[4:5], v[12:13], -v[8:9]
	v_fma_f64 v[10:11], v[6:7], v[12:13], v[10:11]
	v_add_f64 v[8:9], v[26:27], v[8:9]
	s_waitcnt lgkmcnt(0)
	v_mul_f64 v[26:27], v[6:7], v[18:19]
	v_add_f64 v[10:11], v[10:11], v[53:54]
	v_fma_f64 v[26:27], v[4:5], v[16:17], -v[26:27]
	v_mul_f64 v[4:5], v[4:5], v[18:19]
	v_add_f64 v[26:27], v[49:50], v[26:27]
	v_fma_f64 v[4:5], v[6:7], v[16:17], v[4:5]
	v_add_f64 v[41:42], v[4:5], v[51:52]
	ds_read_b128 v[4:7], v63 offset:8544
	s_waitcnt lgkmcnt(0)
	v_mul_f64 v[43:44], v[6:7], v[14:15]
	v_mul_f64 v[14:15], v[4:5], v[14:15]
	v_fma_f64 v[43:44], v[4:5], v[12:13], -v[43:44]
	v_fma_f64 v[14:15], v[6:7], v[12:13], v[14:15]
	v_add_f64 v[12:13], v[0:1], v[43:44]
	v_mul_f64 v[0:1], v[6:7], v[18:19]
	v_add_f64 v[14:15], v[14:15], v[20:21]
	v_fma_f64 v[0:1], v[4:5], v[16:17], -v[0:1]
	v_mul_f64 v[4:5], v[4:5], v[18:19]
	v_fma_f64 v[4:5], v[6:7], v[16:17], v[4:5]
	v_add_f64 v[16:17], v[22:23], v[0:1]
	v_add_f64 v[18:19], v[4:5], v[28:29]
	ds_read_b128 v[20:23], v63 offset:368
	ds_read_b128 v[4:7], v25 offset:11776
	s_waitcnt lgkmcnt(0)
	v_mul_f64 v[0:1], v[22:23], v[6:7]
	v_mul_f64 v[28:29], v[20:21], v[6:7]
	v_fma_f64 v[0:1], v[20:21], v[4:5], -v[0:1]
	v_fma_f64 v[28:29], v[22:23], v[4:5], v[28:29]
	v_add_f64 v[49:50], v[8:9], v[0:1]
	v_add_f64 v[51:52], v[28:29], v[10:11]
	ds_read_b128 v[8:11], v25 offset:12032
	s_waitcnt lgkmcnt(0)
	v_mul_f64 v[0:1], v[22:23], v[10:11]
	v_fma_f64 v[0:1], v[20:21], v[8:9], -v[0:1]
	v_mul_f64 v[20:21], v[20:21], v[10:11]
	v_fma_f64 v[22:23], v[22:23], v[8:9], v[20:21]
	v_add_f64 v[20:21], v[26:27], v[0:1]
	ds_read_b128 v[26:29], v63 offset:8560
	s_waitcnt lgkmcnt(0)
	v_mul_f64 v[0:1], v[28:29], v[6:7]
	v_mul_f64 v[6:7], v[26:27], v[6:7]
	v_add_f64 v[22:23], v[22:23], v[41:42]
	v_fma_f64 v[0:1], v[26:27], v[4:5], -v[0:1]
	v_fma_f64 v[4:5], v[28:29], v[4:5], v[6:7]
	v_mul_f64 v[6:7], v[26:27], v[10:11]
	v_add_f64 v[0:1], v[12:13], v[0:1]
	v_add_f64 v[41:42], v[4:5], v[14:15]
	v_mul_f64 v[4:5], v[28:29], v[10:11]
	v_fma_f64 v[6:7], v[28:29], v[8:9], v[6:7]
	v_fma_f64 v[4:5], v[26:27], v[8:9], -v[4:5]
	ds_read_b128 v[8:11], v63 offset:384
	ds_read_b128 v[12:15], v25 offset:12288
	;; [unrolled: 1-line block ×3, first 2 shown]
	v_add_f64 v[45:46], v[6:7], v[18:19]
	s_waitcnt lgkmcnt(1)
	v_mul_f64 v[6:7], v[8:9], v[14:15]
	v_add_f64 v[43:44], v[16:17], v[4:5]
	v_mul_f64 v[4:5], v[10:11], v[14:15]
	s_waitcnt lgkmcnt(0)
	v_mul_f64 v[16:17], v[10:11], v[28:29]
	v_fma_f64 v[6:7], v[10:11], v[12:13], v[6:7]
	v_fma_f64 v[4:5], v[8:9], v[12:13], -v[4:5]
	v_fma_f64 v[16:17], v[8:9], v[26:27], -v[16:17]
	v_mul_f64 v[8:9], v[8:9], v[28:29]
	v_add_f64 v[6:7], v[6:7], v[51:52]
	v_add_f64 v[4:5], v[49:50], v[4:5]
	;; [unrolled: 1-line block ×3, first 2 shown]
	v_fma_f64 v[8:9], v[10:11], v[26:27], v[8:9]
	v_add_f64 v[55:56], v[8:9], v[22:23]
	ds_read_b128 v[8:11], v63 offset:8576
	s_waitcnt lgkmcnt(0)
	v_mul_f64 v[16:17], v[10:11], v[14:15]
	v_mul_f64 v[14:15], v[8:9], v[14:15]
	v_fma_f64 v[16:17], v[8:9], v[12:13], -v[16:17]
	v_fma_f64 v[12:13], v[10:11], v[12:13], v[14:15]
	v_add_f64 v[16:17], v[0:1], v[16:17]
	v_mul_f64 v[0:1], v[10:11], v[28:29]
	v_add_f64 v[18:19], v[12:13], v[41:42]
	v_fma_f64 v[0:1], v[8:9], v[26:27], -v[0:1]
	v_mul_f64 v[8:9], v[8:9], v[28:29]
	v_add_f64 v[12:13], v[43:44], v[0:1]
	v_fma_f64 v[8:9], v[10:11], v[26:27], v[8:9]
	v_add_f64 v[14:15], v[8:9], v[45:46]
	ds_read_b128 v[20:23], v63 offset:400
	ds_read_b128 v[8:11], v25 offset:12800
	s_waitcnt lgkmcnt(0)
	v_mul_f64 v[0:1], v[22:23], v[10:11]
	v_mul_f64 v[26:27], v[20:21], v[10:11]
	v_fma_f64 v[0:1], v[20:21], v[8:9], -v[0:1]
	v_fma_f64 v[26:27], v[22:23], v[8:9], v[26:27]
	v_add_f64 v[49:50], v[4:5], v[0:1]
	v_add_f64 v[51:52], v[26:27], v[6:7]
	ds_read_b128 v[4:7], v25 offset:13056
	ds_read_b128 v[26:29], v63 offset:8592
	s_waitcnt lgkmcnt(1)
	v_mul_f64 v[0:1], v[22:23], v[6:7]
	v_fma_f64 v[0:1], v[20:21], v[4:5], -v[0:1]
	v_mul_f64 v[20:21], v[20:21], v[6:7]
	v_fma_f64 v[22:23], v[22:23], v[4:5], v[20:21]
	v_add_f64 v[20:21], v[53:54], v[0:1]
	s_waitcnt lgkmcnt(0)
	v_mul_f64 v[0:1], v[28:29], v[10:11]
	v_mul_f64 v[10:11], v[26:27], v[10:11]
	v_add_f64 v[22:23], v[22:23], v[55:56]
	v_fma_f64 v[0:1], v[26:27], v[8:9], -v[0:1]
	v_fma_f64 v[8:9], v[28:29], v[8:9], v[10:11]
	v_add_f64 v[0:1], v[16:17], v[0:1]
	v_add_f64 v[41:42], v[8:9], v[18:19]
	v_mul_f64 v[8:9], v[28:29], v[6:7]
	v_mul_f64 v[6:7], v[26:27], v[6:7]
	v_fma_f64 v[8:9], v[26:27], v[4:5], -v[8:9]
	v_fma_f64 v[4:5], v[28:29], v[4:5], v[6:7]
	v_add_f64 v[26:27], v[12:13], v[8:9]
	v_add_f64 v[28:29], v[4:5], v[14:15]
	ds_read_b128 v[8:11], v63 offset:416
	ds_read_b128 v[12:15], v25 offset:13312
	;; [unrolled: 1-line block ×3, first 2 shown]
	s_waitcnt lgkmcnt(1)
	v_mul_f64 v[4:5], v[10:11], v[14:15]
	s_waitcnt lgkmcnt(0)
	v_mul_f64 v[43:44], v[10:11], v[18:19]
	v_mul_f64 v[6:7], v[8:9], v[14:15]
	v_fma_f64 v[4:5], v[8:9], v[12:13], -v[4:5]
	v_fma_f64 v[43:44], v[8:9], v[16:17], -v[43:44]
	v_mul_f64 v[8:9], v[8:9], v[18:19]
	v_fma_f64 v[6:7], v[10:11], v[12:13], v[6:7]
	v_add_f64 v[4:5], v[49:50], v[4:5]
	v_add_f64 v[43:44], v[20:21], v[43:44]
	v_fma_f64 v[8:9], v[10:11], v[16:17], v[8:9]
	v_add_f64 v[6:7], v[6:7], v[51:52]
	v_add_f64 v[45:46], v[8:9], v[22:23]
	ds_read_b128 v[8:11], v63 offset:8608
	s_waitcnt lgkmcnt(0)
	v_mul_f64 v[20:21], v[10:11], v[14:15]
	v_mul_f64 v[14:15], v[8:9], v[14:15]
	v_fma_f64 v[20:21], v[8:9], v[12:13], -v[20:21]
	v_fma_f64 v[12:13], v[10:11], v[12:13], v[14:15]
	v_add_f64 v[20:21], v[0:1], v[20:21]
	v_mul_f64 v[0:1], v[10:11], v[18:19]
	v_add_f64 v[22:23], v[12:13], v[41:42]
	v_fma_f64 v[0:1], v[8:9], v[16:17], -v[0:1]
	v_mul_f64 v[8:9], v[8:9], v[18:19]
	v_fma_f64 v[8:9], v[10:11], v[16:17], v[8:9]
	v_add_f64 v[16:17], v[26:27], v[0:1]
	v_add_f64 v[18:19], v[8:9], v[28:29]
	ds_read_b128 v[12:15], v63 offset:432
	ds_read_b128 v[8:11], v25 offset:13824
	s_waitcnt lgkmcnt(0)
	v_mul_f64 v[0:1], v[14:15], v[10:11]
	v_mul_f64 v[26:27], v[12:13], v[10:11]
	v_fma_f64 v[0:1], v[12:13], v[8:9], -v[0:1]
	v_fma_f64 v[26:27], v[14:15], v[8:9], v[26:27]
	v_add_f64 v[53:54], v[4:5], v[0:1]
	v_add_f64 v[55:56], v[26:27], v[6:7]
	ds_read_b128 v[4:7], v25 offset:14080
	s_waitcnt lgkmcnt(0)
	v_mul_f64 v[0:1], v[14:15], v[6:7]
	v_fma_f64 v[0:1], v[12:13], v[4:5], -v[0:1]
	v_mul_f64 v[12:13], v[12:13], v[6:7]
	v_add_f64 v[49:50], v[43:44], v[0:1]
	v_fma_f64 v[12:13], v[14:15], v[4:5], v[12:13]
	v_add_f64 v[51:52], v[12:13], v[45:46]
	ds_read_b128 v[12:15], v63 offset:8624
	s_waitcnt lgkmcnt(0)
	v_mul_f64 v[0:1], v[14:15], v[10:11]
	v_mul_f64 v[10:11], v[12:13], v[10:11]
	v_fma_f64 v[0:1], v[12:13], v[8:9], -v[0:1]
	v_fma_f64 v[8:9], v[14:15], v[8:9], v[10:11]
	v_add_f64 v[0:1], v[20:21], v[0:1]
	v_add_f64 v[22:23], v[8:9], v[22:23]
	v_mul_f64 v[8:9], v[14:15], v[6:7]
	v_mul_f64 v[6:7], v[12:13], v[6:7]
	v_fma_f64 v[8:9], v[12:13], v[4:5], -v[8:9]
	v_fma_f64 v[4:5], v[14:15], v[4:5], v[6:7]
	v_add_f64 v[26:27], v[16:17], v[8:9]
	v_add_f64 v[28:29], v[4:5], v[18:19]
	ds_read_b128 v[8:11], v63 offset:448
	ds_read_b128 v[12:15], v25 offset:14336
	;; [unrolled: 1-line block ×3, first 2 shown]
	s_waitcnt lgkmcnt(1)
	v_mul_f64 v[4:5], v[10:11], v[14:15]
	s_waitcnt lgkmcnt(0)
	v_mul_f64 v[20:21], v[10:11], v[18:19]
	v_mul_f64 v[6:7], v[8:9], v[14:15]
	v_fma_f64 v[4:5], v[8:9], v[12:13], -v[4:5]
	v_fma_f64 v[20:21], v[8:9], v[16:17], -v[20:21]
	v_mul_f64 v[8:9], v[8:9], v[18:19]
	v_fma_f64 v[6:7], v[10:11], v[12:13], v[6:7]
	v_add_f64 v[4:5], v[53:54], v[4:5]
	v_add_f64 v[41:42], v[49:50], v[20:21]
	v_fma_f64 v[8:9], v[10:11], v[16:17], v[8:9]
	v_add_f64 v[6:7], v[6:7], v[55:56]
	v_add_f64 v[43:44], v[8:9], v[51:52]
	ds_read_b128 v[8:11], v63 offset:8640
	s_waitcnt lgkmcnt(0)
	v_mul_f64 v[20:21], v[10:11], v[14:15]
	v_mul_f64 v[14:15], v[8:9], v[14:15]
	v_fma_f64 v[20:21], v[8:9], v[12:13], -v[20:21]
	v_fma_f64 v[12:13], v[10:11], v[12:13], v[14:15]
	v_add_f64 v[20:21], v[0:1], v[20:21]
	v_mul_f64 v[0:1], v[10:11], v[18:19]
	v_add_f64 v[22:23], v[12:13], v[22:23]
	v_fma_f64 v[0:1], v[8:9], v[16:17], -v[0:1]
	v_mul_f64 v[8:9], v[8:9], v[18:19]
	v_fma_f64 v[8:9], v[10:11], v[16:17], v[8:9]
	v_add_f64 v[16:17], v[26:27], v[0:1]
	v_add_f64 v[18:19], v[8:9], v[28:29]
	ds_read_b128 v[12:15], v63 offset:464
	ds_read_b128 v[8:11], v25 offset:14848
	s_waitcnt lgkmcnt(0)
	v_mul_f64 v[0:1], v[14:15], v[10:11]
	v_mul_f64 v[26:27], v[12:13], v[10:11]
	v_fma_f64 v[0:1], v[12:13], v[8:9], -v[0:1]
	v_fma_f64 v[26:27], v[14:15], v[8:9], v[26:27]
	v_add_f64 v[53:54], v[4:5], v[0:1]
	v_add_f64 v[55:56], v[26:27], v[6:7]
	ds_read_b128 v[4:7], v25 offset:15104
	s_waitcnt lgkmcnt(0)
	v_mul_f64 v[0:1], v[14:15], v[6:7]
	v_fma_f64 v[0:1], v[12:13], v[4:5], -v[0:1]
	v_mul_f64 v[12:13], v[12:13], v[6:7]
	v_add_f64 v[49:50], v[41:42], v[0:1]
	v_fma_f64 v[12:13], v[14:15], v[4:5], v[12:13]
	v_add_f64 v[51:52], v[12:13], v[43:44]
	ds_read_b128 v[12:15], v63 offset:8656
	s_waitcnt lgkmcnt(0)
	v_mul_f64 v[0:1], v[14:15], v[10:11]
	v_mul_f64 v[10:11], v[12:13], v[10:11]
	v_fma_f64 v[0:1], v[12:13], v[8:9], -v[0:1]
	v_fma_f64 v[8:9], v[14:15], v[8:9], v[10:11]
	v_add_f64 v[0:1], v[20:21], v[0:1]
	v_add_f64 v[20:21], v[8:9], v[22:23]
	v_mul_f64 v[8:9], v[14:15], v[6:7]
	v_mul_f64 v[6:7], v[12:13], v[6:7]
	v_fma_f64 v[8:9], v[12:13], v[4:5], -v[8:9]
	v_fma_f64 v[4:5], v[14:15], v[4:5], v[6:7]
	v_add_f64 v[22:23], v[16:17], v[8:9]
	v_add_f64 v[26:27], v[4:5], v[18:19]
	ds_read_b128 v[8:11], v63 offset:480
	ds_read_b128 v[12:15], v25 offset:15360
	;; [unrolled: 1-line block ×3, first 2 shown]
	s_waitcnt lgkmcnt(1)
	v_mul_f64 v[4:5], v[10:11], v[14:15]
	s_waitcnt lgkmcnt(0)
	v_mul_f64 v[28:29], v[10:11], v[18:19]
	v_mul_f64 v[6:7], v[8:9], v[14:15]
	v_fma_f64 v[4:5], v[8:9], v[12:13], -v[4:5]
	v_fma_f64 v[28:29], v[8:9], v[16:17], -v[28:29]
	v_mul_f64 v[8:9], v[8:9], v[18:19]
	v_fma_f64 v[6:7], v[10:11], v[12:13], v[6:7]
	v_add_f64 v[4:5], v[53:54], v[4:5]
	v_add_f64 v[28:29], v[49:50], v[28:29]
	v_fma_f64 v[8:9], v[10:11], v[16:17], v[8:9]
	v_add_f64 v[6:7], v[6:7], v[55:56]
	v_add_f64 v[41:42], v[8:9], v[51:52]
	ds_read_b128 v[8:11], v63 offset:8672
	s_waitcnt lgkmcnt(0)
	v_mul_f64 v[43:44], v[10:11], v[14:15]
	v_mul_f64 v[14:15], v[8:9], v[14:15]
	v_fma_f64 v[43:44], v[8:9], v[12:13], -v[43:44]
	v_fma_f64 v[12:13], v[10:11], v[12:13], v[14:15]
	v_add_f64 v[53:54], v[0:1], v[43:44]
	v_mul_f64 v[0:1], v[10:11], v[18:19]
	v_add_f64 v[55:56], v[12:13], v[20:21]
	v_fma_f64 v[0:1], v[8:9], v[16:17], -v[0:1]
	v_mul_f64 v[8:9], v[8:9], v[18:19]
	v_add_f64 v[20:21], v[22:23], v[0:1]
	v_fma_f64 v[8:9], v[10:11], v[16:17], v[8:9]
	v_add_f64 v[22:23], v[8:9], v[26:27]
	ds_read_b128 v[12:15], v63 offset:496
	ds_read_b128 v[8:11], v25 offset:15872
	s_waitcnt lgkmcnt(0)
	v_mul_f64 v[0:1], v[14:15], v[10:11]
	v_mul_f64 v[16:17], v[12:13], v[10:11]
	v_fma_f64 v[0:1], v[12:13], v[8:9], -v[0:1]
	v_fma_f64 v[16:17], v[14:15], v[8:9], v[16:17]
	v_add_f64 v[49:50], v[4:5], v[0:1]
	v_add_f64 v[51:52], v[16:17], v[6:7]
	ds_read_b128 v[4:7], v25 offset:16128
	s_waitcnt lgkmcnt(0)
	v_mul_f64 v[0:1], v[14:15], v[6:7]
	v_fma_f64 v[0:1], v[12:13], v[4:5], -v[0:1]
	v_mul_f64 v[12:13], v[12:13], v[6:7]
	v_add_f64 v[16:17], v[28:29], v[0:1]
	v_fma_f64 v[12:13], v[14:15], v[4:5], v[12:13]
	v_add_f64 v[18:19], v[12:13], v[41:42]
	ds_read_b128 v[12:15], v63 offset:8688
	s_waitcnt lgkmcnt(0)
	s_barrier
	v_mul_f64 v[0:1], v[14:15], v[10:11]
	v_mul_f64 v[10:11], v[12:13], v[10:11]
	v_fma_f64 v[0:1], v[12:13], v[8:9], -v[0:1]
	v_fma_f64 v[8:9], v[14:15], v[8:9], v[10:11]
	v_add_f64 v[53:54], v[53:54], v[0:1]
	v_mul_f64 v[0:1], v[14:15], v[6:7]
	v_mul_f64 v[6:7], v[12:13], v[6:7]
	v_add_f64 v[55:56], v[8:9], v[55:56]
	v_fma_f64 v[0:1], v[12:13], v[4:5], -v[0:1]
	v_fma_f64 v[4:5], v[14:15], v[4:5], v[6:7]
	v_add_f64 v[14:15], v[20:21], v[0:1]
	v_add_f64 v[12:13], v[4:5], v[22:23]
	v_mov_b32_e32 v0, s27
	v_addc_co_u32_e32 v48, vcc, v48, v0, vcc
	v_add_co_u32_e32 v35, vcc, 0x200, v35
	v_addc_co_u32_e32 v36, vcc, 0, v36, vcc
	v_add_co_u32_e32 v37, vcc, 0x200, v37
	v_addc_co_u32_e32 v38, vcc, 0, v38, vcc
	s_cbranch_scc1 .LBB123_55
.LBB123_7:                              ;   Parent Loop BB123_4 Depth=1
                                        ; =>  This Inner Loop Header: Depth=2
	v_mov_b32_e32 v0, s43
	v_add_co_u32_e32 v6, vcc, s42, v30
	v_addc_co_u32_e32 v7, vcc, 0, v0, vcc
	v_cmp_eq_u64_e32 vcc, s[42:43], v[39:40]
	v_lshlrev_b32_e32 v0, 4, v30
	v_add_co_u32_e64 v8, s[12:13], v37, v0
	s_and_b64 s[46:47], s[22:23], vcc
	v_cmp_gt_i64_e32 vcc, v[6:7], v[33:34]
	v_addc_co_u32_e64 v9, s[12:13], 0, v38, s[12:13]
	v_cmp_le_i64_e64 s[12:13], s[54:55], v[6:7]
	s_or_b64 s[14:15], s[8:9], vcc
	s_or_b64 s[14:15], s[14:15], s[46:47]
	s_nor_b64 s[14:15], s[12:13], s[14:15]
	s_and_saveexec_b64 s[18:19], s[14:15]
	s_xor_b64 s[14:15], exec, s[18:19]
	s_cbranch_execz .LBB123_9
; %bb.8:                                ;   in Loop: Header=BB123_7 Depth=2
	global_load_dwordx4 v[20:23], v[8:9], off offset:-256
	s_waitcnt vmcnt(0)
	ds_write2_b64 v24, v[20:21], v[22:23] offset1:1
.LBB123_9:                              ;   in Loop: Header=BB123_7 Depth=2
	s_or_saveexec_b64 s[14:15], s[14:15]
	s_xor_b64 s[44:45], s[46:47], -1
	s_xor_b64 exec, exec, s[14:15]
	s_cbranch_execz .LBB123_15
; %bb.10:                               ;   in Loop: Header=BB123_7 Depth=2
	s_and_saveexec_b64 s[18:19], s[44:45]
	s_xor_b64 s[18:19], exec, s[18:19]
; %bb.11:                               ;   in Loop: Header=BB123_7 Depth=2
	v_mov_b32_e32 v20, v2
	v_mov_b32_e32 v21, v2
	;; [unrolled: 1-line block ×4, first 2 shown]
	ds_write_b128 v24, v[20:23]
; %bb.12:                               ;   in Loop: Header=BB123_7 Depth=2
	s_andn2_saveexec_b64 s[18:19], s[18:19]
; %bb.13:                               ;   in Loop: Header=BB123_7 Depth=2
	v_mov_b32_e32 v4, v2
	v_mov_b32_e32 v5, v2
	ds_write_b128 v24, v[2:5]
; %bb.14:                               ;   in Loop: Header=BB123_7 Depth=2
	s_or_b64 exec, exec, s[18:19]
.LBB123_15:                             ;   in Loop: Header=BB123_7 Depth=2
	s_or_b64 exec, exec, s[14:15]
	buffer_load_dword v0, off, s[56:59], 0 offset:16 ; 4-byte Folded Reload
	buffer_load_dword v1, off, s[56:59], 0 offset:20 ; 4-byte Folded Reload
	v_add_co_u32_e64 v4, s[18:19], 16, v6
	v_addc_co_u32_e64 v5, s[18:19], 0, v7, s[18:19]
	v_cmp_gt_i64_e64 s[18:19], v[4:5], v[33:34]
	s_or_b64 s[18:19], s[8:9], s[18:19]
	s_waitcnt vmcnt(0)
	v_cmp_eq_u64_e64 s[14:15], s[42:43], v[0:1]
	s_and_b64 s[20:21], s[22:23], s[14:15]
	v_cmp_le_i64_e64 s[14:15], s[54:55], v[4:5]
	s_or_b64 s[18:19], s[18:19], s[20:21]
	s_nor_b64 s[18:19], s[14:15], s[18:19]
	s_and_saveexec_b64 s[52:53], s[18:19]
	s_xor_b64 s[18:19], exec, s[52:53]
	s_cbranch_execz .LBB123_17
; %bb.16:                               ;   in Loop: Header=BB123_7 Depth=2
	global_load_dwordx4 v[8:11], v[8:9], off
	v_add_u32_e32 v0, 0x100, v24
	s_waitcnt vmcnt(0)
	ds_write2_b64 v0, v[8:9], v[10:11] offset1:1
.LBB123_17:                             ;   in Loop: Header=BB123_7 Depth=2
	s_andn2_saveexec_b64 s[18:19], s[18:19]
	s_cbranch_execz .LBB123_23
; %bb.18:                               ;   in Loop: Header=BB123_7 Depth=2
	s_xor_b64 s[20:21], s[20:21], -1
	s_and_saveexec_b64 s[52:53], s[20:21]
	s_xor_b64 s[20:21], exec, s[52:53]
; %bb.19:                               ;   in Loop: Header=BB123_7 Depth=2
	v_mov_b32_e32 v8, v2
	v_mov_b32_e32 v9, v2
	;; [unrolled: 1-line block ×4, first 2 shown]
	ds_write_b128 v24, v[8:11] offset:256
; %bb.20:                               ;   in Loop: Header=BB123_7 Depth=2
	s_andn2_saveexec_b64 s[20:21], s[20:21]
; %bb.21:                               ;   in Loop: Header=BB123_7 Depth=2
	v_mov_b32_e32 v4, v2
	v_mov_b32_e32 v5, v2
	ds_write_b128 v24, v[2:5] offset:256
; %bb.22:                               ;   in Loop: Header=BB123_7 Depth=2
	s_or_b64 exec, exec, s[20:21]
.LBB123_23:                             ;   in Loop: Header=BB123_7 Depth=2
	s_or_b64 exec, exec, s[18:19]
	v_lshlrev_b32_e32 v0, 4, v30
	v_add_co_u32_e64 v8, s[18:19], v35, v0
	buffer_load_dword v0, off, s[56:59], 0 offset:8 ; 4-byte Folded Reload
	buffer_load_dword v1, off, s[56:59], 0 offset:12 ; 4-byte Folded Reload
	v_addc_co_u32_e64 v9, s[18:19], 0, v36, s[18:19]
	s_waitcnt vmcnt(0)
	v_cmp_eq_u64_e64 s[18:19], s[42:43], v[0:1]
	buffer_load_dword v0, off, s[56:59], 0  ; 4-byte Folded Reload
	buffer_load_dword v1, off, s[56:59], 0 offset:4 ; 4-byte Folded Reload
	s_and_b64 s[18:19], s[22:23], s[18:19]
	s_waitcnt vmcnt(0)
	v_cmp_gt_i64_e64 s[20:21], v[6:7], v[0:1]
	s_or_b64 s[20:21], s[10:11], s[20:21]
	s_or_b64 s[20:21], s[20:21], s[18:19]
	s_nor_b64 s[12:13], s[12:13], s[20:21]
	s_and_saveexec_b64 s[20:21], s[12:13]
	s_xor_b64 s[12:13], exec, s[20:21]
	s_cbranch_execz .LBB123_25
; %bb.24:                               ;   in Loop: Header=BB123_7 Depth=2
	global_load_dwordx4 v[4:7], v[8:9], off offset:-256
	v_add_u32_e32 v0, 0x2000, v24
	s_waitcnt vmcnt(0)
	ds_write2_b64 v0, v[4:5], v[6:7] offset1:1
.LBB123_25:                             ;   in Loop: Header=BB123_7 Depth=2
	s_andn2_saveexec_b64 s[12:13], s[12:13]
	s_cbranch_execz .LBB123_31
; %bb.26:                               ;   in Loop: Header=BB123_7 Depth=2
	s_xor_b64 s[18:19], s[18:19], -1
	s_and_saveexec_b64 s[20:21], s[18:19]
	s_xor_b64 s[18:19], exec, s[20:21]
; %bb.27:                               ;   in Loop: Header=BB123_7 Depth=2
	v_mov_b32_e32 v4, v2
	v_mov_b32_e32 v5, v2
	v_mov_b32_e32 v6, v2
	v_mov_b32_e32 v7, v2
	ds_write_b128 v24, v[4:7] offset:8192
; %bb.28:                               ;   in Loop: Header=BB123_7 Depth=2
	s_andn2_saveexec_b64 s[18:19], s[18:19]
; %bb.29:                               ;   in Loop: Header=BB123_7 Depth=2
	v_mov_b32_e32 v4, v2
	v_mov_b32_e32 v5, v2
	ds_write_b128 v24, v[2:5] offset:8192
; %bb.30:                               ;   in Loop: Header=BB123_7 Depth=2
	s_or_b64 exec, exec, s[18:19]
.LBB123_31:                             ;   in Loop: Header=BB123_7 Depth=2
	s_or_b64 exec, exec, s[12:13]
	s_or_b64 s[12:13], s[10:11], vcc
	s_or_b64 s[12:13], s[12:13], s[46:47]
	s_nor_b64 s[12:13], s[14:15], s[12:13]
	s_and_saveexec_b64 s[14:15], s[12:13]
	s_xor_b64 s[12:13], exec, s[14:15]
	s_cbranch_execz .LBB123_33
; %bb.32:                               ;   in Loop: Header=BB123_7 Depth=2
	global_load_dwordx4 v[4:7], v[8:9], off
	v_add_u32_e32 v0, 0x2100, v24
	s_waitcnt vmcnt(0)
	ds_write2_b64 v0, v[4:5], v[6:7] offset1:1
.LBB123_33:                             ;   in Loop: Header=BB123_7 Depth=2
	s_andn2_saveexec_b64 s[12:13], s[12:13]
	s_cbranch_execz .LBB123_39
; %bb.34:                               ;   in Loop: Header=BB123_7 Depth=2
	s_and_saveexec_b64 s[14:15], s[44:45]
	s_xor_b64 s[14:15], exec, s[14:15]
; %bb.35:                               ;   in Loop: Header=BB123_7 Depth=2
	v_mov_b32_e32 v4, v2
	v_mov_b32_e32 v5, v2
	;; [unrolled: 1-line block ×4, first 2 shown]
	ds_write_b128 v24, v[4:7] offset:8448
; %bb.36:                               ;   in Loop: Header=BB123_7 Depth=2
	s_andn2_saveexec_b64 s[14:15], s[14:15]
; %bb.37:                               ;   in Loop: Header=BB123_7 Depth=2
	v_mov_b32_e32 v4, v2
	v_mov_b32_e32 v5, v2
	ds_write_b128 v24, v[2:5] offset:8448
; %bb.38:                               ;   in Loop: Header=BB123_7 Depth=2
	s_or_b64 exec, exec, s[14:15]
.LBB123_39:                             ;   in Loop: Header=BB123_7 Depth=2
	s_or_b64 exec, exec, s[12:13]
	v_mov_b32_e32 v0, s43
	v_add_co_u32_e32 v4, vcc, s42, v32
	v_addc_co_u32_e32 v5, vcc, 0, v0, vcc
	buffer_load_dword v0, off, s[56:59], 0 offset:32 ; 4-byte Folded Reload
	v_cmp_le_i64_e32 vcc, s[54:55], v[4:5]
	s_waitcnt vmcnt(0)
	v_add_co_u32_e64 v6, s[12:13], v47, v0
	buffer_load_dword v0, off, s[56:59], 0 offset:36 ; 4-byte Folded Reload
	s_waitcnt vmcnt(0)
	v_addc_co_u32_e64 v7, s[12:13], v48, v0, s[12:13]
	s_nor_b64 s[12:13], vcc, s[0:1]
	s_and_saveexec_b64 s[14:15], s[12:13]
	s_xor_b64 s[12:13], exec, s[14:15]
	s_cbranch_execz .LBB123_41
; %bb.40:                               ;   in Loop: Header=BB123_7 Depth=2
	global_load_dwordx4 v[8:11], v[6:7], off offset:-256
	s_waitcnt vmcnt(0)
	ds_write2_b64 v31, v[8:9], v[10:11] offset1:1
.LBB123_41:                             ;   in Loop: Header=BB123_7 Depth=2
	s_andn2_saveexec_b64 s[12:13], s[12:13]
; %bb.42:                               ;   in Loop: Header=BB123_7 Depth=2
	v_mov_b32_e32 v8, v2
	v_mov_b32_e32 v9, v2
	;; [unrolled: 1-line block ×4, first 2 shown]
	ds_write_b128 v31, v[8:11]
; %bb.43:                               ;   in Loop: Header=BB123_7 Depth=2
	s_or_b64 exec, exec, s[12:13]
	s_nor_b64 s[12:13], vcc, s[2:3]
	s_and_saveexec_b64 s[14:15], s[12:13]
	s_xor_b64 s[12:13], exec, s[14:15]
	s_cbranch_execz .LBB123_45
; %bb.44:                               ;   in Loop: Header=BB123_7 Depth=2
	global_load_dwordx4 v[6:9], v[6:7], off
	v_add_u32_e32 v0, 0x100, v31
	s_waitcnt vmcnt(0)
	ds_write2_b64 v0, v[6:7], v[8:9] offset1:1
.LBB123_45:                             ;   in Loop: Header=BB123_7 Depth=2
	s_andn2_saveexec_b64 s[12:13], s[12:13]
; %bb.46:                               ;   in Loop: Header=BB123_7 Depth=2
	v_mov_b32_e32 v6, v2
	v_mov_b32_e32 v7, v2
	;; [unrolled: 1-line block ×4, first 2 shown]
	ds_write_b128 v31, v[6:9] offset:256
; %bb.47:                               ;   in Loop: Header=BB123_7 Depth=2
	s_or_b64 exec, exec, s[12:13]
	buffer_load_dword v0, off, s[56:59], 0 offset:24 ; 4-byte Folded Reload
	buffer_load_dword v1, off, s[56:59], 0 offset:28 ; 4-byte Folded Reload
	v_cmp_le_i64_e32 vcc, s[34:35], v[4:5]
	s_waitcnt vmcnt(1)
	v_add_co_u32_e64 v4, s[12:13], v47, v0
	buffer_load_dword v0, off, s[56:59], 0 offset:40 ; 4-byte Folded Reload
	s_waitcnt vmcnt(0)
	v_addc_co_u32_e64 v5, s[12:13], v48, v0, s[12:13]
	s_nor_b64 s[12:13], vcc, s[0:1]
	s_and_saveexec_b64 s[14:15], s[12:13]
	s_xor_b64 s[12:13], exec, s[14:15]
	s_cbranch_execz .LBB123_49
; %bb.48:                               ;   in Loop: Header=BB123_7 Depth=2
	global_load_dwordx4 v[6:9], v[4:5], off
	v_add_u32_e32 v0, 0x2000, v31
	s_waitcnt vmcnt(0)
	ds_write2_b64 v0, v[6:7], v[8:9] offset1:1
.LBB123_49:                             ;   in Loop: Header=BB123_7 Depth=2
	s_andn2_saveexec_b64 s[12:13], s[12:13]
; %bb.50:                               ;   in Loop: Header=BB123_7 Depth=2
	v_mov_b32_e32 v6, v2
	v_mov_b32_e32 v7, v2
	;; [unrolled: 1-line block ×4, first 2 shown]
	ds_write_b128 v31, v[6:9] offset:8192
; %bb.51:                               ;   in Loop: Header=BB123_7 Depth=2
	s_or_b64 exec, exec, s[12:13]
	s_nor_b64 s[12:13], vcc, s[2:3]
	s_and_saveexec_b64 s[14:15], s[12:13]
	s_xor_b64 s[12:13], exec, s[14:15]
	s_cbranch_execz .LBB123_53
; %bb.52:                               ;   in Loop: Header=BB123_7 Depth=2
	global_load_dwordx4 v[4:7], v[4:5], off offset:256
	v_add_u32_e32 v0, 0x2100, v31
	s_waitcnt vmcnt(0)
	ds_write2_b64 v0, v[4:5], v[6:7] offset1:1
.LBB123_53:                             ;   in Loop: Header=BB123_7 Depth=2
	s_andn2_saveexec_b64 s[12:13], s[12:13]
	s_cbranch_execz .LBB123_6
; %bb.54:                               ;   in Loop: Header=BB123_7 Depth=2
	v_mov_b32_e32 v4, v2
	v_mov_b32_e32 v5, v2
	;; [unrolled: 1-line block ×4, first 2 shown]
	ds_write_b128 v31, v[4:7] offset:8448
	s_branch .LBB123_6
.LBB123_55:                             ;   in Loop: Header=BB123_4 Depth=1
	v_mul_lo_u32 v0, s25, v33
	v_mul_lo_u32 v1, s24, v34
	v_mad_u64_u32 v[4:5], s[8:9], s24, v33, 0
	v_cmp_gt_i32_e32 vcc, s54, v33
	v_add3_u32 v5, v5, v1, v0
	v_lshlrev_b64 v[4:5], 4, v[4:5]
	v_mov_b32_e32 v0, s51
	v_add_co_u32_e64 v4, s[8:9], s50, v4
	v_addc_co_u32_e64 v5, s[8:9], v0, v5, s[8:9]
	s_and_b64 s[8:9], s[4:5], vcc
	s_and_saveexec_b64 s[10:11], s[8:9]
	s_cbranch_execz .LBB123_57
; %bb.56:                               ;   in Loop: Header=BB123_4 Depth=1
	buffer_load_dword v0, off, s[56:59], 0 offset:52 ; 4-byte Folded Reload
	buffer_load_dword v1, off, s[56:59], 0 offset:56 ; 4-byte Folded Reload
	v_mul_f64 v[10:11], s[30:31], v[51:52]
	v_mul_f64 v[20:21], s[28:29], v[51:52]
	v_fma_f64 v[10:11], s[28:29], v[49:50], -v[10:11]
	v_fma_f64 v[20:21], s[30:31], v[49:50], v[20:21]
	s_waitcnt vmcnt(1)
	v_add_co_u32_e64 v0, s[8:9], v4, v0
	s_waitcnt vmcnt(0)
	v_addc_co_u32_e64 v1, s[8:9], v5, v1, s[8:9]
	global_load_dwordx4 v[6:9], v[0:1], off
	s_waitcnt vmcnt(0)
	v_add_f64 v[6:7], v[6:7], v[10:11]
	v_add_f64 v[8:9], v[20:21], v[8:9]
	global_store_dwordx4 v[0:1], v[6:9], off
.LBB123_57:                             ;   in Loop: Header=BB123_4 Depth=1
	s_or_b64 exec, exec, s[10:11]
	s_and_b64 s[10:11], s[16:17], vcc
	s_mov_b64 s[8:9], exec
	buffer_load_dword v20, off, s[56:59], 0 offset:44 ; 4-byte Folded Reload
	buffer_load_dword v21, off, s[56:59], 0 offset:48 ; 4-byte Folded Reload
	s_and_b64 s[10:11], s[8:9], s[10:11]
	s_mov_b64 exec, s[10:11]
	s_cbranch_execz .LBB123_59
; %bb.58:                               ;   in Loop: Header=BB123_4 Depth=1
	buffer_load_dword v0, off, s[56:59], 0 offset:60 ; 4-byte Folded Reload
	buffer_load_dword v1, off, s[56:59], 0 offset:64 ; 4-byte Folded Reload
	v_mul_f64 v[8:9], s[30:31], v[18:19]
	v_mul_f64 v[10:11], s[28:29], v[18:19]
	v_fma_f64 v[8:9], s[28:29], v[16:17], -v[8:9]
	v_fma_f64 v[10:11], s[30:31], v[16:17], v[10:11]
	s_waitcnt vmcnt(1)
	v_add_co_u32_e32 v0, vcc, v4, v0
	s_waitcnt vmcnt(0)
	v_addc_co_u32_e32 v1, vcc, v5, v1, vcc
	global_load_dwordx4 v[4:7], v[0:1], off
	s_waitcnt vmcnt(0)
	v_add_f64 v[4:5], v[4:5], v[8:9]
	v_add_f64 v[6:7], v[10:11], v[6:7]
	global_store_dwordx4 v[0:1], v[4:7], off
.LBB123_59:                             ;   in Loop: Header=BB123_4 Depth=1
	s_or_b64 exec, exec, s[8:9]
	v_add_u32_e32 v4, 16, v33
	v_ashrrev_i32_e32 v0, 31, v4
	v_mul_lo_u32 v5, s24, v0
	v_mul_lo_u32 v6, s25, v4
	v_mad_u64_u32 v[0:1], s[8:9], s24, v4, 0
	v_cmp_gt_i32_e32 vcc, s54, v4
	v_add3_u32 v1, v1, v5, v6
	v_lshlrev_b64 v[0:1], 4, v[0:1]
	v_mov_b32_e32 v5, s51
	v_add_co_u32_e64 v4, s[8:9], s50, v0
	v_addc_co_u32_e64 v5, s[8:9], v5, v1, s[8:9]
	s_and_b64 s[8:9], s[4:5], vcc
	s_and_saveexec_b64 s[10:11], s[8:9]
	s_cbranch_execz .LBB123_61
; %bb.60:                               ;   in Loop: Header=BB123_4 Depth=1
	buffer_load_dword v0, off, s[56:59], 0 offset:52 ; 4-byte Folded Reload
	buffer_load_dword v1, off, s[56:59], 0 offset:56 ; 4-byte Folded Reload
	v_mul_f64 v[10:11], s[30:31], v[55:56]
	v_mul_f64 v[16:17], s[28:29], v[55:56]
	v_fma_f64 v[10:11], s[28:29], v[53:54], -v[10:11]
	v_fma_f64 v[16:17], s[30:31], v[53:54], v[16:17]
	s_waitcnt vmcnt(1)
	v_add_co_u32_e64 v0, s[8:9], v4, v0
	s_waitcnt vmcnt(0)
	v_addc_co_u32_e64 v1, s[8:9], v5, v1, s[8:9]
	global_load_dwordx4 v[6:9], v[0:1], off
	s_waitcnt vmcnt(0)
	v_add_f64 v[6:7], v[6:7], v[10:11]
	v_add_f64 v[8:9], v[16:17], v[8:9]
	global_store_dwordx4 v[0:1], v[6:9], off
.LBB123_61:                             ;   in Loop: Header=BB123_4 Depth=1
	s_or_b64 exec, exec, s[10:11]
	s_and_b64 s[10:11], s[16:17], vcc
	s_and_saveexec_b64 s[8:9], s[10:11]
	s_cbranch_execz .LBB123_3
; %bb.62:                               ;   in Loop: Header=BB123_4 Depth=1
	buffer_load_dword v0, off, s[56:59], 0 offset:60 ; 4-byte Folded Reload
	buffer_load_dword v1, off, s[56:59], 0 offset:64 ; 4-byte Folded Reload
	v_mul_f64 v[8:9], s[30:31], v[12:13]
	v_mul_f64 v[10:11], s[28:29], v[12:13]
	v_fma_f64 v[8:9], s[28:29], v[14:15], -v[8:9]
	v_fma_f64 v[10:11], s[30:31], v[14:15], v[10:11]
	s_waitcnt vmcnt(1)
	v_add_co_u32_e32 v0, vcc, v4, v0
	s_waitcnt vmcnt(0)
	v_addc_co_u32_e32 v1, vcc, v5, v1, vcc
	global_load_dwordx4 v[4:7], v[0:1], off
	s_waitcnt vmcnt(0)
	v_add_f64 v[4:5], v[4:5], v[8:9]
	v_add_f64 v[6:7], v[10:11], v[6:7]
	global_store_dwordx4 v[0:1], v[4:7], off
	s_branch .LBB123_3
.LBB123_63:
	s_endpgm
	.section	.rodata,"a",@progbits
	.p2align	6, 0x0
	.amdhsa_kernel _ZL30rocblas_trmm_outofplace_kernelI19rocblas_complex_numIdELi32ELi2ELb0ELb1ELb0ELb0ES1_KS1_S1_Ev17rocblas_diagonal_iiT6_lPT7_lllS6_lllPT8_llli
		.amdhsa_group_segment_fixed_size 32768
		.amdhsa_private_segment_fixed_size 88
		.amdhsa_kernarg_size 400
		.amdhsa_user_sgpr_count 6
		.amdhsa_user_sgpr_private_segment_buffer 1
		.amdhsa_user_sgpr_dispatch_ptr 0
		.amdhsa_user_sgpr_queue_ptr 0
		.amdhsa_user_sgpr_kernarg_segment_ptr 1
		.amdhsa_user_sgpr_dispatch_id 0
		.amdhsa_user_sgpr_flat_scratch_init 0
		.amdhsa_user_sgpr_private_segment_size 0
		.amdhsa_uses_dynamic_stack 0
		.amdhsa_system_sgpr_private_segment_wavefront_offset 1
		.amdhsa_system_sgpr_workgroup_id_x 1
		.amdhsa_system_sgpr_workgroup_id_y 1
		.amdhsa_system_sgpr_workgroup_id_z 1
		.amdhsa_system_sgpr_workgroup_info 0
		.amdhsa_system_vgpr_workitem_id 1
		.amdhsa_next_free_vgpr 64
		.amdhsa_next_free_sgpr 61
		.amdhsa_reserve_vcc 1
		.amdhsa_reserve_flat_scratch 0
		.amdhsa_float_round_mode_32 0
		.amdhsa_float_round_mode_16_64 0
		.amdhsa_float_denorm_mode_32 3
		.amdhsa_float_denorm_mode_16_64 3
		.amdhsa_dx10_clamp 1
		.amdhsa_ieee_mode 1
		.amdhsa_fp16_overflow 0
		.amdhsa_exception_fp_ieee_invalid_op 0
		.amdhsa_exception_fp_denorm_src 0
		.amdhsa_exception_fp_ieee_div_zero 0
		.amdhsa_exception_fp_ieee_overflow 0
		.amdhsa_exception_fp_ieee_underflow 0
		.amdhsa_exception_fp_ieee_inexact 0
		.amdhsa_exception_int_div_zero 0
	.end_amdhsa_kernel
	.section	.text._ZL30rocblas_trmm_outofplace_kernelI19rocblas_complex_numIdELi32ELi2ELb0ELb1ELb0ELb0ES1_KS1_S1_Ev17rocblas_diagonal_iiT6_lPT7_lllS6_lllPT8_llli,"axG",@progbits,_ZL30rocblas_trmm_outofplace_kernelI19rocblas_complex_numIdELi32ELi2ELb0ELb1ELb0ELb0ES1_KS1_S1_Ev17rocblas_diagonal_iiT6_lPT7_lllS6_lllPT8_llli,comdat
.Lfunc_end123:
	.size	_ZL30rocblas_trmm_outofplace_kernelI19rocblas_complex_numIdELi32ELi2ELb0ELb1ELb0ELb0ES1_KS1_S1_Ev17rocblas_diagonal_iiT6_lPT7_lllS6_lllPT8_llli, .Lfunc_end123-_ZL30rocblas_trmm_outofplace_kernelI19rocblas_complex_numIdELi32ELi2ELb0ELb1ELb0ELb0ES1_KS1_S1_Ev17rocblas_diagonal_iiT6_lPT7_lllS6_lllPT8_llli
                                        ; -- End function
	.set _ZL30rocblas_trmm_outofplace_kernelI19rocblas_complex_numIdELi32ELi2ELb0ELb1ELb0ELb0ES1_KS1_S1_Ev17rocblas_diagonal_iiT6_lPT7_lllS6_lllPT8_llli.num_vgpr, 64
	.set _ZL30rocblas_trmm_outofplace_kernelI19rocblas_complex_numIdELi32ELi2ELb0ELb1ELb0ELb0ES1_KS1_S1_Ev17rocblas_diagonal_iiT6_lPT7_lllS6_lllPT8_llli.num_agpr, 0
	.set _ZL30rocblas_trmm_outofplace_kernelI19rocblas_complex_numIdELi32ELi2ELb0ELb1ELb0ELb0ES1_KS1_S1_Ev17rocblas_diagonal_iiT6_lPT7_lllS6_lllPT8_llli.numbered_sgpr, 60
	.set _ZL30rocblas_trmm_outofplace_kernelI19rocblas_complex_numIdELi32ELi2ELb0ELb1ELb0ELb0ES1_KS1_S1_Ev17rocblas_diagonal_iiT6_lPT7_lllS6_lllPT8_llli.num_named_barrier, 0
	.set _ZL30rocblas_trmm_outofplace_kernelI19rocblas_complex_numIdELi32ELi2ELb0ELb1ELb0ELb0ES1_KS1_S1_Ev17rocblas_diagonal_iiT6_lPT7_lllS6_lllPT8_llli.private_seg_size, 88
	.set _ZL30rocblas_trmm_outofplace_kernelI19rocblas_complex_numIdELi32ELi2ELb0ELb1ELb0ELb0ES1_KS1_S1_Ev17rocblas_diagonal_iiT6_lPT7_lllS6_lllPT8_llli.uses_vcc, 1
	.set _ZL30rocblas_trmm_outofplace_kernelI19rocblas_complex_numIdELi32ELi2ELb0ELb1ELb0ELb0ES1_KS1_S1_Ev17rocblas_diagonal_iiT6_lPT7_lllS6_lllPT8_llli.uses_flat_scratch, 0
	.set _ZL30rocblas_trmm_outofplace_kernelI19rocblas_complex_numIdELi32ELi2ELb0ELb1ELb0ELb0ES1_KS1_S1_Ev17rocblas_diagonal_iiT6_lPT7_lllS6_lllPT8_llli.has_dyn_sized_stack, 0
	.set _ZL30rocblas_trmm_outofplace_kernelI19rocblas_complex_numIdELi32ELi2ELb0ELb1ELb0ELb0ES1_KS1_S1_Ev17rocblas_diagonal_iiT6_lPT7_lllS6_lllPT8_llli.has_recursion, 0
	.set _ZL30rocblas_trmm_outofplace_kernelI19rocblas_complex_numIdELi32ELi2ELb0ELb1ELb0ELb0ES1_KS1_S1_Ev17rocblas_diagonal_iiT6_lPT7_lllS6_lllPT8_llli.has_indirect_call, 0
	.section	.AMDGPU.csdata,"",@progbits
; Kernel info:
; codeLenInByte = 10516
; TotalNumSgprs: 64
; NumVgprs: 64
; ScratchSize: 88
; MemoryBound: 0
; FloatMode: 240
; IeeeMode: 1
; LDSByteSize: 32768 bytes/workgroup (compile time only)
; SGPRBlocks: 8
; VGPRBlocks: 15
; NumSGPRsForWavesPerEU: 65
; NumVGPRsForWavesPerEU: 64
; Occupancy: 4
; WaveLimiterHint : 0
; COMPUTE_PGM_RSRC2:SCRATCH_EN: 1
; COMPUTE_PGM_RSRC2:USER_SGPR: 6
; COMPUTE_PGM_RSRC2:TRAP_HANDLER: 0
; COMPUTE_PGM_RSRC2:TGID_X_EN: 1
; COMPUTE_PGM_RSRC2:TGID_Y_EN: 1
; COMPUTE_PGM_RSRC2:TGID_Z_EN: 1
; COMPUTE_PGM_RSRC2:TIDIG_COMP_CNT: 1
	.section	.text._ZL30rocblas_trmm_outofplace_kernelI19rocblas_complex_numIdELi32ELi2ELb0ELb0ELb1ELb0EPKS1_S2_S1_Ev17rocblas_diagonal_iiT6_lPT7_lllS7_lllPT8_llli,"axG",@progbits,_ZL30rocblas_trmm_outofplace_kernelI19rocblas_complex_numIdELi32ELi2ELb0ELb0ELb1ELb0EPKS1_S2_S1_Ev17rocblas_diagonal_iiT6_lPT7_lllS7_lllPT8_llli,comdat
	.globl	_ZL30rocblas_trmm_outofplace_kernelI19rocblas_complex_numIdELi32ELi2ELb0ELb0ELb1ELb0EPKS1_S2_S1_Ev17rocblas_diagonal_iiT6_lPT7_lllS7_lllPT8_llli ; -- Begin function _ZL30rocblas_trmm_outofplace_kernelI19rocblas_complex_numIdELi32ELi2ELb0ELb0ELb1ELb0EPKS1_S2_S1_Ev17rocblas_diagonal_iiT6_lPT7_lllS7_lllPT8_llli
	.p2align	8
	.type	_ZL30rocblas_trmm_outofplace_kernelI19rocblas_complex_numIdELi32ELi2ELb0ELb0ELb1ELb0EPKS1_S2_S1_Ev17rocblas_diagonal_iiT6_lPT7_lllS7_lllPT8_llli,@function
_ZL30rocblas_trmm_outofplace_kernelI19rocblas_complex_numIdELi32ELi2ELb0ELb0ELb1ELb0EPKS1_S2_S1_Ev17rocblas_diagonal_iiT6_lPT7_lllS7_lllPT8_llli: ; @_ZL30rocblas_trmm_outofplace_kernelI19rocblas_complex_numIdELi32ELi2ELb0ELb0ELb1ELb0EPKS1_S2_S1_Ev17rocblas_diagonal_iiT6_lPT7_lllS7_lllPT8_llli
; %bb.0:
	s_load_dwordx16 s[12:27], s[4:5], 0x10
	s_mov_b64 s[58:59], s[2:3]
	s_mov_b64 s[56:57], s[0:1]
	s_add_u32 s56, s56, s9
	s_addc_u32 s57, s57, 0
	s_waitcnt lgkmcnt(0)
	s_mul_i32 s0, s15, s8
	s_mul_hi_u32 s1, s14, s8
	s_add_i32 s1, s1, s0
	s_mul_i32 s0, s14, s8
	s_lshl_b64 s[0:1], s[0:1], 4
	s_add_u32 s0, s12, s0
	s_addc_u32 s1, s13, s1
	s_load_dwordx4 s[28:31], s[0:1], 0x0
	buffer_store_dword v0, off, s[56:59], 0 offset:24 ; 4-byte Folded Spill
	s_waitcnt lgkmcnt(0)
	v_cmp_eq_f64_e64 s[0:1], s[28:29], 0
	v_cmp_eq_f64_e64 s[2:3], s[30:31], 0
	s_and_b64 s[0:1], s[0:1], s[2:3]
	s_and_b64 vcc, exec, s[0:1]
	s_cbranch_vccnz .LBB124_63
; %bb.1:
	s_load_dwordx4 s[44:47], s[4:5], 0x0
	s_waitcnt lgkmcnt(0)
	s_add_i32 s0, s46, -1
	s_ashr_i32 s1, s0, 31
	s_lshr_b32 s1, s1, 27
	s_add_i32 s0, s0, s1
	s_ashr_i32 s33, s0, 5
	s_cmp_gt_i32 s7, s33
	s_cbranch_scc1 .LBB124_63
; %bb.2:
	s_load_dwordx8 s[36:43], s[4:5], 0x50
	s_load_dwordx4 s[48:51], s[4:5], 0x70
	buffer_load_dword v10, off, s[56:59], 0 offset:24 ; 4-byte Folded Reload
	s_load_dword s52, s[4:5], 0x8c
	v_mov_b32_e32 v36, v1
	s_waitcnt lgkmcnt(0)
	s_mul_i32 s1, s39, s8
	s_mul_hi_u32 s2, s38, s8
	s_mul_i32 s0, s38, s8
	s_add_i32 s1, s2, s1
	s_lshl_b64 s[0:1], s[0:1], 4
	s_add_u32 s2, s24, s0
	s_addc_u32 s3, s25, s1
	s_lshl_b64 s[0:1], s[26:27], 4
	s_add_u32 s2, s2, s0
	s_addc_u32 s3, s3, s1
	s_mul_i32 s0, s51, s8
	s_mul_hi_u32 s1, s50, s8
	s_add_i32 s1, s1, s0
	s_mul_i32 s0, s50, s8
	s_lshl_b64 s[0:1], s[0:1], 4
	s_add_u32 s4, s40, s0
	s_addc_u32 s5, s41, s1
	s_lshl_b64 s[0:1], s[42:43], 4
	s_add_u32 s50, s4, s0
	s_addc_u32 s51, s5, s1
	v_mov_b32_e32 v0, s3
	s_cmpk_eq_i32 s44, 0x84
	s_cselect_b64 s[24:25], -1, 0
	s_ashr_i32 s0, s45, 31
	s_ashr_i32 s47, s46, 31
	s_lshl_b64 s[26:27], s[20:21], 9
	s_lshl_b64 s[34:35], s[36:37], 9
	s_add_u32 s38, s46, -16
	s_mul_i32 s4, s23, s8
	s_mul_hi_u32 s5, s22, s8
	s_addc_u32 s39, s47, -1
	v_lshlrev_b32_e32 v63, 9, v36
	s_movk_i32 s9, 0x100
	v_mov_b32_e32 v2, 0
	v_lshl_add_u32 v20, s7, 5, v36
	s_waitcnt vmcnt(0)
	v_lshl_add_u32 v3, s6, 5, v10
	v_ashrrev_i32_e32 v4, 31, v3
	v_lshlrev_b64 v[5:6], 4, v[3:4]
	v_lshlrev_b32_e32 v1, 4, v10
	v_add_co_u32_e32 v7, vcc, s2, v5
	buffer_store_dword v5, off, s[56:59], 0 offset:48 ; 4-byte Folded Spill
	s_nop 0
	buffer_store_dword v6, off, s[56:59], 0 offset:52 ; 4-byte Folded Spill
	s_lshl_b32 s6, s52, 5
	v_add_u32_e32 v24, v63, v1
	v_or_b32_e32 v25, 0x4000, v1
	v_add_u32_e32 v35, v25, v63
	v_addc_co_u32_e32 v8, vcc, v0, v6, vcc
	buffer_store_dword v7, off, s[56:59], 0 offset:64 ; 4-byte Folded Spill
	s_nop 0
	buffer_store_dword v8, off, s[56:59], 0 offset:68 ; 4-byte Folded Spill
	v_mov_b32_e32 v0, s0
	v_mad_u64_u32 v[7:8], s[0:1], s36, v36, 0
	v_sub_co_u32_e32 v5, vcc, s45, v3
	v_subb_co_u32_e32 v6, vcc, v0, v4, vcc
	v_mov_b32_e32 v0, v8
	v_cmp_gt_i64_e32 vcc, 1, v[5:6]
	v_cmp_gt_i64_e64 s[0:1], 17, v[5:6]
	v_mad_u64_u32 v[4:5], s[2:3], s37, v36, v[0:1]
	v_mov_b32_e32 v8, v4
	v_mad_u64_u32 v[4:5], s[2:3], s20, v10, 0
	v_lshlrev_b64 v[6:7], 4, v[7:8]
	v_mov_b32_e32 v0, v5
	v_mad_u64_u32 v[8:9], s[2:3], s21, v10, v[0:1]
	s_add_i32 s3, s5, s4
	s_mul_i32 s2, s22, s8
	s_lshl_b64 s[2:3], s[2:3], 4
	s_lshl_b64 s[4:5], s[18:19], 4
	s_add_u32 s4, s16, s4
	s_addc_u32 s5, s17, s5
	s_add_u32 s2, s4, s2
	s_addc_u32 s3, s5, s3
	v_mov_b32_e32 v5, v8
	v_mov_b32_e32 v9, s3
	v_add_u32_e32 v1, 0x100, v1
	v_mov_b32_e32 v8, s2
	v_mad_u64_u32 v[11:12], s[4:5], s20, v1, v[8:9]
	v_lshlrev_b64 v[4:5], 4, v[4:5]
	v_mov_b32_e32 v0, s3
	v_add_co_u32_e64 v8, s[2:3], s2, v4
	v_addc_co_u32_e64 v9, s[2:3], v0, v5, s[2:3]
	v_mov_b32_e32 v0, v12
	v_mad_u64_u32 v[4:5], s[2:3], s21, v1, v[0:1]
	v_mov_b32_e32 v0, 0x100
	v_lshl_add_u32 v1, v36, 4, v0
	v_mad_u64_u32 v[30:31], s[2:3], s36, v1, 0
	v_add_co_u32_e64 v0, s[2:3], s9, v6
	buffer_store_dword v0, off, s[56:59], 0 offset:28 ; 4-byte Folded Spill
	v_addc_co_u32_e64 v0, s[2:3], 0, v7, s[2:3]
	buffer_store_dword v0, off, s[56:59], 0 offset:32 ; 4-byte Folded Spill
	v_mov_b32_e32 v0, v31
	v_mov_b32_e32 v12, v4
	v_mad_u64_u32 v[4:5], s[2:3], s37, v1, v[0:1]
	v_add_co_u32_e64 v0, s[2:3], s9, v8
	v_addc_co_u32_e64 v1, s[2:3], 0, v9, s[2:3]
	buffer_store_dword v11, off, s[56:59], 0 offset:72 ; 4-byte Folded Spill
	s_nop 0
	buffer_store_dword v12, off, s[56:59], 0 offset:76 ; 4-byte Folded Spill
	buffer_store_dword v0, off, s[56:59], 0 offset:80 ; 4-byte Folded Spill
	s_nop 0
	buffer_store_dword v1, off, s[56:59], 0 offset:84 ; 4-byte Folded Spill
	v_mov_b32_e32 v0, v4
	v_add_u32_e32 v4, 16, v3
	v_ashrrev_i32_e32 v5, 31, v4
	buffer_store_dword v0, off, s[56:59], 0 offset:36 ; 4-byte Folded Spill
	v_lshlrev_b64 v[0:1], 4, v[4:5]
	buffer_store_dword v0, off, s[56:59], 0 offset:56 ; 4-byte Folded Spill
	s_nop 0
	buffer_store_dword v1, off, s[56:59], 0 offset:60 ; 4-byte Folded Spill
	v_sub_co_u32_e64 v0, s[8:9], 0, v10
	v_cmp_gt_i32_e64 s[2:3], s45, v3
	v_cmp_gt_i32_e64 s[4:5], s45, v4
	v_mov_b32_e32 v3, 0x3ff00000
	buffer_store_dword v0, off, s[56:59], 0 offset:88 ; 4-byte Folded Spill
	v_subb_co_u32_e64 v0, s[8:9], 0, 0, s[8:9]
	buffer_store_dword v0, off, s[56:59], 0 offset:92 ; 4-byte Folded Spill
	s_branch .LBB124_4
.LBB124_3:                              ;   in Loop: Header=BB124_4 Depth=1
	s_or_b64 exec, exec, s[10:11]
	s_add_i32 s7, s52, s7
	s_cmp_le_i32 s7, s33
	s_waitcnt vmcnt(1)
	v_add_u32_e32 v20, s6, v20
	s_cbranch_scc0 .LBB124_63
.LBB124_4:                              ; =>This Loop Header: Depth=1
                                        ;     Child Loop BB124_7 Depth 2
	s_lshl_b32 s44, s7, 5
	v_add_u32_e32 v37, s44, v36
	v_mov_b32_e32 v55, 0
	v_mov_b32_e32 v57, 0
	;; [unrolled: 1-line block ×9, first 2 shown]
	s_cmp_lt_i32 s7, 0
	v_mov_b32_e32 v58, 0
	v_mov_b32_e32 v17, 0
	;; [unrolled: 1-line block ×7, first 2 shown]
	v_ashrrev_i32_e32 v38, 31, v37
	buffer_store_dword v20, off, s[56:59], 0 offset:40 ; 4-byte Folded Spill
	s_waitcnt vmcnt(1)
	buffer_store_dword v21, off, s[56:59], 0 offset:44 ; 4-byte Folded Spill
	s_cbranch_scc1 .LBB124_55
; %bb.5:                                ;   in Loop: Header=BB124_4 Depth=1
	buffer_load_dword v0, off, s[56:59], 0 offset:40 ; 4-byte Folded Reload
	buffer_load_dword v1, off, s[56:59], 0 offset:44 ; 4-byte Folded Reload
	v_mov_b32_e32 v12, 0
	v_mov_b32_e32 v14, 0
	v_mov_b32_e32 v61, 0
	v_mov_b32_e32 v59, 0
	v_mov_b32_e32 v18, 0
	v_mov_b32_e32 v16, 0
	v_mov_b32_e32 v57, 0
	v_mov_b32_e32 v55, 0
	v_cmp_le_i32_e64 s[16:17], s46, v37
	v_mov_b32_e32 v13, 0
	s_mov_b64 s[22:23], 0
	v_mov_b32_e32 v15, 0
	v_mov_b32_e32 v62, 0
	;; [unrolled: 1-line block ×7, first 2 shown]
	s_waitcnt vmcnt(1)
	v_mov_b32_e32 v4, v0
	buffer_load_dword v0, off, s[56:59], 0 offset:88 ; 4-byte Folded Reload
	v_ashrrev_i32_e32 v5, 31, v4
	v_lshlrev_b64 v[41:42], 4, v[4:5]
	s_waitcnt vmcnt(0)
	v_add_co_u32_e64 v39, s[8:9], v0, v4
	buffer_load_dword v0, off, s[56:59], 0 offset:92 ; 4-byte Folded Reload
	s_waitcnt vmcnt(0)
	v_addc_co_u32_e64 v40, s[8:9], v0, v5, s[8:9]
	v_mov_b32_e32 v0, v4
	buffer_store_dword v0, off, s[56:59], 0 offset:40 ; 4-byte Folded Spill
	s_nop 0
	buffer_store_dword v1, off, s[56:59], 0 offset:44 ; 4-byte Folded Spill
	v_add_co_u32_e64 v0, s[8:9], 16, v37
	v_addc_co_u32_e64 v1, s[8:9], 0, v38, s[8:9]
	buffer_store_dword v0, off, s[56:59], 0 ; 4-byte Folded Spill
	s_nop 0
	buffer_store_dword v1, off, s[56:59], 0 offset:4 ; 4-byte Folded Spill
	v_cmp_le_i64_e64 s[8:9], s[46:47], v[0:1]
	v_add_co_u32_e64 v0, s[10:11], 16, v39
	v_addc_co_u32_e64 v1, s[10:11], 0, v40, s[10:11]
	buffer_store_dword v0, off, s[56:59], 0 offset:8 ; 4-byte Folded Spill
	s_nop 0
	buffer_store_dword v1, off, s[56:59], 0 offset:12 ; 4-byte Folded Spill
	v_add_co_u32_e64 v0, s[10:11], -16, v39
	v_addc_co_u32_e64 v1, s[10:11], -1, v40, s[10:11]
	buffer_store_dword v0, off, s[56:59], 0 offset:16 ; 4-byte Folded Spill
	s_nop 0
	buffer_store_dword v1, off, s[56:59], 0 offset:20 ; 4-byte Folded Spill
	buffer_load_dword v49, off, s[56:59], 0 offset:72 ; 4-byte Folded Reload
	buffer_load_dword v50, off, s[56:59], 0 offset:76 ; 4-byte Folded Reload
	;; [unrolled: 1-line block ×6, first 2 shown]
	s_branch .LBB124_7
.LBB124_6:                              ;   in Loop: Header=BB124_7 Depth=2
	s_or_b64 exec, exec, s[10:11]
	s_waitcnt lgkmcnt(0)
	s_barrier
	ds_read_b128 v[26:29], v63
	ds_read_b128 v[20:23], v63 offset:16
	ds_read_b128 v[8:11], v63 offset:32
	;; [unrolled: 1-line block ×3, first 2 shown]
	ds_read_b128 v[31:34], v25
	v_add_co_u32_e64 v53, s[10:11], s34, v53
	s_add_u32 s22, s22, 32
	s_addc_u32 s23, s23, 0
	s_waitcnt lgkmcnt(0)
	v_mul_f64 v[45:46], v[28:29], v[33:34]
	v_mul_f64 v[0:1], v[26:27], v[33:34]
	s_sub_i32 s12, s22, 32
	s_cmp_ge_i32 s12, s44
	v_fma_f64 v[45:46], v[26:27], v[31:32], -v[45:46]
	v_fma_f64 v[0:1], v[28:29], v[31:32], v[0:1]
	v_add_f64 v[45:46], v[55:56], v[45:46]
	v_add_f64 v[0:1], v[0:1], v[57:58]
	ds_read_b128 v[55:58], v25 offset:256
	s_waitcnt lgkmcnt(0)
	v_mul_f64 v[47:48], v[28:29], v[57:58]
	v_fma_f64 v[47:48], v[26:27], v[55:56], -v[47:48]
	v_mul_f64 v[26:27], v[26:27], v[57:58]
	v_add_f64 v[47:48], v[16:17], v[47:48]
	v_fma_f64 v[26:27], v[28:29], v[55:56], v[26:27]
	v_add_f64 v[43:44], v[26:27], v[18:19]
	ds_read_b128 v[16:19], v63 offset:8192
	s_waitcnt lgkmcnt(0)
	v_mul_f64 v[26:27], v[18:19], v[33:34]
	v_mul_f64 v[28:29], v[16:17], v[33:34]
	v_fma_f64 v[26:27], v[16:17], v[31:32], -v[26:27]
	v_fma_f64 v[31:32], v[18:19], v[31:32], v[28:29]
	v_add_f64 v[28:29], v[59:60], v[26:27]
	v_mul_f64 v[26:27], v[18:19], v[57:58]
	v_add_f64 v[33:34], v[31:32], v[61:62]
	v_fma_f64 v[26:27], v[16:17], v[55:56], -v[26:27]
	v_mul_f64 v[16:17], v[16:17], v[57:58]
	v_add_f64 v[26:27], v[14:15], v[26:27]
	v_fma_f64 v[16:17], v[18:19], v[55:56], v[16:17]
	v_add_f64 v[31:32], v[16:17], v[12:13]
	ds_read_b128 v[16:19], v25 offset:512
	s_waitcnt lgkmcnt(0)
	v_mul_f64 v[12:13], v[22:23], v[18:19]
	v_mul_f64 v[14:15], v[20:21], v[18:19]
	v_fma_f64 v[12:13], v[20:21], v[16:17], -v[12:13]
	v_fma_f64 v[14:15], v[22:23], v[16:17], v[14:15]
	v_add_f64 v[59:60], v[45:46], v[12:13]
	v_add_f64 v[61:62], v[14:15], v[0:1]
	ds_read_b128 v[12:15], v25 offset:768
	s_waitcnt lgkmcnt(0)
	v_mul_f64 v[0:1], v[22:23], v[14:15]
	v_fma_f64 v[0:1], v[20:21], v[12:13], -v[0:1]
	v_mul_f64 v[20:21], v[20:21], v[14:15]
	v_add_f64 v[55:56], v[47:48], v[0:1]
	v_fma_f64 v[20:21], v[22:23], v[12:13], v[20:21]
	v_add_f64 v[57:58], v[20:21], v[43:44]
	ds_read_b128 v[20:23], v63 offset:8208
	s_waitcnt lgkmcnt(0)
	v_mul_f64 v[0:1], v[22:23], v[18:19]
	v_mul_f64 v[18:19], v[20:21], v[18:19]
	v_fma_f64 v[0:1], v[20:21], v[16:17], -v[0:1]
	v_fma_f64 v[18:19], v[22:23], v[16:17], v[18:19]
	v_add_f64 v[16:17], v[28:29], v[0:1]
	v_mul_f64 v[0:1], v[22:23], v[14:15]
	v_mul_f64 v[14:15], v[20:21], v[14:15]
	v_add_f64 v[18:19], v[18:19], v[33:34]
	v_fma_f64 v[0:1], v[20:21], v[12:13], -v[0:1]
	v_fma_f64 v[14:15], v[22:23], v[12:13], v[14:15]
	ds_read_b128 v[20:23], v25 offset:1024
	v_add_f64 v[12:13], v[26:27], v[0:1]
	s_waitcnt lgkmcnt(0)
	v_mul_f64 v[26:27], v[8:9], v[22:23]
	v_add_f64 v[14:15], v[14:15], v[31:32]
	v_mul_f64 v[0:1], v[10:11], v[22:23]
	v_fma_f64 v[26:27], v[10:11], v[20:21], v[26:27]
	v_fma_f64 v[0:1], v[8:9], v[20:21], -v[0:1]
	v_add_f64 v[31:32], v[26:27], v[61:62]
	ds_read_b128 v[26:29], v25 offset:1280
	v_add_f64 v[0:1], v[59:60], v[0:1]
	s_waitcnt lgkmcnt(0)
	v_mul_f64 v[33:34], v[10:11], v[28:29]
	v_fma_f64 v[33:34], v[8:9], v[26:27], -v[33:34]
	v_mul_f64 v[8:9], v[8:9], v[28:29]
	v_add_f64 v[33:34], v[55:56], v[33:34]
	v_fma_f64 v[8:9], v[10:11], v[26:27], v[8:9]
	v_add_f64 v[43:44], v[8:9], v[57:58]
	ds_read_b128 v[8:11], v63 offset:8224
	s_waitcnt lgkmcnt(0)
	v_mul_f64 v[45:46], v[10:11], v[22:23]
	v_mul_f64 v[22:23], v[8:9], v[22:23]
	v_fma_f64 v[45:46], v[8:9], v[20:21], -v[45:46]
	v_fma_f64 v[22:23], v[10:11], v[20:21], v[22:23]
	v_add_f64 v[20:21], v[16:17], v[45:46]
	v_mul_f64 v[16:17], v[10:11], v[28:29]
	v_add_f64 v[22:23], v[22:23], v[18:19]
	v_fma_f64 v[16:17], v[8:9], v[26:27], -v[16:17]
	v_mul_f64 v[8:9], v[8:9], v[28:29]
	v_fma_f64 v[8:9], v[10:11], v[26:27], v[8:9]
	v_add_f64 v[26:27], v[12:13], v[16:17]
	v_add_f64 v[28:29], v[8:9], v[14:15]
	ds_read_b128 v[8:11], v25 offset:1536
	s_waitcnt lgkmcnt(0)
	v_mul_f64 v[12:13], v[6:7], v[10:11]
	v_mul_f64 v[14:15], v[4:5], v[10:11]
	v_fma_f64 v[12:13], v[4:5], v[8:9], -v[12:13]
	v_fma_f64 v[14:15], v[6:7], v[8:9], v[14:15]
	v_add_f64 v[16:17], v[0:1], v[12:13]
	v_add_f64 v[18:19], v[14:15], v[31:32]
	ds_read_b128 v[12:15], v25 offset:1792
	s_waitcnt lgkmcnt(0)
	v_mul_f64 v[0:1], v[6:7], v[14:15]
	v_fma_f64 v[0:1], v[4:5], v[12:13], -v[0:1]
	v_mul_f64 v[4:5], v[4:5], v[14:15]
	v_fma_f64 v[6:7], v[6:7], v[12:13], v[4:5]
	v_add_f64 v[4:5], v[33:34], v[0:1]
	ds_read_b128 v[31:34], v63 offset:8240
	s_waitcnt lgkmcnt(0)
	v_mul_f64 v[0:1], v[33:34], v[10:11]
	v_mul_f64 v[10:11], v[31:32], v[10:11]
	v_add_f64 v[6:7], v[6:7], v[43:44]
	v_fma_f64 v[0:1], v[31:32], v[8:9], -v[0:1]
	v_fma_f64 v[8:9], v[33:34], v[8:9], v[10:11]
	v_mul_f64 v[10:11], v[31:32], v[14:15]
	v_add_f64 v[0:1], v[20:21], v[0:1]
	v_add_f64 v[43:44], v[8:9], v[22:23]
	v_mul_f64 v[8:9], v[33:34], v[14:15]
	v_fma_f64 v[10:11], v[33:34], v[12:13], v[10:11]
	v_fma_f64 v[8:9], v[31:32], v[12:13], -v[8:9]
	v_add_f64 v[33:34], v[10:11], v[28:29]
	v_add_f64 v[31:32], v[26:27], v[8:9]
	ds_read_b128 v[8:11], v63 offset:64
	ds_read_b128 v[12:15], v25 offset:2048
	;; [unrolled: 1-line block ×3, first 2 shown]
	s_waitcnt lgkmcnt(1)
	v_mul_f64 v[20:21], v[10:11], v[14:15]
	v_mul_f64 v[22:23], v[8:9], v[14:15]
	v_fma_f64 v[20:21], v[8:9], v[12:13], -v[20:21]
	v_fma_f64 v[22:23], v[10:11], v[12:13], v[22:23]
	v_add_f64 v[20:21], v[16:17], v[20:21]
	s_waitcnt lgkmcnt(0)
	v_mul_f64 v[16:17], v[10:11], v[28:29]
	v_add_f64 v[22:23], v[22:23], v[18:19]
	v_fma_f64 v[16:17], v[8:9], v[26:27], -v[16:17]
	v_mul_f64 v[8:9], v[8:9], v[28:29]
	v_add_f64 v[45:46], v[4:5], v[16:17]
	v_fma_f64 v[8:9], v[10:11], v[26:27], v[8:9]
	v_add_f64 v[47:48], v[8:9], v[6:7]
	ds_read_b128 v[4:7], v63 offset:8256
	s_waitcnt lgkmcnt(0)
	v_mul_f64 v[8:9], v[6:7], v[14:15]
	v_mul_f64 v[10:11], v[4:5], v[14:15]
	v_fma_f64 v[8:9], v[4:5], v[12:13], -v[8:9]
	v_fma_f64 v[10:11], v[6:7], v[12:13], v[10:11]
	v_add_f64 v[16:17], v[0:1], v[8:9]
	v_mul_f64 v[0:1], v[6:7], v[28:29]
	v_add_f64 v[18:19], v[10:11], v[43:44]
	ds_read_b128 v[55:58], v63 offset:80
	ds_read_b128 v[8:11], v25 offset:2560
	v_fma_f64 v[0:1], v[4:5], v[26:27], -v[0:1]
	v_mul_f64 v[4:5], v[4:5], v[28:29]
	v_add_f64 v[12:13], v[31:32], v[0:1]
	v_fma_f64 v[4:5], v[6:7], v[26:27], v[4:5]
	s_waitcnt lgkmcnt(0)
	v_mul_f64 v[0:1], v[57:58], v[10:11]
	v_add_f64 v[14:15], v[4:5], v[33:34]
	v_mul_f64 v[4:5], v[55:56], v[10:11]
	v_fma_f64 v[0:1], v[55:56], v[8:9], -v[0:1]
	v_fma_f64 v[4:5], v[57:58], v[8:9], v[4:5]
	v_add_f64 v[26:27], v[20:21], v[0:1]
	v_add_f64 v[31:32], v[4:5], v[22:23]
	ds_read_b128 v[4:7], v25 offset:2816
	s_waitcnt lgkmcnt(0)
	v_mul_f64 v[0:1], v[57:58], v[6:7]
	v_mul_f64 v[20:21], v[55:56], v[6:7]
	v_fma_f64 v[0:1], v[55:56], v[4:5], -v[0:1]
	v_fma_f64 v[22:23], v[57:58], v[4:5], v[20:21]
	ds_read_b128 v[55:58], v63 offset:8272
	v_add_f64 v[20:21], v[45:46], v[0:1]
	s_waitcnt lgkmcnt(0)
	v_mul_f64 v[0:1], v[57:58], v[10:11]
	v_mul_f64 v[10:11], v[55:56], v[10:11]
	v_add_f64 v[22:23], v[22:23], v[47:48]
	v_fma_f64 v[0:1], v[55:56], v[8:9], -v[0:1]
	v_fma_f64 v[8:9], v[57:58], v[8:9], v[10:11]
	v_add_f64 v[0:1], v[16:17], v[0:1]
	v_add_f64 v[28:29], v[8:9], v[18:19]
	v_mul_f64 v[8:9], v[57:58], v[6:7]
	v_mul_f64 v[6:7], v[55:56], v[6:7]
	v_fma_f64 v[8:9], v[55:56], v[4:5], -v[8:9]
	v_fma_f64 v[4:5], v[57:58], v[4:5], v[6:7]
	v_add_f64 v[33:34], v[12:13], v[8:9]
	v_add_f64 v[43:44], v[4:5], v[14:15]
	ds_read_b128 v[8:11], v63 offset:96
	ds_read_b128 v[12:15], v25 offset:3072
	;; [unrolled: 1-line block ×3, first 2 shown]
	s_waitcnt lgkmcnt(1)
	v_mul_f64 v[4:5], v[10:11], v[14:15]
	v_mul_f64 v[6:7], v[8:9], v[14:15]
	v_fma_f64 v[4:5], v[8:9], v[12:13], -v[4:5]
	v_fma_f64 v[6:7], v[10:11], v[12:13], v[6:7]
	v_add_f64 v[4:5], v[26:27], v[4:5]
	s_waitcnt lgkmcnt(0)
	v_mul_f64 v[26:27], v[10:11], v[18:19]
	v_add_f64 v[6:7], v[6:7], v[31:32]
	v_fma_f64 v[26:27], v[8:9], v[16:17], -v[26:27]
	v_mul_f64 v[8:9], v[8:9], v[18:19]
	v_add_f64 v[45:46], v[20:21], v[26:27]
	v_fma_f64 v[8:9], v[10:11], v[16:17], v[8:9]
	v_add_f64 v[47:48], v[8:9], v[22:23]
	ds_read_b128 v[8:11], v63 offset:8288
	s_waitcnt lgkmcnt(0)
	v_mul_f64 v[20:21], v[10:11], v[14:15]
	v_mul_f64 v[14:15], v[8:9], v[14:15]
	v_fma_f64 v[20:21], v[8:9], v[12:13], -v[20:21]
	v_fma_f64 v[12:13], v[10:11], v[12:13], v[14:15]
	v_add_f64 v[20:21], v[0:1], v[20:21]
	v_mul_f64 v[0:1], v[10:11], v[18:19]
	v_add_f64 v[22:23], v[12:13], v[28:29]
	v_fma_f64 v[0:1], v[8:9], v[16:17], -v[0:1]
	v_mul_f64 v[8:9], v[8:9], v[18:19]
	v_fma_f64 v[8:9], v[10:11], v[16:17], v[8:9]
	v_add_f64 v[16:17], v[33:34], v[0:1]
	v_add_f64 v[18:19], v[8:9], v[43:44]
	ds_read_b128 v[12:15], v63 offset:112
	ds_read_b128 v[8:11], v25 offset:3584
	s_waitcnt lgkmcnt(0)
	v_mul_f64 v[0:1], v[14:15], v[10:11]
	v_mul_f64 v[26:27], v[12:13], v[10:11]
	v_fma_f64 v[0:1], v[12:13], v[8:9], -v[0:1]
	v_fma_f64 v[28:29], v[14:15], v[8:9], v[26:27]
	v_add_f64 v[26:27], v[4:5], v[0:1]
	v_add_f64 v[31:32], v[28:29], v[6:7]
	ds_read_b128 v[4:7], v25 offset:3840
	s_waitcnt lgkmcnt(0)
	v_mul_f64 v[0:1], v[14:15], v[6:7]
	v_fma_f64 v[0:1], v[12:13], v[4:5], -v[0:1]
	v_mul_f64 v[12:13], v[12:13], v[6:7]
	v_add_f64 v[55:56], v[45:46], v[0:1]
	v_fma_f64 v[12:13], v[14:15], v[4:5], v[12:13]
	v_add_f64 v[57:58], v[12:13], v[47:48]
	ds_read_b128 v[12:15], v63 offset:8304
	s_waitcnt lgkmcnt(0)
	v_mul_f64 v[0:1], v[14:15], v[10:11]
	v_mul_f64 v[10:11], v[12:13], v[10:11]
	v_fma_f64 v[0:1], v[12:13], v[8:9], -v[0:1]
	v_fma_f64 v[8:9], v[14:15], v[8:9], v[10:11]
	v_add_f64 v[0:1], v[20:21], v[0:1]
	v_add_f64 v[22:23], v[8:9], v[22:23]
	v_mul_f64 v[8:9], v[14:15], v[6:7]
	v_mul_f64 v[6:7], v[12:13], v[6:7]
	v_fma_f64 v[8:9], v[12:13], v[4:5], -v[8:9]
	v_fma_f64 v[4:5], v[14:15], v[4:5], v[6:7]
	v_add_f64 v[28:29], v[16:17], v[8:9]
	v_add_f64 v[33:34], v[4:5], v[18:19]
	ds_read_b128 v[8:11], v63 offset:128
	ds_read_b128 v[12:15], v25 offset:4096
	;; [unrolled: 1-line block ×3, first 2 shown]
	s_waitcnt lgkmcnt(1)
	v_mul_f64 v[4:5], v[10:11], v[14:15]
	s_waitcnt lgkmcnt(0)
	v_mul_f64 v[20:21], v[10:11], v[18:19]
	v_mul_f64 v[6:7], v[8:9], v[14:15]
	v_fma_f64 v[4:5], v[8:9], v[12:13], -v[4:5]
	v_fma_f64 v[20:21], v[8:9], v[16:17], -v[20:21]
	v_mul_f64 v[8:9], v[8:9], v[18:19]
	v_fma_f64 v[6:7], v[10:11], v[12:13], v[6:7]
	v_add_f64 v[4:5], v[26:27], v[4:5]
	v_add_f64 v[43:44], v[55:56], v[20:21]
	v_fma_f64 v[8:9], v[10:11], v[16:17], v[8:9]
	v_add_f64 v[6:7], v[6:7], v[31:32]
	v_add_f64 v[45:46], v[8:9], v[57:58]
	ds_read_b128 v[8:11], v63 offset:8320
	s_waitcnt lgkmcnt(0)
	v_mul_f64 v[20:21], v[10:11], v[14:15]
	v_mul_f64 v[14:15], v[8:9], v[14:15]
	v_fma_f64 v[20:21], v[8:9], v[12:13], -v[20:21]
	v_fma_f64 v[12:13], v[10:11], v[12:13], v[14:15]
	v_add_f64 v[20:21], v[0:1], v[20:21]
	v_mul_f64 v[0:1], v[10:11], v[18:19]
	v_add_f64 v[22:23], v[12:13], v[22:23]
	v_fma_f64 v[0:1], v[8:9], v[16:17], -v[0:1]
	v_mul_f64 v[8:9], v[8:9], v[18:19]
	v_fma_f64 v[8:9], v[10:11], v[16:17], v[8:9]
	v_add_f64 v[16:17], v[28:29], v[0:1]
	v_add_f64 v[18:19], v[8:9], v[33:34]
	ds_read_b128 v[12:15], v63 offset:144
	ds_read_b128 v[8:11], v25 offset:4608
	s_waitcnt lgkmcnt(0)
	v_mul_f64 v[0:1], v[14:15], v[10:11]
	v_mul_f64 v[26:27], v[12:13], v[10:11]
	v_fma_f64 v[0:1], v[12:13], v[8:9], -v[0:1]
	v_fma_f64 v[28:29], v[14:15], v[8:9], v[26:27]
	v_add_f64 v[26:27], v[4:5], v[0:1]
	v_add_f64 v[31:32], v[28:29], v[6:7]
	ds_read_b128 v[4:7], v25 offset:4864
	s_waitcnt lgkmcnt(0)
	v_mul_f64 v[0:1], v[14:15], v[6:7]
	v_fma_f64 v[0:1], v[12:13], v[4:5], -v[0:1]
	v_mul_f64 v[12:13], v[12:13], v[6:7]
	v_add_f64 v[55:56], v[43:44], v[0:1]
	v_fma_f64 v[12:13], v[14:15], v[4:5], v[12:13]
	v_add_f64 v[57:58], v[12:13], v[45:46]
	ds_read_b128 v[12:15], v63 offset:8336
	s_waitcnt lgkmcnt(0)
	v_mul_f64 v[0:1], v[14:15], v[10:11]
	v_mul_f64 v[10:11], v[12:13], v[10:11]
	v_fma_f64 v[0:1], v[12:13], v[8:9], -v[0:1]
	v_fma_f64 v[8:9], v[14:15], v[8:9], v[10:11]
	v_add_f64 v[0:1], v[20:21], v[0:1]
	v_add_f64 v[22:23], v[8:9], v[22:23]
	v_mul_f64 v[8:9], v[14:15], v[6:7]
	v_mul_f64 v[6:7], v[12:13], v[6:7]
	v_fma_f64 v[8:9], v[12:13], v[4:5], -v[8:9]
	v_fma_f64 v[4:5], v[14:15], v[4:5], v[6:7]
	v_add_f64 v[28:29], v[16:17], v[8:9]
	v_add_f64 v[33:34], v[4:5], v[18:19]
	ds_read_b128 v[8:11], v63 offset:160
	ds_read_b128 v[12:15], v25 offset:5120
	;; [unrolled: 1-line block ×3, first 2 shown]
	s_waitcnt lgkmcnt(1)
	v_mul_f64 v[4:5], v[10:11], v[14:15]
	s_waitcnt lgkmcnt(0)
	v_mul_f64 v[20:21], v[10:11], v[18:19]
	v_mul_f64 v[6:7], v[8:9], v[14:15]
	v_fma_f64 v[4:5], v[8:9], v[12:13], -v[4:5]
	v_fma_f64 v[20:21], v[8:9], v[16:17], -v[20:21]
	v_mul_f64 v[8:9], v[8:9], v[18:19]
	v_fma_f64 v[6:7], v[10:11], v[12:13], v[6:7]
	v_add_f64 v[4:5], v[26:27], v[4:5]
	v_fma_f64 v[8:9], v[10:11], v[16:17], v[8:9]
	v_add_f64 v[6:7], v[6:7], v[31:32]
	v_add_f64 v[31:32], v[55:56], v[20:21]
	;; [unrolled: 1-line block ×3, first 2 shown]
	ds_read_b128 v[8:11], v63 offset:8352
	s_waitcnt lgkmcnt(0)
	v_mul_f64 v[20:21], v[10:11], v[14:15]
	v_mul_f64 v[14:15], v[8:9], v[14:15]
	v_fma_f64 v[20:21], v[8:9], v[12:13], -v[20:21]
	v_fma_f64 v[12:13], v[10:11], v[12:13], v[14:15]
	v_add_f64 v[20:21], v[0:1], v[20:21]
	v_mul_f64 v[0:1], v[10:11], v[18:19]
	v_add_f64 v[22:23], v[12:13], v[22:23]
	v_fma_f64 v[0:1], v[8:9], v[16:17], -v[0:1]
	v_mul_f64 v[8:9], v[8:9], v[18:19]
	v_fma_f64 v[8:9], v[10:11], v[16:17], v[8:9]
	v_add_f64 v[16:17], v[28:29], v[0:1]
	v_add_f64 v[18:19], v[8:9], v[33:34]
	ds_read_b128 v[12:15], v63 offset:176
	ds_read_b128 v[8:11], v25 offset:5632
	s_waitcnt lgkmcnt(0)
	v_mul_f64 v[0:1], v[14:15], v[10:11]
	v_mul_f64 v[26:27], v[12:13], v[10:11]
	v_fma_f64 v[0:1], v[12:13], v[8:9], -v[0:1]
	v_fma_f64 v[28:29], v[14:15], v[8:9], v[26:27]
	v_add_f64 v[26:27], v[4:5], v[0:1]
	v_add_f64 v[28:29], v[28:29], v[6:7]
	ds_read_b128 v[4:7], v25 offset:5888
	s_waitcnt lgkmcnt(0)
	v_mul_f64 v[0:1], v[14:15], v[6:7]
	v_fma_f64 v[0:1], v[12:13], v[4:5], -v[0:1]
	v_mul_f64 v[12:13], v[12:13], v[6:7]
	v_add_f64 v[55:56], v[31:32], v[0:1]
	v_fma_f64 v[12:13], v[14:15], v[4:5], v[12:13]
	v_add_f64 v[57:58], v[12:13], v[43:44]
	ds_read_b128 v[12:15], v63 offset:8368
	s_waitcnt lgkmcnt(0)
	v_mul_f64 v[0:1], v[14:15], v[10:11]
	v_mul_f64 v[10:11], v[12:13], v[10:11]
	v_fma_f64 v[0:1], v[12:13], v[8:9], -v[0:1]
	v_fma_f64 v[8:9], v[14:15], v[8:9], v[10:11]
	v_add_f64 v[0:1], v[20:21], v[0:1]
	v_add_f64 v[20:21], v[8:9], v[22:23]
	v_mul_f64 v[8:9], v[14:15], v[6:7]
	v_mul_f64 v[6:7], v[12:13], v[6:7]
	v_fma_f64 v[8:9], v[12:13], v[4:5], -v[8:9]
	v_fma_f64 v[4:5], v[14:15], v[4:5], v[6:7]
	v_add_f64 v[22:23], v[16:17], v[8:9]
	v_add_f64 v[31:32], v[4:5], v[18:19]
	ds_read_b128 v[4:7], v63 offset:192
	ds_read_b128 v[12:15], v25 offset:6144
	ds_read_b128 v[16:19], v25 offset:6400
	s_waitcnt lgkmcnt(1)
	v_mul_f64 v[8:9], v[6:7], v[14:15]
	v_mul_f64 v[10:11], v[4:5], v[14:15]
	v_fma_f64 v[8:9], v[4:5], v[12:13], -v[8:9]
	v_fma_f64 v[10:11], v[6:7], v[12:13], v[10:11]
	v_add_f64 v[8:9], v[26:27], v[8:9]
	s_waitcnt lgkmcnt(0)
	v_mul_f64 v[26:27], v[6:7], v[18:19]
	v_add_f64 v[10:11], v[10:11], v[28:29]
	v_fma_f64 v[26:27], v[4:5], v[16:17], -v[26:27]
	v_mul_f64 v[4:5], v[4:5], v[18:19]
	v_add_f64 v[28:29], v[55:56], v[26:27]
	v_fma_f64 v[4:5], v[6:7], v[16:17], v[4:5]
	v_add_f64 v[33:34], v[4:5], v[57:58]
	ds_read_b128 v[4:7], v63 offset:8384
	s_waitcnt lgkmcnt(0)
	v_mul_f64 v[26:27], v[6:7], v[14:15]
	v_mul_f64 v[14:15], v[4:5], v[14:15]
	v_fma_f64 v[26:27], v[4:5], v[12:13], -v[26:27]
	v_fma_f64 v[14:15], v[6:7], v[12:13], v[14:15]
	v_add_f64 v[12:13], v[0:1], v[26:27]
	v_mul_f64 v[0:1], v[6:7], v[18:19]
	v_add_f64 v[14:15], v[14:15], v[20:21]
	v_fma_f64 v[0:1], v[4:5], v[16:17], -v[0:1]
	v_mul_f64 v[4:5], v[4:5], v[18:19]
	v_fma_f64 v[4:5], v[6:7], v[16:17], v[4:5]
	v_add_f64 v[16:17], v[22:23], v[0:1]
	v_add_f64 v[18:19], v[4:5], v[31:32]
	ds_read_b128 v[20:23], v63 offset:208
	ds_read_b128 v[4:7], v25 offset:6656
	;; [unrolled: 1-line block ×3, first 2 shown]
	s_waitcnt lgkmcnt(1)
	v_mul_f64 v[0:1], v[22:23], v[6:7]
	v_mul_f64 v[26:27], v[20:21], v[6:7]
	v_fma_f64 v[0:1], v[20:21], v[4:5], -v[0:1]
	v_fma_f64 v[31:32], v[22:23], v[4:5], v[26:27]
	v_add_f64 v[26:27], v[8:9], v[0:1]
	v_add_f64 v[31:32], v[31:32], v[10:11]
	ds_read_b128 v[8:11], v25 offset:6912
	s_waitcnt lgkmcnt(0)
	v_mul_f64 v[0:1], v[22:23], v[10:11]
	v_fma_f64 v[0:1], v[20:21], v[8:9], -v[0:1]
	v_mul_f64 v[20:21], v[20:21], v[10:11]
	v_fma_f64 v[22:23], v[22:23], v[8:9], v[20:21]
	v_add_f64 v[20:21], v[28:29], v[0:1]
	v_mul_f64 v[0:1], v[57:58], v[6:7]
	v_mul_f64 v[6:7], v[55:56], v[6:7]
	v_add_f64 v[22:23], v[22:23], v[33:34]
	v_fma_f64 v[0:1], v[55:56], v[4:5], -v[0:1]
	v_fma_f64 v[4:5], v[57:58], v[4:5], v[6:7]
	v_mul_f64 v[6:7], v[55:56], v[10:11]
	v_add_f64 v[0:1], v[12:13], v[0:1]
	v_add_f64 v[33:34], v[4:5], v[14:15]
	v_mul_f64 v[4:5], v[57:58], v[10:11]
	v_fma_f64 v[6:7], v[57:58], v[8:9], v[6:7]
	v_fma_f64 v[4:5], v[55:56], v[8:9], -v[4:5]
	ds_read_b128 v[8:11], v63 offset:224
	ds_read_b128 v[12:15], v25 offset:7168
	v_add_f64 v[45:46], v[6:7], v[18:19]
	s_waitcnt lgkmcnt(0)
	v_mul_f64 v[6:7], v[8:9], v[14:15]
	v_add_f64 v[43:44], v[16:17], v[4:5]
	v_mul_f64 v[4:5], v[10:11], v[14:15]
	v_fma_f64 v[6:7], v[10:11], v[12:13], v[6:7]
	v_fma_f64 v[4:5], v[8:9], v[12:13], -v[4:5]
	v_add_f64 v[6:7], v[6:7], v[31:32]
	v_add_f64 v[4:5], v[26:27], v[4:5]
	ds_read_b128 v[26:29], v25 offset:7424
	s_waitcnt lgkmcnt(0)
	v_mul_f64 v[16:17], v[10:11], v[28:29]
	v_fma_f64 v[16:17], v[8:9], v[26:27], -v[16:17]
	v_mul_f64 v[8:9], v[8:9], v[28:29]
	v_add_f64 v[47:48], v[20:21], v[16:17]
	v_fma_f64 v[8:9], v[10:11], v[26:27], v[8:9]
	v_add_f64 v[55:56], v[8:9], v[22:23]
	ds_read_b128 v[8:11], v63 offset:8416
	s_waitcnt lgkmcnt(0)
	v_mul_f64 v[16:17], v[10:11], v[14:15]
	v_mul_f64 v[14:15], v[8:9], v[14:15]
	v_fma_f64 v[16:17], v[8:9], v[12:13], -v[16:17]
	v_fma_f64 v[12:13], v[10:11], v[12:13], v[14:15]
	v_add_f64 v[16:17], v[0:1], v[16:17]
	v_mul_f64 v[0:1], v[10:11], v[28:29]
	v_add_f64 v[18:19], v[12:13], v[33:34]
	v_fma_f64 v[0:1], v[8:9], v[26:27], -v[0:1]
	v_mul_f64 v[8:9], v[8:9], v[28:29]
	v_add_f64 v[12:13], v[43:44], v[0:1]
	v_fma_f64 v[8:9], v[10:11], v[26:27], v[8:9]
	v_add_f64 v[14:15], v[8:9], v[45:46]
	ds_read_b128 v[20:23], v63 offset:240
	ds_read_b128 v[8:11], v25 offset:7680
	s_waitcnt lgkmcnt(0)
	v_mul_f64 v[0:1], v[22:23], v[10:11]
	v_mul_f64 v[26:27], v[20:21], v[10:11]
	v_fma_f64 v[0:1], v[20:21], v[8:9], -v[0:1]
	v_fma_f64 v[28:29], v[22:23], v[8:9], v[26:27]
	v_add_f64 v[26:27], v[4:5], v[0:1]
	v_add_f64 v[31:32], v[28:29], v[6:7]
	ds_read_b128 v[4:7], v25 offset:7936
	s_waitcnt lgkmcnt(0)
	v_mul_f64 v[0:1], v[22:23], v[6:7]
	v_fma_f64 v[0:1], v[20:21], v[4:5], -v[0:1]
	v_mul_f64 v[20:21], v[20:21], v[6:7]
	v_fma_f64 v[22:23], v[22:23], v[4:5], v[20:21]
	v_add_f64 v[20:21], v[47:48], v[0:1]
	v_add_f64 v[22:23], v[22:23], v[55:56]
	ds_read_b128 v[55:58], v63 offset:8432
	s_waitcnt lgkmcnt(0)
	v_mul_f64 v[0:1], v[57:58], v[10:11]
	v_mul_f64 v[10:11], v[55:56], v[10:11]
	v_fma_f64 v[0:1], v[55:56], v[8:9], -v[0:1]
	v_fma_f64 v[8:9], v[57:58], v[8:9], v[10:11]
	v_add_f64 v[0:1], v[16:17], v[0:1]
	v_add_f64 v[28:29], v[8:9], v[18:19]
	v_mul_f64 v[8:9], v[57:58], v[6:7]
	v_mul_f64 v[6:7], v[55:56], v[6:7]
	v_fma_f64 v[8:9], v[55:56], v[4:5], -v[8:9]
	v_fma_f64 v[4:5], v[57:58], v[4:5], v[6:7]
	v_add_f64 v[33:34], v[12:13], v[8:9]
	v_add_f64 v[43:44], v[4:5], v[14:15]
	ds_read_b128 v[8:11], v63 offset:256
	ds_read_b128 v[12:15], v25 offset:8192
	;; [unrolled: 1-line block ×3, first 2 shown]
	s_waitcnt lgkmcnt(1)
	v_mul_f64 v[4:5], v[10:11], v[14:15]
	v_mul_f64 v[6:7], v[8:9], v[14:15]
	v_fma_f64 v[4:5], v[8:9], v[12:13], -v[4:5]
	v_fma_f64 v[6:7], v[10:11], v[12:13], v[6:7]
	v_add_f64 v[4:5], v[26:27], v[4:5]
	s_waitcnt lgkmcnt(0)
	v_mul_f64 v[26:27], v[10:11], v[18:19]
	v_add_f64 v[6:7], v[6:7], v[31:32]
	v_fma_f64 v[26:27], v[8:9], v[16:17], -v[26:27]
	v_mul_f64 v[8:9], v[8:9], v[18:19]
	v_add_f64 v[45:46], v[20:21], v[26:27]
	v_fma_f64 v[8:9], v[10:11], v[16:17], v[8:9]
	v_add_f64 v[47:48], v[8:9], v[22:23]
	ds_read_b128 v[8:11], v63 offset:8448
	s_waitcnt lgkmcnt(0)
	v_mul_f64 v[20:21], v[10:11], v[14:15]
	v_mul_f64 v[14:15], v[8:9], v[14:15]
	v_fma_f64 v[20:21], v[8:9], v[12:13], -v[20:21]
	v_fma_f64 v[12:13], v[10:11], v[12:13], v[14:15]
	v_add_f64 v[20:21], v[0:1], v[20:21]
	v_mul_f64 v[0:1], v[10:11], v[18:19]
	v_add_f64 v[22:23], v[12:13], v[28:29]
	v_fma_f64 v[0:1], v[8:9], v[16:17], -v[0:1]
	v_mul_f64 v[8:9], v[8:9], v[18:19]
	v_fma_f64 v[8:9], v[10:11], v[16:17], v[8:9]
	v_add_f64 v[16:17], v[33:34], v[0:1]
	v_add_f64 v[18:19], v[8:9], v[43:44]
	ds_read_b128 v[12:15], v63 offset:272
	ds_read_b128 v[8:11], v25 offset:8704
	s_waitcnt lgkmcnt(0)
	v_mul_f64 v[0:1], v[14:15], v[10:11]
	v_mul_f64 v[26:27], v[12:13], v[10:11]
	v_fma_f64 v[0:1], v[12:13], v[8:9], -v[0:1]
	v_fma_f64 v[28:29], v[14:15], v[8:9], v[26:27]
	v_add_f64 v[26:27], v[4:5], v[0:1]
	v_add_f64 v[31:32], v[28:29], v[6:7]
	ds_read_b128 v[4:7], v25 offset:8960
	s_waitcnt lgkmcnt(0)
	v_mul_f64 v[0:1], v[14:15], v[6:7]
	v_fma_f64 v[0:1], v[12:13], v[4:5], -v[0:1]
	v_mul_f64 v[12:13], v[12:13], v[6:7]
	v_add_f64 v[55:56], v[45:46], v[0:1]
	v_fma_f64 v[12:13], v[14:15], v[4:5], v[12:13]
	v_add_f64 v[57:58], v[12:13], v[47:48]
	ds_read_b128 v[12:15], v63 offset:8464
	s_waitcnt lgkmcnt(0)
	v_mul_f64 v[0:1], v[14:15], v[10:11]
	v_mul_f64 v[10:11], v[12:13], v[10:11]
	v_fma_f64 v[0:1], v[12:13], v[8:9], -v[0:1]
	v_fma_f64 v[8:9], v[14:15], v[8:9], v[10:11]
	v_add_f64 v[0:1], v[20:21], v[0:1]
	v_add_f64 v[22:23], v[8:9], v[22:23]
	v_mul_f64 v[8:9], v[14:15], v[6:7]
	v_mul_f64 v[6:7], v[12:13], v[6:7]
	v_fma_f64 v[8:9], v[12:13], v[4:5], -v[8:9]
	v_fma_f64 v[4:5], v[14:15], v[4:5], v[6:7]
	v_add_f64 v[28:29], v[16:17], v[8:9]
	v_add_f64 v[33:34], v[4:5], v[18:19]
	ds_read_b128 v[8:11], v63 offset:288
	ds_read_b128 v[12:15], v25 offset:9216
	;; [unrolled: 1-line block ×3, first 2 shown]
	s_waitcnt lgkmcnt(1)
	v_mul_f64 v[4:5], v[10:11], v[14:15]
	s_waitcnt lgkmcnt(0)
	v_mul_f64 v[20:21], v[10:11], v[18:19]
	v_mul_f64 v[6:7], v[8:9], v[14:15]
	v_fma_f64 v[4:5], v[8:9], v[12:13], -v[4:5]
	v_fma_f64 v[20:21], v[8:9], v[16:17], -v[20:21]
	v_mul_f64 v[8:9], v[8:9], v[18:19]
	v_fma_f64 v[6:7], v[10:11], v[12:13], v[6:7]
	v_add_f64 v[4:5], v[26:27], v[4:5]
	v_add_f64 v[43:44], v[55:56], v[20:21]
	v_fma_f64 v[8:9], v[10:11], v[16:17], v[8:9]
	v_add_f64 v[6:7], v[6:7], v[31:32]
	v_add_f64 v[45:46], v[8:9], v[57:58]
	ds_read_b128 v[8:11], v63 offset:8480
	s_waitcnt lgkmcnt(0)
	v_mul_f64 v[20:21], v[10:11], v[14:15]
	v_mul_f64 v[14:15], v[8:9], v[14:15]
	v_fma_f64 v[20:21], v[8:9], v[12:13], -v[20:21]
	v_fma_f64 v[12:13], v[10:11], v[12:13], v[14:15]
	v_add_f64 v[20:21], v[0:1], v[20:21]
	v_mul_f64 v[0:1], v[10:11], v[18:19]
	v_add_f64 v[22:23], v[12:13], v[22:23]
	v_fma_f64 v[0:1], v[8:9], v[16:17], -v[0:1]
	v_mul_f64 v[8:9], v[8:9], v[18:19]
	v_fma_f64 v[8:9], v[10:11], v[16:17], v[8:9]
	v_add_f64 v[16:17], v[28:29], v[0:1]
	v_add_f64 v[18:19], v[8:9], v[33:34]
	ds_read_b128 v[12:15], v63 offset:304
	ds_read_b128 v[8:11], v25 offset:9728
	s_waitcnt lgkmcnt(0)
	v_mul_f64 v[0:1], v[14:15], v[10:11]
	v_mul_f64 v[26:27], v[12:13], v[10:11]
	v_fma_f64 v[0:1], v[12:13], v[8:9], -v[0:1]
	v_fma_f64 v[28:29], v[14:15], v[8:9], v[26:27]
	v_add_f64 v[26:27], v[4:5], v[0:1]
	v_add_f64 v[31:32], v[28:29], v[6:7]
	ds_read_b128 v[4:7], v25 offset:9984
	s_waitcnt lgkmcnt(0)
	v_mul_f64 v[0:1], v[14:15], v[6:7]
	v_fma_f64 v[0:1], v[12:13], v[4:5], -v[0:1]
	v_mul_f64 v[12:13], v[12:13], v[6:7]
	v_add_f64 v[55:56], v[43:44], v[0:1]
	v_fma_f64 v[12:13], v[14:15], v[4:5], v[12:13]
	v_add_f64 v[57:58], v[12:13], v[45:46]
	ds_read_b128 v[12:15], v63 offset:8496
	s_waitcnt lgkmcnt(0)
	v_mul_f64 v[0:1], v[14:15], v[10:11]
	v_mul_f64 v[10:11], v[12:13], v[10:11]
	v_fma_f64 v[0:1], v[12:13], v[8:9], -v[0:1]
	v_fma_f64 v[8:9], v[14:15], v[8:9], v[10:11]
	v_add_f64 v[0:1], v[20:21], v[0:1]
	v_add_f64 v[22:23], v[8:9], v[22:23]
	v_mul_f64 v[8:9], v[14:15], v[6:7]
	v_mul_f64 v[6:7], v[12:13], v[6:7]
	v_fma_f64 v[8:9], v[12:13], v[4:5], -v[8:9]
	v_fma_f64 v[4:5], v[14:15], v[4:5], v[6:7]
	v_add_f64 v[28:29], v[16:17], v[8:9]
	v_add_f64 v[33:34], v[4:5], v[18:19]
	ds_read_b128 v[8:11], v63 offset:320
	ds_read_b128 v[12:15], v25 offset:10240
	;; [unrolled: 1-line block ×3, first 2 shown]
	s_waitcnt lgkmcnt(1)
	v_mul_f64 v[4:5], v[10:11], v[14:15]
	s_waitcnt lgkmcnt(0)
	v_mul_f64 v[20:21], v[10:11], v[18:19]
	v_mul_f64 v[6:7], v[8:9], v[14:15]
	v_fma_f64 v[4:5], v[8:9], v[12:13], -v[4:5]
	v_fma_f64 v[20:21], v[8:9], v[16:17], -v[20:21]
	v_mul_f64 v[8:9], v[8:9], v[18:19]
	v_fma_f64 v[6:7], v[10:11], v[12:13], v[6:7]
	v_add_f64 v[4:5], v[26:27], v[4:5]
	v_fma_f64 v[8:9], v[10:11], v[16:17], v[8:9]
	v_add_f64 v[6:7], v[6:7], v[31:32]
	v_add_f64 v[31:32], v[55:56], v[20:21]
	;; [unrolled: 1-line block ×3, first 2 shown]
	ds_read_b128 v[8:11], v63 offset:8512
	s_waitcnt lgkmcnt(0)
	v_mul_f64 v[20:21], v[10:11], v[14:15]
	v_mul_f64 v[14:15], v[8:9], v[14:15]
	v_fma_f64 v[20:21], v[8:9], v[12:13], -v[20:21]
	v_fma_f64 v[12:13], v[10:11], v[12:13], v[14:15]
	v_add_f64 v[20:21], v[0:1], v[20:21]
	v_mul_f64 v[0:1], v[10:11], v[18:19]
	v_add_f64 v[22:23], v[12:13], v[22:23]
	v_fma_f64 v[0:1], v[8:9], v[16:17], -v[0:1]
	v_mul_f64 v[8:9], v[8:9], v[18:19]
	v_fma_f64 v[8:9], v[10:11], v[16:17], v[8:9]
	v_add_f64 v[16:17], v[28:29], v[0:1]
	v_add_f64 v[18:19], v[8:9], v[33:34]
	ds_read_b128 v[12:15], v63 offset:336
	ds_read_b128 v[8:11], v25 offset:10752
	s_waitcnt lgkmcnt(0)
	v_mul_f64 v[0:1], v[14:15], v[10:11]
	v_mul_f64 v[26:27], v[12:13], v[10:11]
	v_fma_f64 v[0:1], v[12:13], v[8:9], -v[0:1]
	v_fma_f64 v[28:29], v[14:15], v[8:9], v[26:27]
	v_add_f64 v[26:27], v[4:5], v[0:1]
	v_add_f64 v[28:29], v[28:29], v[6:7]
	ds_read_b128 v[4:7], v25 offset:11008
	s_waitcnt lgkmcnt(0)
	v_mul_f64 v[0:1], v[14:15], v[6:7]
	v_fma_f64 v[0:1], v[12:13], v[4:5], -v[0:1]
	v_mul_f64 v[12:13], v[12:13], v[6:7]
	v_add_f64 v[55:56], v[31:32], v[0:1]
	v_fma_f64 v[12:13], v[14:15], v[4:5], v[12:13]
	v_add_f64 v[57:58], v[12:13], v[43:44]
	ds_read_b128 v[12:15], v63 offset:8528
	s_waitcnt lgkmcnt(0)
	v_mul_f64 v[0:1], v[14:15], v[10:11]
	v_mul_f64 v[10:11], v[12:13], v[10:11]
	v_fma_f64 v[0:1], v[12:13], v[8:9], -v[0:1]
	v_fma_f64 v[8:9], v[14:15], v[8:9], v[10:11]
	v_add_f64 v[0:1], v[20:21], v[0:1]
	v_add_f64 v[20:21], v[8:9], v[22:23]
	v_mul_f64 v[8:9], v[14:15], v[6:7]
	v_mul_f64 v[6:7], v[12:13], v[6:7]
	v_fma_f64 v[8:9], v[12:13], v[4:5], -v[8:9]
	v_fma_f64 v[4:5], v[14:15], v[4:5], v[6:7]
	v_add_f64 v[22:23], v[16:17], v[8:9]
	v_add_f64 v[31:32], v[4:5], v[18:19]
	ds_read_b128 v[4:7], v63 offset:352
	ds_read_b128 v[12:15], v25 offset:11264
	;; [unrolled: 1-line block ×3, first 2 shown]
	s_waitcnt lgkmcnt(1)
	v_mul_f64 v[8:9], v[6:7], v[14:15]
	v_mul_f64 v[10:11], v[4:5], v[14:15]
	v_fma_f64 v[8:9], v[4:5], v[12:13], -v[8:9]
	v_fma_f64 v[10:11], v[6:7], v[12:13], v[10:11]
	v_add_f64 v[8:9], v[26:27], v[8:9]
	s_waitcnt lgkmcnt(0)
	v_mul_f64 v[26:27], v[6:7], v[18:19]
	v_add_f64 v[10:11], v[10:11], v[28:29]
	v_fma_f64 v[26:27], v[4:5], v[16:17], -v[26:27]
	v_mul_f64 v[4:5], v[4:5], v[18:19]
	v_add_f64 v[28:29], v[55:56], v[26:27]
	v_fma_f64 v[4:5], v[6:7], v[16:17], v[4:5]
	v_add_f64 v[33:34], v[4:5], v[57:58]
	ds_read_b128 v[4:7], v63 offset:8544
	s_waitcnt lgkmcnt(0)
	v_mul_f64 v[26:27], v[6:7], v[14:15]
	v_mul_f64 v[14:15], v[4:5], v[14:15]
	v_fma_f64 v[26:27], v[4:5], v[12:13], -v[26:27]
	v_fma_f64 v[14:15], v[6:7], v[12:13], v[14:15]
	v_add_f64 v[12:13], v[0:1], v[26:27]
	v_mul_f64 v[0:1], v[6:7], v[18:19]
	v_add_f64 v[14:15], v[14:15], v[20:21]
	v_fma_f64 v[0:1], v[4:5], v[16:17], -v[0:1]
	v_mul_f64 v[4:5], v[4:5], v[18:19]
	v_fma_f64 v[4:5], v[6:7], v[16:17], v[4:5]
	v_add_f64 v[16:17], v[22:23], v[0:1]
	v_add_f64 v[18:19], v[4:5], v[31:32]
	ds_read_b128 v[20:23], v63 offset:368
	ds_read_b128 v[4:7], v25 offset:11776
	;; [unrolled: 1-line block ×3, first 2 shown]
	s_waitcnt lgkmcnt(1)
	v_mul_f64 v[0:1], v[22:23], v[6:7]
	v_mul_f64 v[26:27], v[20:21], v[6:7]
	v_fma_f64 v[0:1], v[20:21], v[4:5], -v[0:1]
	v_fma_f64 v[31:32], v[22:23], v[4:5], v[26:27]
	v_add_f64 v[26:27], v[8:9], v[0:1]
	v_add_f64 v[31:32], v[31:32], v[10:11]
	ds_read_b128 v[8:11], v25 offset:12032
	s_waitcnt lgkmcnt(0)
	v_mul_f64 v[0:1], v[22:23], v[10:11]
	v_fma_f64 v[0:1], v[20:21], v[8:9], -v[0:1]
	v_mul_f64 v[20:21], v[20:21], v[10:11]
	v_fma_f64 v[22:23], v[22:23], v[8:9], v[20:21]
	v_add_f64 v[20:21], v[28:29], v[0:1]
	v_mul_f64 v[0:1], v[57:58], v[6:7]
	v_mul_f64 v[6:7], v[55:56], v[6:7]
	v_add_f64 v[22:23], v[22:23], v[33:34]
	v_fma_f64 v[0:1], v[55:56], v[4:5], -v[0:1]
	v_fma_f64 v[4:5], v[57:58], v[4:5], v[6:7]
	v_mul_f64 v[6:7], v[55:56], v[10:11]
	v_add_f64 v[0:1], v[12:13], v[0:1]
	v_add_f64 v[33:34], v[4:5], v[14:15]
	v_mul_f64 v[4:5], v[57:58], v[10:11]
	v_fma_f64 v[6:7], v[57:58], v[8:9], v[6:7]
	v_fma_f64 v[4:5], v[55:56], v[8:9], -v[4:5]
	ds_read_b128 v[8:11], v63 offset:384
	ds_read_b128 v[12:15], v25 offset:12288
	v_add_f64 v[45:46], v[6:7], v[18:19]
	s_waitcnt lgkmcnt(0)
	v_mul_f64 v[6:7], v[8:9], v[14:15]
	v_add_f64 v[43:44], v[16:17], v[4:5]
	v_mul_f64 v[4:5], v[10:11], v[14:15]
	v_fma_f64 v[6:7], v[10:11], v[12:13], v[6:7]
	v_fma_f64 v[4:5], v[8:9], v[12:13], -v[4:5]
	v_add_f64 v[6:7], v[6:7], v[31:32]
	v_add_f64 v[4:5], v[26:27], v[4:5]
	ds_read_b128 v[26:29], v25 offset:12544
	s_waitcnt lgkmcnt(0)
	v_mul_f64 v[16:17], v[10:11], v[28:29]
	v_fma_f64 v[16:17], v[8:9], v[26:27], -v[16:17]
	v_mul_f64 v[8:9], v[8:9], v[28:29]
	v_add_f64 v[47:48], v[20:21], v[16:17]
	v_fma_f64 v[8:9], v[10:11], v[26:27], v[8:9]
	v_add_f64 v[55:56], v[8:9], v[22:23]
	ds_read_b128 v[8:11], v63 offset:8576
	s_waitcnt lgkmcnt(0)
	v_mul_f64 v[16:17], v[10:11], v[14:15]
	v_mul_f64 v[14:15], v[8:9], v[14:15]
	v_fma_f64 v[16:17], v[8:9], v[12:13], -v[16:17]
	v_fma_f64 v[12:13], v[10:11], v[12:13], v[14:15]
	v_add_f64 v[16:17], v[0:1], v[16:17]
	v_mul_f64 v[0:1], v[10:11], v[28:29]
	v_add_f64 v[18:19], v[12:13], v[33:34]
	v_fma_f64 v[0:1], v[8:9], v[26:27], -v[0:1]
	v_mul_f64 v[8:9], v[8:9], v[28:29]
	v_add_f64 v[12:13], v[43:44], v[0:1]
	v_fma_f64 v[8:9], v[10:11], v[26:27], v[8:9]
	v_add_f64 v[14:15], v[8:9], v[45:46]
	ds_read_b128 v[20:23], v63 offset:400
	ds_read_b128 v[8:11], v25 offset:12800
	s_waitcnt lgkmcnt(0)
	v_mul_f64 v[0:1], v[22:23], v[10:11]
	v_mul_f64 v[26:27], v[20:21], v[10:11]
	v_fma_f64 v[0:1], v[20:21], v[8:9], -v[0:1]
	v_fma_f64 v[28:29], v[22:23], v[8:9], v[26:27]
	v_add_f64 v[26:27], v[4:5], v[0:1]
	v_add_f64 v[31:32], v[28:29], v[6:7]
	ds_read_b128 v[4:7], v25 offset:13056
	s_waitcnt lgkmcnt(0)
	v_mul_f64 v[0:1], v[22:23], v[6:7]
	v_fma_f64 v[0:1], v[20:21], v[4:5], -v[0:1]
	v_mul_f64 v[20:21], v[20:21], v[6:7]
	v_fma_f64 v[22:23], v[22:23], v[4:5], v[20:21]
	v_add_f64 v[20:21], v[47:48], v[0:1]
	v_add_f64 v[22:23], v[22:23], v[55:56]
	ds_read_b128 v[55:58], v63 offset:8592
	s_waitcnt lgkmcnt(0)
	v_mul_f64 v[0:1], v[57:58], v[10:11]
	v_mul_f64 v[10:11], v[55:56], v[10:11]
	v_fma_f64 v[0:1], v[55:56], v[8:9], -v[0:1]
	v_fma_f64 v[8:9], v[57:58], v[8:9], v[10:11]
	v_add_f64 v[0:1], v[16:17], v[0:1]
	v_add_f64 v[28:29], v[8:9], v[18:19]
	v_mul_f64 v[8:9], v[57:58], v[6:7]
	v_mul_f64 v[6:7], v[55:56], v[6:7]
	v_fma_f64 v[8:9], v[55:56], v[4:5], -v[8:9]
	v_fma_f64 v[4:5], v[57:58], v[4:5], v[6:7]
	v_add_f64 v[33:34], v[12:13], v[8:9]
	v_add_f64 v[43:44], v[4:5], v[14:15]
	ds_read_b128 v[8:11], v63 offset:416
	ds_read_b128 v[12:15], v25 offset:13312
	;; [unrolled: 1-line block ×3, first 2 shown]
	s_waitcnt lgkmcnt(1)
	v_mul_f64 v[4:5], v[10:11], v[14:15]
	v_mul_f64 v[6:7], v[8:9], v[14:15]
	v_fma_f64 v[4:5], v[8:9], v[12:13], -v[4:5]
	v_fma_f64 v[6:7], v[10:11], v[12:13], v[6:7]
	v_add_f64 v[4:5], v[26:27], v[4:5]
	s_waitcnt lgkmcnt(0)
	v_mul_f64 v[26:27], v[10:11], v[18:19]
	v_add_f64 v[6:7], v[6:7], v[31:32]
	v_fma_f64 v[26:27], v[8:9], v[16:17], -v[26:27]
	v_mul_f64 v[8:9], v[8:9], v[18:19]
	v_add_f64 v[45:46], v[20:21], v[26:27]
	v_fma_f64 v[8:9], v[10:11], v[16:17], v[8:9]
	v_add_f64 v[47:48], v[8:9], v[22:23]
	ds_read_b128 v[8:11], v63 offset:8608
	s_waitcnt lgkmcnt(0)
	v_mul_f64 v[20:21], v[10:11], v[14:15]
	v_mul_f64 v[14:15], v[8:9], v[14:15]
	v_fma_f64 v[20:21], v[8:9], v[12:13], -v[20:21]
	v_fma_f64 v[12:13], v[10:11], v[12:13], v[14:15]
	v_add_f64 v[20:21], v[0:1], v[20:21]
	v_mul_f64 v[0:1], v[10:11], v[18:19]
	v_add_f64 v[22:23], v[12:13], v[28:29]
	v_fma_f64 v[0:1], v[8:9], v[16:17], -v[0:1]
	v_mul_f64 v[8:9], v[8:9], v[18:19]
	v_fma_f64 v[8:9], v[10:11], v[16:17], v[8:9]
	v_add_f64 v[16:17], v[33:34], v[0:1]
	v_add_f64 v[18:19], v[8:9], v[43:44]
	ds_read_b128 v[12:15], v63 offset:432
	ds_read_b128 v[8:11], v25 offset:13824
	s_waitcnt lgkmcnt(0)
	v_mul_f64 v[0:1], v[14:15], v[10:11]
	v_mul_f64 v[26:27], v[12:13], v[10:11]
	v_fma_f64 v[0:1], v[12:13], v[8:9], -v[0:1]
	v_fma_f64 v[28:29], v[14:15], v[8:9], v[26:27]
	v_add_f64 v[26:27], v[4:5], v[0:1]
	v_add_f64 v[31:32], v[28:29], v[6:7]
	ds_read_b128 v[4:7], v25 offset:14080
	s_waitcnt lgkmcnt(0)
	v_mul_f64 v[0:1], v[14:15], v[6:7]
	v_fma_f64 v[0:1], v[12:13], v[4:5], -v[0:1]
	v_mul_f64 v[12:13], v[12:13], v[6:7]
	v_add_f64 v[55:56], v[45:46], v[0:1]
	v_fma_f64 v[12:13], v[14:15], v[4:5], v[12:13]
	v_add_f64 v[57:58], v[12:13], v[47:48]
	ds_read_b128 v[12:15], v63 offset:8624
	s_waitcnt lgkmcnt(0)
	v_mul_f64 v[0:1], v[14:15], v[10:11]
	v_mul_f64 v[10:11], v[12:13], v[10:11]
	v_fma_f64 v[0:1], v[12:13], v[8:9], -v[0:1]
	v_fma_f64 v[8:9], v[14:15], v[8:9], v[10:11]
	v_add_f64 v[0:1], v[20:21], v[0:1]
	v_add_f64 v[22:23], v[8:9], v[22:23]
	v_mul_f64 v[8:9], v[14:15], v[6:7]
	v_mul_f64 v[6:7], v[12:13], v[6:7]
	v_fma_f64 v[8:9], v[12:13], v[4:5], -v[8:9]
	v_fma_f64 v[4:5], v[14:15], v[4:5], v[6:7]
	v_add_f64 v[28:29], v[16:17], v[8:9]
	v_add_f64 v[33:34], v[4:5], v[18:19]
	ds_read_b128 v[8:11], v63 offset:448
	ds_read_b128 v[12:15], v25 offset:14336
	;; [unrolled: 1-line block ×3, first 2 shown]
	s_waitcnt lgkmcnt(1)
	v_mul_f64 v[4:5], v[10:11], v[14:15]
	s_waitcnt lgkmcnt(0)
	v_mul_f64 v[20:21], v[10:11], v[18:19]
	v_mul_f64 v[6:7], v[8:9], v[14:15]
	v_fma_f64 v[4:5], v[8:9], v[12:13], -v[4:5]
	v_fma_f64 v[20:21], v[8:9], v[16:17], -v[20:21]
	v_mul_f64 v[8:9], v[8:9], v[18:19]
	v_fma_f64 v[6:7], v[10:11], v[12:13], v[6:7]
	v_add_f64 v[4:5], v[26:27], v[4:5]
	v_add_f64 v[43:44], v[55:56], v[20:21]
	v_fma_f64 v[8:9], v[10:11], v[16:17], v[8:9]
	v_add_f64 v[6:7], v[6:7], v[31:32]
	v_add_f64 v[45:46], v[8:9], v[57:58]
	ds_read_b128 v[8:11], v63 offset:8640
	s_waitcnt lgkmcnt(0)
	v_mul_f64 v[20:21], v[10:11], v[14:15]
	v_mul_f64 v[14:15], v[8:9], v[14:15]
	v_fma_f64 v[20:21], v[8:9], v[12:13], -v[20:21]
	v_fma_f64 v[12:13], v[10:11], v[12:13], v[14:15]
	v_add_f64 v[20:21], v[0:1], v[20:21]
	v_mul_f64 v[0:1], v[10:11], v[18:19]
	v_add_f64 v[22:23], v[12:13], v[22:23]
	v_fma_f64 v[0:1], v[8:9], v[16:17], -v[0:1]
	v_mul_f64 v[8:9], v[8:9], v[18:19]
	v_fma_f64 v[8:9], v[10:11], v[16:17], v[8:9]
	v_add_f64 v[16:17], v[28:29], v[0:1]
	v_add_f64 v[18:19], v[8:9], v[33:34]
	ds_read_b128 v[12:15], v63 offset:464
	ds_read_b128 v[8:11], v25 offset:14848
	s_waitcnt lgkmcnt(0)
	v_mul_f64 v[0:1], v[14:15], v[10:11]
	v_mul_f64 v[26:27], v[12:13], v[10:11]
	v_fma_f64 v[0:1], v[12:13], v[8:9], -v[0:1]
	v_fma_f64 v[28:29], v[14:15], v[8:9], v[26:27]
	v_add_f64 v[26:27], v[4:5], v[0:1]
	v_add_f64 v[31:32], v[28:29], v[6:7]
	ds_read_b128 v[4:7], v25 offset:15104
	s_waitcnt lgkmcnt(0)
	v_mul_f64 v[0:1], v[14:15], v[6:7]
	v_fma_f64 v[0:1], v[12:13], v[4:5], -v[0:1]
	v_mul_f64 v[12:13], v[12:13], v[6:7]
	v_add_f64 v[55:56], v[43:44], v[0:1]
	v_fma_f64 v[12:13], v[14:15], v[4:5], v[12:13]
	v_add_f64 v[57:58], v[12:13], v[45:46]
	ds_read_b128 v[12:15], v63 offset:8656
	s_waitcnt lgkmcnt(0)
	v_mul_f64 v[0:1], v[14:15], v[10:11]
	v_mul_f64 v[10:11], v[12:13], v[10:11]
	v_fma_f64 v[0:1], v[12:13], v[8:9], -v[0:1]
	v_fma_f64 v[8:9], v[14:15], v[8:9], v[10:11]
	v_add_f64 v[0:1], v[20:21], v[0:1]
	v_add_f64 v[20:21], v[8:9], v[22:23]
	v_mul_f64 v[8:9], v[14:15], v[6:7]
	v_mul_f64 v[6:7], v[12:13], v[6:7]
	v_fma_f64 v[8:9], v[12:13], v[4:5], -v[8:9]
	v_fma_f64 v[4:5], v[14:15], v[4:5], v[6:7]
	v_add_f64 v[22:23], v[16:17], v[8:9]
	ds_read_b128 v[8:11], v63 offset:480
	ds_read_b128 v[12:15], v25 offset:15360
	v_add_f64 v[28:29], v[4:5], v[18:19]
	ds_read_b128 v[16:19], v25 offset:15616
	s_waitcnt lgkmcnt(1)
	v_mul_f64 v[4:5], v[10:11], v[14:15]
	v_mul_f64 v[6:7], v[8:9], v[14:15]
	v_fma_f64 v[4:5], v[8:9], v[12:13], -v[4:5]
	v_fma_f64 v[6:7], v[10:11], v[12:13], v[6:7]
	v_add_f64 v[4:5], v[26:27], v[4:5]
	s_waitcnt lgkmcnt(0)
	v_mul_f64 v[26:27], v[10:11], v[18:19]
	v_add_f64 v[6:7], v[6:7], v[31:32]
	v_fma_f64 v[26:27], v[8:9], v[16:17], -v[26:27]
	v_mul_f64 v[8:9], v[8:9], v[18:19]
	v_add_f64 v[26:27], v[55:56], v[26:27]
	v_fma_f64 v[8:9], v[10:11], v[16:17], v[8:9]
	v_add_f64 v[31:32], v[8:9], v[57:58]
	ds_read_b128 v[8:11], v63 offset:8672
	s_waitcnt lgkmcnt(0)
	v_mul_f64 v[33:34], v[10:11], v[14:15]
	v_mul_f64 v[14:15], v[8:9], v[14:15]
	v_fma_f64 v[33:34], v[8:9], v[12:13], -v[33:34]
	v_fma_f64 v[12:13], v[10:11], v[12:13], v[14:15]
	v_add_f64 v[59:60], v[0:1], v[33:34]
	v_mul_f64 v[0:1], v[10:11], v[18:19]
	v_add_f64 v[61:62], v[12:13], v[20:21]
	v_fma_f64 v[0:1], v[8:9], v[16:17], -v[0:1]
	v_mul_f64 v[8:9], v[8:9], v[18:19]
	v_add_f64 v[20:21], v[22:23], v[0:1]
	v_fma_f64 v[8:9], v[10:11], v[16:17], v[8:9]
	v_add_f64 v[22:23], v[8:9], v[28:29]
	ds_read_b128 v[12:15], v63 offset:496
	ds_read_b128 v[8:11], v25 offset:15872
	s_waitcnt lgkmcnt(0)
	v_mul_f64 v[0:1], v[14:15], v[10:11]
	v_mul_f64 v[16:17], v[12:13], v[10:11]
	v_fma_f64 v[0:1], v[12:13], v[8:9], -v[0:1]
	v_fma_f64 v[16:17], v[14:15], v[8:9], v[16:17]
	v_add_f64 v[55:56], v[4:5], v[0:1]
	v_add_f64 v[57:58], v[16:17], v[6:7]
	ds_read_b128 v[4:7], v25 offset:16128
	s_waitcnt lgkmcnt(0)
	v_mul_f64 v[0:1], v[14:15], v[6:7]
	v_fma_f64 v[0:1], v[12:13], v[4:5], -v[0:1]
	v_mul_f64 v[12:13], v[12:13], v[6:7]
	v_add_f64 v[16:17], v[26:27], v[0:1]
	v_fma_f64 v[12:13], v[14:15], v[4:5], v[12:13]
	v_add_f64 v[18:19], v[12:13], v[31:32]
	ds_read_b128 v[12:15], v63 offset:8688
	s_waitcnt lgkmcnt(0)
	s_barrier
	v_mul_f64 v[0:1], v[14:15], v[10:11]
	v_mul_f64 v[10:11], v[12:13], v[10:11]
	v_fma_f64 v[0:1], v[12:13], v[8:9], -v[0:1]
	v_fma_f64 v[8:9], v[14:15], v[8:9], v[10:11]
	v_add_f64 v[59:60], v[59:60], v[0:1]
	v_mul_f64 v[0:1], v[14:15], v[6:7]
	v_mul_f64 v[6:7], v[12:13], v[6:7]
	v_add_f64 v[61:62], v[8:9], v[61:62]
	v_fma_f64 v[0:1], v[12:13], v[4:5], -v[0:1]
	v_fma_f64 v[4:5], v[14:15], v[4:5], v[6:7]
	v_add_f64 v[14:15], v[20:21], v[0:1]
	v_add_f64 v[12:13], v[4:5], v[22:23]
	v_mov_b32_e32 v0, s35
	v_addc_co_u32_e64 v54, s[10:11], v54, v0, s[10:11]
	v_add_co_u32_e64 v51, s[10:11], s26, v51
	v_mov_b32_e32 v0, s27
	v_addc_co_u32_e64 v52, s[10:11], v52, v0, s[10:11]
	v_add_co_u32_e64 v49, s[10:11], s26, v49
	v_addc_co_u32_e64 v50, s[10:11], v50, v0, s[10:11]
	s_cbranch_scc1 .LBB124_55
.LBB124_7:                              ;   Parent Loop BB124_4 Depth=1
                                        ; =>  This Inner Loop Header: Depth=2
	buffer_load_dword v1, off, s[56:59], 0 offset:24 ; 4-byte Folded Reload
	v_mov_b32_e32 v0, s23
	s_waitcnt vmcnt(4)
	v_add_co_u32_e64 v6, s[12:13], v51, v41
	s_waitcnt vmcnt(3)
	v_addc_co_u32_e64 v7, s[12:13], v52, v42, s[12:13]
	s_waitcnt vmcnt(0)
	v_add_co_u32_e64 v8, s[10:11], s22, v1
	v_addc_co_u32_e64 v9, s[10:11], 0, v0, s[10:11]
	v_cmp_eq_u64_e64 s[10:11], s[22:23], v[39:40]
	v_cmp_le_i64_e64 s[12:13], s[46:47], v[8:9]
	s_and_b64 s[40:41], s[24:25], s[10:11]
	v_cmp_gt_i64_e64 s[10:11], v[8:9], v[37:38]
	s_or_b64 s[14:15], s[16:17], s[10:11]
	s_or_b64 s[14:15], s[14:15], s[40:41]
	s_nor_b64 s[14:15], s[12:13], s[14:15]
	s_and_saveexec_b64 s[18:19], s[14:15]
	s_xor_b64 s[14:15], exec, s[18:19]
	s_cbranch_execz .LBB124_9
; %bb.8:                                ;   in Loop: Header=BB124_7 Depth=2
	global_load_dwordx4 v[20:23], v[6:7], off offset:-256
	s_waitcnt vmcnt(0)
	ds_write2_b64 v24, v[20:21], v[22:23] offset1:1
.LBB124_9:                              ;   in Loop: Header=BB124_7 Depth=2
	s_or_saveexec_b64 s[14:15], s[14:15]
	s_xor_b64 s[36:37], s[40:41], -1
	s_xor_b64 exec, exec, s[14:15]
	s_cbranch_execz .LBB124_15
; %bb.10:                               ;   in Loop: Header=BB124_7 Depth=2
	s_and_saveexec_b64 s[18:19], s[36:37]
	s_xor_b64 s[18:19], exec, s[18:19]
; %bb.11:                               ;   in Loop: Header=BB124_7 Depth=2
	v_mov_b32_e32 v20, v2
	v_mov_b32_e32 v21, v2
	;; [unrolled: 1-line block ×4, first 2 shown]
	ds_write_b128 v24, v[20:23]
; %bb.12:                               ;   in Loop: Header=BB124_7 Depth=2
	s_andn2_saveexec_b64 s[18:19], s[18:19]
; %bb.13:                               ;   in Loop: Header=BB124_7 Depth=2
	v_mov_b32_e32 v4, v2
	v_mov_b32_e32 v5, v2
	ds_write_b128 v24, v[2:5]
; %bb.14:                               ;   in Loop: Header=BB124_7 Depth=2
	s_or_b64 exec, exec, s[18:19]
.LBB124_15:                             ;   in Loop: Header=BB124_7 Depth=2
	s_or_b64 exec, exec, s[14:15]
	buffer_load_dword v0, off, s[56:59], 0 offset:16 ; 4-byte Folded Reload
	buffer_load_dword v1, off, s[56:59], 0 offset:20 ; 4-byte Folded Reload
	v_add_co_u32_e64 v4, s[18:19], 16, v8
	v_addc_co_u32_e64 v5, s[18:19], 0, v9, s[18:19]
	v_cmp_gt_i64_e64 s[18:19], v[4:5], v[37:38]
	s_or_b64 s[18:19], s[16:17], s[18:19]
	s_waitcnt vmcnt(0)
	v_cmp_eq_u64_e64 s[14:15], s[22:23], v[0:1]
	s_and_b64 s[20:21], s[24:25], s[14:15]
	v_cmp_le_i64_e64 s[14:15], s[46:47], v[4:5]
	s_or_b64 s[18:19], s[18:19], s[20:21]
	s_nor_b64 s[18:19], s[14:15], s[18:19]
	s_and_saveexec_b64 s[42:43], s[18:19]
	s_xor_b64 s[42:43], exec, s[42:43]
	s_cbranch_execz .LBB124_17
; %bb.16:                               ;   in Loop: Header=BB124_7 Depth=2
	v_add_co_u32_e64 v4, s[18:19], v49, v41
	v_addc_co_u32_e64 v5, s[18:19], v50, v42, s[18:19]
	global_load_dwordx4 v[20:23], v[4:5], off
	v_add_u32_e32 v0, 0x100, v24
	s_waitcnt vmcnt(0)
	ds_write2_b64 v0, v[20:21], v[22:23] offset1:1
.LBB124_17:                             ;   in Loop: Header=BB124_7 Depth=2
	s_andn2_saveexec_b64 s[18:19], s[42:43]
	s_cbranch_execz .LBB124_23
; %bb.18:                               ;   in Loop: Header=BB124_7 Depth=2
	s_xor_b64 s[20:21], s[20:21], -1
	s_and_saveexec_b64 s[42:43], s[20:21]
	s_xor_b64 s[20:21], exec, s[42:43]
; %bb.19:                               ;   in Loop: Header=BB124_7 Depth=2
	v_mov_b32_e32 v20, v2
	v_mov_b32_e32 v21, v2
	v_mov_b32_e32 v22, v2
	v_mov_b32_e32 v23, v2
	ds_write_b128 v24, v[20:23] offset:256
; %bb.20:                               ;   in Loop: Header=BB124_7 Depth=2
	s_andn2_saveexec_b64 s[20:21], s[20:21]
; %bb.21:                               ;   in Loop: Header=BB124_7 Depth=2
	v_mov_b32_e32 v4, v2
	v_mov_b32_e32 v5, v2
	ds_write_b128 v24, v[2:5] offset:256
; %bb.22:                               ;   in Loop: Header=BB124_7 Depth=2
	s_or_b64 exec, exec, s[20:21]
.LBB124_23:                             ;   in Loop: Header=BB124_7 Depth=2
	s_or_b64 exec, exec, s[18:19]
	buffer_load_dword v0, off, s[56:59], 0 offset:8 ; 4-byte Folded Reload
	buffer_load_dword v1, off, s[56:59], 0 offset:12 ; 4-byte Folded Reload
	s_waitcnt vmcnt(0)
	v_cmp_eq_u64_e64 s[18:19], s[22:23], v[0:1]
	buffer_load_dword v0, off, s[56:59], 0  ; 4-byte Folded Reload
	buffer_load_dword v1, off, s[56:59], 0 offset:4 ; 4-byte Folded Reload
	s_and_b64 s[18:19], s[24:25], s[18:19]
	s_waitcnt vmcnt(0)
	v_cmp_gt_i64_e64 s[20:21], v[8:9], v[0:1]
	s_or_b64 s[20:21], s[8:9], s[20:21]
	s_or_b64 s[20:21], s[20:21], s[18:19]
	s_nor_b64 s[12:13], s[12:13], s[20:21]
	s_and_saveexec_b64 s[20:21], s[12:13]
	s_xor_b64 s[12:13], exec, s[20:21]
	s_cbranch_execz .LBB124_25
; %bb.24:                               ;   in Loop: Header=BB124_7 Depth=2
	global_load_dwordx4 v[4:7], v[6:7], off
	v_add_u32_e32 v0, 0x2000, v24
	s_waitcnt vmcnt(0)
	ds_write2_b64 v0, v[4:5], v[6:7] offset1:1
.LBB124_25:                             ;   in Loop: Header=BB124_7 Depth=2
	s_andn2_saveexec_b64 s[12:13], s[12:13]
	s_cbranch_execz .LBB124_31
; %bb.26:                               ;   in Loop: Header=BB124_7 Depth=2
	s_xor_b64 s[18:19], s[18:19], -1
	s_and_saveexec_b64 s[20:21], s[18:19]
	s_xor_b64 s[18:19], exec, s[20:21]
; %bb.27:                               ;   in Loop: Header=BB124_7 Depth=2
	v_mov_b32_e32 v4, v2
	v_mov_b32_e32 v5, v2
	;; [unrolled: 1-line block ×4, first 2 shown]
	ds_write_b128 v24, v[4:7] offset:8192
; %bb.28:                               ;   in Loop: Header=BB124_7 Depth=2
	s_andn2_saveexec_b64 s[18:19], s[18:19]
; %bb.29:                               ;   in Loop: Header=BB124_7 Depth=2
	v_mov_b32_e32 v4, v2
	v_mov_b32_e32 v5, v2
	ds_write_b128 v24, v[2:5] offset:8192
; %bb.30:                               ;   in Loop: Header=BB124_7 Depth=2
	s_or_b64 exec, exec, s[18:19]
.LBB124_31:                             ;   in Loop: Header=BB124_7 Depth=2
	s_or_b64 exec, exec, s[12:13]
	s_or_b64 s[10:11], s[8:9], s[10:11]
	s_or_b64 s[10:11], s[10:11], s[40:41]
	s_nor_b64 s[10:11], s[14:15], s[10:11]
	s_and_saveexec_b64 s[12:13], s[10:11]
	s_xor_b64 s[12:13], exec, s[12:13]
	s_cbranch_execz .LBB124_33
; %bb.32:                               ;   in Loop: Header=BB124_7 Depth=2
	v_add_co_u32_e64 v4, s[10:11], v49, v41
	v_addc_co_u32_e64 v5, s[10:11], v50, v42, s[10:11]
	global_load_dwordx4 v[4:7], v[4:5], off offset:256
	v_add_u32_e32 v0, 0x2100, v24
	s_waitcnt vmcnt(0)
	ds_write2_b64 v0, v[4:5], v[6:7] offset1:1
.LBB124_33:                             ;   in Loop: Header=BB124_7 Depth=2
	s_andn2_saveexec_b64 s[10:11], s[12:13]
	s_cbranch_execz .LBB124_39
; %bb.34:                               ;   in Loop: Header=BB124_7 Depth=2
	s_and_saveexec_b64 s[12:13], s[36:37]
	s_xor_b64 s[12:13], exec, s[12:13]
; %bb.35:                               ;   in Loop: Header=BB124_7 Depth=2
	v_mov_b32_e32 v4, v2
	v_mov_b32_e32 v5, v2
	;; [unrolled: 1-line block ×4, first 2 shown]
	ds_write_b128 v24, v[4:7] offset:8448
; %bb.36:                               ;   in Loop: Header=BB124_7 Depth=2
	s_andn2_saveexec_b64 s[12:13], s[12:13]
; %bb.37:                               ;   in Loop: Header=BB124_7 Depth=2
	v_mov_b32_e32 v4, v2
	v_mov_b32_e32 v5, v2
	ds_write_b128 v24, v[2:5] offset:8448
; %bb.38:                               ;   in Loop: Header=BB124_7 Depth=2
	s_or_b64 exec, exec, s[12:13]
.LBB124_39:                             ;   in Loop: Header=BB124_7 Depth=2
	s_or_b64 exec, exec, s[10:11]
	v_add_co_u32_e64 v4, s[10:11], s22, v36
	v_mov_b32_e32 v0, s23
	v_addc_co_u32_e64 v5, s[10:11], 0, v0, s[10:11]
	buffer_load_dword v0, off, s[56:59], 0 offset:28 ; 4-byte Folded Reload
	s_waitcnt vmcnt(0)
	v_add_co_u32_e64 v6, s[10:11], v53, v0
	buffer_load_dword v0, off, s[56:59], 0 offset:32 ; 4-byte Folded Reload
	s_waitcnt vmcnt(0)
	v_addc_co_u32_e64 v7, s[10:11], v54, v0, s[10:11]
	v_cmp_le_i64_e64 s[10:11], s[46:47], v[4:5]
	s_nor_b64 s[12:13], s[10:11], vcc
	s_and_saveexec_b64 s[14:15], s[12:13]
	s_xor_b64 s[12:13], exec, s[14:15]
	s_cbranch_execz .LBB124_41
; %bb.40:                               ;   in Loop: Header=BB124_7 Depth=2
	global_load_dwordx4 v[8:11], v[6:7], off offset:-256
	s_waitcnt vmcnt(0)
	ds_write2_b64 v35, v[8:9], v[10:11] offset1:1
.LBB124_41:                             ;   in Loop: Header=BB124_7 Depth=2
	s_andn2_saveexec_b64 s[12:13], s[12:13]
; %bb.42:                               ;   in Loop: Header=BB124_7 Depth=2
	v_mov_b32_e32 v8, v2
	v_mov_b32_e32 v9, v2
	;; [unrolled: 1-line block ×4, first 2 shown]
	ds_write_b128 v35, v[8:11]
; %bb.43:                               ;   in Loop: Header=BB124_7 Depth=2
	s_or_b64 exec, exec, s[12:13]
	s_nor_b64 s[10:11], s[10:11], s[0:1]
	s_and_saveexec_b64 s[12:13], s[10:11]
	s_xor_b64 s[10:11], exec, s[12:13]
	s_cbranch_execz .LBB124_45
; %bb.44:                               ;   in Loop: Header=BB124_7 Depth=2
	global_load_dwordx4 v[6:9], v[6:7], off
	v_add_u32_e32 v0, 0x100, v35
	s_waitcnt vmcnt(0)
	ds_write2_b64 v0, v[6:7], v[8:9] offset1:1
.LBB124_45:                             ;   in Loop: Header=BB124_7 Depth=2
	s_andn2_saveexec_b64 s[10:11], s[10:11]
; %bb.46:                               ;   in Loop: Header=BB124_7 Depth=2
	v_mov_b32_e32 v6, v2
	v_mov_b32_e32 v7, v2
	;; [unrolled: 1-line block ×4, first 2 shown]
	ds_write_b128 v35, v[6:9] offset:256
; %bb.47:                               ;   in Loop: Header=BB124_7 Depth=2
	s_or_b64 exec, exec, s[10:11]
	buffer_load_dword v0, off, s[56:59], 0 offset:36 ; 4-byte Folded Reload
	v_cmp_le_i64_e64 s[10:11], s[38:39], v[4:5]
	v_add_co_u32_e64 v4, s[12:13], v53, v30
	s_waitcnt vmcnt(0)
	v_addc_co_u32_e64 v5, s[12:13], v54, v0, s[12:13]
	s_nor_b64 s[12:13], s[10:11], vcc
	s_and_saveexec_b64 s[14:15], s[12:13]
	s_xor_b64 s[12:13], exec, s[14:15]
	s_cbranch_execz .LBB124_49
; %bb.48:                               ;   in Loop: Header=BB124_7 Depth=2
	global_load_dwordx4 v[6:9], v[4:5], off
	v_add_u32_e32 v0, 0x2000, v35
	s_waitcnt vmcnt(0)
	ds_write2_b64 v0, v[6:7], v[8:9] offset1:1
.LBB124_49:                             ;   in Loop: Header=BB124_7 Depth=2
	s_andn2_saveexec_b64 s[12:13], s[12:13]
; %bb.50:                               ;   in Loop: Header=BB124_7 Depth=2
	v_mov_b32_e32 v6, v2
	v_mov_b32_e32 v7, v2
	;; [unrolled: 1-line block ×4, first 2 shown]
	ds_write_b128 v35, v[6:9] offset:8192
; %bb.51:                               ;   in Loop: Header=BB124_7 Depth=2
	s_or_b64 exec, exec, s[12:13]
	s_nor_b64 s[10:11], s[10:11], s[0:1]
	s_and_saveexec_b64 s[12:13], s[10:11]
	s_xor_b64 s[10:11], exec, s[12:13]
	s_cbranch_execz .LBB124_53
; %bb.52:                               ;   in Loop: Header=BB124_7 Depth=2
	global_load_dwordx4 v[4:7], v[4:5], off offset:256
	v_add_u32_e32 v0, 0x2100, v35
	s_waitcnt vmcnt(0)
	ds_write2_b64 v0, v[4:5], v[6:7] offset1:1
.LBB124_53:                             ;   in Loop: Header=BB124_7 Depth=2
	s_andn2_saveexec_b64 s[10:11], s[10:11]
	s_cbranch_execz .LBB124_6
; %bb.54:                               ;   in Loop: Header=BB124_7 Depth=2
	v_mov_b32_e32 v4, v2
	v_mov_b32_e32 v5, v2
	;; [unrolled: 1-line block ×4, first 2 shown]
	ds_write_b128 v35, v[4:7] offset:8448
	s_branch .LBB124_6
.LBB124_55:                             ;   in Loop: Header=BB124_4 Depth=1
	v_mul_lo_u32 v0, s49, v37
	v_mul_lo_u32 v1, s48, v38
	v_mad_u64_u32 v[4:5], s[8:9], s48, v37, 0
	v_cmp_gt_i32_e64 s[8:9], s46, v37
	v_add3_u32 v5, v5, v1, v0
	v_lshlrev_b64 v[4:5], 4, v[4:5]
	v_mov_b32_e32 v0, s51
	v_add_co_u32_e64 v4, s[10:11], s50, v4
	v_addc_co_u32_e64 v5, s[10:11], v0, v5, s[10:11]
	s_and_b64 s[10:11], s[2:3], s[8:9]
	s_and_saveexec_b64 s[12:13], s[10:11]
	s_cbranch_execz .LBB124_57
; %bb.56:                               ;   in Loop: Header=BB124_4 Depth=1
	buffer_load_dword v0, off, s[56:59], 0 offset:48 ; 4-byte Folded Reload
	buffer_load_dword v1, off, s[56:59], 0 offset:52 ; 4-byte Folded Reload
	v_mul_f64 v[10:11], s[30:31], v[57:58]
	v_mul_f64 v[20:21], s[28:29], v[57:58]
	v_fma_f64 v[10:11], s[28:29], v[55:56], -v[10:11]
	v_fma_f64 v[20:21], s[30:31], v[55:56], v[20:21]
	s_waitcnt vmcnt(1)
	v_add_co_u32_e64 v0, s[10:11], v4, v0
	s_waitcnt vmcnt(0)
	v_addc_co_u32_e64 v1, s[10:11], v5, v1, s[10:11]
	global_load_dwordx4 v[6:9], v[0:1], off
	s_waitcnt vmcnt(0)
	v_add_f64 v[6:7], v[6:7], v[10:11]
	v_add_f64 v[8:9], v[20:21], v[8:9]
	global_store_dwordx4 v[0:1], v[6:9], off
.LBB124_57:                             ;   in Loop: Header=BB124_4 Depth=1
	s_or_b64 exec, exec, s[12:13]
	s_and_b64 s[8:9], s[4:5], s[8:9]
	s_mov_b64 s[10:11], exec
	buffer_load_dword v20, off, s[56:59], 0 offset:40 ; 4-byte Folded Reload
	buffer_load_dword v21, off, s[56:59], 0 offset:44 ; 4-byte Folded Reload
	s_and_b64 s[8:9], s[10:11], s[8:9]
	s_mov_b64 exec, s[8:9]
	s_cbranch_execz .LBB124_59
; %bb.58:                               ;   in Loop: Header=BB124_4 Depth=1
	buffer_load_dword v0, off, s[56:59], 0 offset:56 ; 4-byte Folded Reload
	buffer_load_dword v1, off, s[56:59], 0 offset:60 ; 4-byte Folded Reload
	v_mul_f64 v[8:9], s[30:31], v[18:19]
	v_mul_f64 v[10:11], s[28:29], v[18:19]
	v_fma_f64 v[8:9], s[28:29], v[16:17], -v[8:9]
	v_fma_f64 v[10:11], s[30:31], v[16:17], v[10:11]
	s_waitcnt vmcnt(1)
	v_add_co_u32_e64 v0, s[8:9], v4, v0
	s_waitcnt vmcnt(0)
	v_addc_co_u32_e64 v1, s[8:9], v5, v1, s[8:9]
	global_load_dwordx4 v[4:7], v[0:1], off
	s_waitcnt vmcnt(0)
	v_add_f64 v[4:5], v[4:5], v[8:9]
	v_add_f64 v[6:7], v[10:11], v[6:7]
	global_store_dwordx4 v[0:1], v[4:7], off
.LBB124_59:                             ;   in Loop: Header=BB124_4 Depth=1
	s_or_b64 exec, exec, s[10:11]
	v_add_u32_e32 v4, 16, v37
	v_ashrrev_i32_e32 v0, 31, v4
	v_mul_lo_u32 v5, s48, v0
	v_mul_lo_u32 v6, s49, v4
	v_mad_u64_u32 v[0:1], s[8:9], s48, v4, 0
	v_cmp_gt_i32_e64 s[8:9], s46, v4
	v_add3_u32 v1, v1, v5, v6
	v_lshlrev_b64 v[0:1], 4, v[0:1]
	v_mov_b32_e32 v5, s51
	v_add_co_u32_e64 v4, s[10:11], s50, v0
	v_addc_co_u32_e64 v5, s[10:11], v5, v1, s[10:11]
	s_and_b64 s[10:11], s[2:3], s[8:9]
	s_and_saveexec_b64 s[12:13], s[10:11]
	s_cbranch_execz .LBB124_61
; %bb.60:                               ;   in Loop: Header=BB124_4 Depth=1
	buffer_load_dword v0, off, s[56:59], 0 offset:48 ; 4-byte Folded Reload
	buffer_load_dword v1, off, s[56:59], 0 offset:52 ; 4-byte Folded Reload
	v_mul_f64 v[10:11], s[30:31], v[61:62]
	v_mul_f64 v[16:17], s[28:29], v[61:62]
	v_fma_f64 v[10:11], s[28:29], v[59:60], -v[10:11]
	v_fma_f64 v[16:17], s[30:31], v[59:60], v[16:17]
	s_waitcnt vmcnt(1)
	v_add_co_u32_e64 v0, s[10:11], v4, v0
	s_waitcnt vmcnt(0)
	v_addc_co_u32_e64 v1, s[10:11], v5, v1, s[10:11]
	global_load_dwordx4 v[6:9], v[0:1], off
	s_waitcnt vmcnt(0)
	v_add_f64 v[6:7], v[6:7], v[10:11]
	v_add_f64 v[8:9], v[16:17], v[8:9]
	global_store_dwordx4 v[0:1], v[6:9], off
.LBB124_61:                             ;   in Loop: Header=BB124_4 Depth=1
	s_or_b64 exec, exec, s[12:13]
	s_and_b64 s[8:9], s[4:5], s[8:9]
	s_and_saveexec_b64 s[10:11], s[8:9]
	s_cbranch_execz .LBB124_3
; %bb.62:                               ;   in Loop: Header=BB124_4 Depth=1
	buffer_load_dword v0, off, s[56:59], 0 offset:56 ; 4-byte Folded Reload
	buffer_load_dword v1, off, s[56:59], 0 offset:60 ; 4-byte Folded Reload
	v_mul_f64 v[8:9], s[30:31], v[12:13]
	v_mul_f64 v[10:11], s[28:29], v[12:13]
	v_fma_f64 v[8:9], s[28:29], v[14:15], -v[8:9]
	v_fma_f64 v[10:11], s[30:31], v[14:15], v[10:11]
	s_waitcnt vmcnt(1)
	v_add_co_u32_e64 v0, s[8:9], v4, v0
	s_waitcnt vmcnt(0)
	v_addc_co_u32_e64 v1, s[8:9], v5, v1, s[8:9]
	global_load_dwordx4 v[4:7], v[0:1], off
	s_waitcnt vmcnt(0)
	v_add_f64 v[4:5], v[4:5], v[8:9]
	v_add_f64 v[6:7], v[10:11], v[6:7]
	global_store_dwordx4 v[0:1], v[4:7], off
	s_branch .LBB124_3
.LBB124_63:
	s_endpgm
	.section	.rodata,"a",@progbits
	.p2align	6, 0x0
	.amdhsa_kernel _ZL30rocblas_trmm_outofplace_kernelI19rocblas_complex_numIdELi32ELi2ELb0ELb0ELb1ELb0EPKS1_S2_S1_Ev17rocblas_diagonal_iiT6_lPT7_lllS7_lllPT8_llli
		.amdhsa_group_segment_fixed_size 32768
		.amdhsa_private_segment_fixed_size 100
		.amdhsa_kernarg_size 392
		.amdhsa_user_sgpr_count 6
		.amdhsa_user_sgpr_private_segment_buffer 1
		.amdhsa_user_sgpr_dispatch_ptr 0
		.amdhsa_user_sgpr_queue_ptr 0
		.amdhsa_user_sgpr_kernarg_segment_ptr 1
		.amdhsa_user_sgpr_dispatch_id 0
		.amdhsa_user_sgpr_flat_scratch_init 0
		.amdhsa_user_sgpr_private_segment_size 0
		.amdhsa_uses_dynamic_stack 0
		.amdhsa_system_sgpr_private_segment_wavefront_offset 1
		.amdhsa_system_sgpr_workgroup_id_x 1
		.amdhsa_system_sgpr_workgroup_id_y 1
		.amdhsa_system_sgpr_workgroup_id_z 1
		.amdhsa_system_sgpr_workgroup_info 0
		.amdhsa_system_vgpr_workitem_id 1
		.amdhsa_next_free_vgpr 64
		.amdhsa_next_free_sgpr 61
		.amdhsa_reserve_vcc 1
		.amdhsa_reserve_flat_scratch 0
		.amdhsa_float_round_mode_32 0
		.amdhsa_float_round_mode_16_64 0
		.amdhsa_float_denorm_mode_32 3
		.amdhsa_float_denorm_mode_16_64 3
		.amdhsa_dx10_clamp 1
		.amdhsa_ieee_mode 1
		.amdhsa_fp16_overflow 0
		.amdhsa_exception_fp_ieee_invalid_op 0
		.amdhsa_exception_fp_denorm_src 0
		.amdhsa_exception_fp_ieee_div_zero 0
		.amdhsa_exception_fp_ieee_overflow 0
		.amdhsa_exception_fp_ieee_underflow 0
		.amdhsa_exception_fp_ieee_inexact 0
		.amdhsa_exception_int_div_zero 0
	.end_amdhsa_kernel
	.section	.text._ZL30rocblas_trmm_outofplace_kernelI19rocblas_complex_numIdELi32ELi2ELb0ELb0ELb1ELb0EPKS1_S2_S1_Ev17rocblas_diagonal_iiT6_lPT7_lllS7_lllPT8_llli,"axG",@progbits,_ZL30rocblas_trmm_outofplace_kernelI19rocblas_complex_numIdELi32ELi2ELb0ELb0ELb1ELb0EPKS1_S2_S1_Ev17rocblas_diagonal_iiT6_lPT7_lllS7_lllPT8_llli,comdat
.Lfunc_end124:
	.size	_ZL30rocblas_trmm_outofplace_kernelI19rocblas_complex_numIdELi32ELi2ELb0ELb0ELb1ELb0EPKS1_S2_S1_Ev17rocblas_diagonal_iiT6_lPT7_lllS7_lllPT8_llli, .Lfunc_end124-_ZL30rocblas_trmm_outofplace_kernelI19rocblas_complex_numIdELi32ELi2ELb0ELb0ELb1ELb0EPKS1_S2_S1_Ev17rocblas_diagonal_iiT6_lPT7_lllS7_lllPT8_llli
                                        ; -- End function
	.set _ZL30rocblas_trmm_outofplace_kernelI19rocblas_complex_numIdELi32ELi2ELb0ELb0ELb1ELb0EPKS1_S2_S1_Ev17rocblas_diagonal_iiT6_lPT7_lllS7_lllPT8_llli.num_vgpr, 64
	.set _ZL30rocblas_trmm_outofplace_kernelI19rocblas_complex_numIdELi32ELi2ELb0ELb0ELb1ELb0EPKS1_S2_S1_Ev17rocblas_diagonal_iiT6_lPT7_lllS7_lllPT8_llli.num_agpr, 0
	.set _ZL30rocblas_trmm_outofplace_kernelI19rocblas_complex_numIdELi32ELi2ELb0ELb0ELb1ELb0EPKS1_S2_S1_Ev17rocblas_diagonal_iiT6_lPT7_lllS7_lllPT8_llli.numbered_sgpr, 60
	.set _ZL30rocblas_trmm_outofplace_kernelI19rocblas_complex_numIdELi32ELi2ELb0ELb0ELb1ELb0EPKS1_S2_S1_Ev17rocblas_diagonal_iiT6_lPT7_lllS7_lllPT8_llli.num_named_barrier, 0
	.set _ZL30rocblas_trmm_outofplace_kernelI19rocblas_complex_numIdELi32ELi2ELb0ELb0ELb1ELb0EPKS1_S2_S1_Ev17rocblas_diagonal_iiT6_lPT7_lllS7_lllPT8_llli.private_seg_size, 100
	.set _ZL30rocblas_trmm_outofplace_kernelI19rocblas_complex_numIdELi32ELi2ELb0ELb0ELb1ELb0EPKS1_S2_S1_Ev17rocblas_diagonal_iiT6_lPT7_lllS7_lllPT8_llli.uses_vcc, 1
	.set _ZL30rocblas_trmm_outofplace_kernelI19rocblas_complex_numIdELi32ELi2ELb0ELb0ELb1ELb0EPKS1_S2_S1_Ev17rocblas_diagonal_iiT6_lPT7_lllS7_lllPT8_llli.uses_flat_scratch, 0
	.set _ZL30rocblas_trmm_outofplace_kernelI19rocblas_complex_numIdELi32ELi2ELb0ELb0ELb1ELb0EPKS1_S2_S1_Ev17rocblas_diagonal_iiT6_lPT7_lllS7_lllPT8_llli.has_dyn_sized_stack, 0
	.set _ZL30rocblas_trmm_outofplace_kernelI19rocblas_complex_numIdELi32ELi2ELb0ELb0ELb1ELb0EPKS1_S2_S1_Ev17rocblas_diagonal_iiT6_lPT7_lllS7_lllPT8_llli.has_recursion, 0
	.set _ZL30rocblas_trmm_outofplace_kernelI19rocblas_complex_numIdELi32ELi2ELb0ELb0ELb1ELb0EPKS1_S2_S1_Ev17rocblas_diagonal_iiT6_lPT7_lllS7_lllPT8_llli.has_indirect_call, 0
	.section	.AMDGPU.csdata,"",@progbits
; Kernel info:
; codeLenInByte = 10744
; TotalNumSgprs: 64
; NumVgprs: 64
; ScratchSize: 100
; MemoryBound: 0
; FloatMode: 240
; IeeeMode: 1
; LDSByteSize: 32768 bytes/workgroup (compile time only)
; SGPRBlocks: 8
; VGPRBlocks: 15
; NumSGPRsForWavesPerEU: 65
; NumVGPRsForWavesPerEU: 64
; Occupancy: 4
; WaveLimiterHint : 0
; COMPUTE_PGM_RSRC2:SCRATCH_EN: 1
; COMPUTE_PGM_RSRC2:USER_SGPR: 6
; COMPUTE_PGM_RSRC2:TRAP_HANDLER: 0
; COMPUTE_PGM_RSRC2:TGID_X_EN: 1
; COMPUTE_PGM_RSRC2:TGID_Y_EN: 1
; COMPUTE_PGM_RSRC2:TGID_Z_EN: 1
; COMPUTE_PGM_RSRC2:TIDIG_COMP_CNT: 1
	.section	.text._ZL30rocblas_trmm_outofplace_kernelI19rocblas_complex_numIdELi32ELi2ELb0ELb0ELb1ELb0ES1_KS1_S1_Ev17rocblas_diagonal_iiT6_lPT7_lllS6_lllPT8_llli,"axG",@progbits,_ZL30rocblas_trmm_outofplace_kernelI19rocblas_complex_numIdELi32ELi2ELb0ELb0ELb1ELb0ES1_KS1_S1_Ev17rocblas_diagonal_iiT6_lPT7_lllS6_lllPT8_llli,comdat
	.globl	_ZL30rocblas_trmm_outofplace_kernelI19rocblas_complex_numIdELi32ELi2ELb0ELb0ELb1ELb0ES1_KS1_S1_Ev17rocblas_diagonal_iiT6_lPT7_lllS6_lllPT8_llli ; -- Begin function _ZL30rocblas_trmm_outofplace_kernelI19rocblas_complex_numIdELi32ELi2ELb0ELb0ELb1ELb0ES1_KS1_S1_Ev17rocblas_diagonal_iiT6_lPT7_lllS6_lllPT8_llli
	.p2align	8
	.type	_ZL30rocblas_trmm_outofplace_kernelI19rocblas_complex_numIdELi32ELi2ELb0ELb0ELb1ELb0ES1_KS1_S1_Ev17rocblas_diagonal_iiT6_lPT7_lllS6_lllPT8_llli,@function
_ZL30rocblas_trmm_outofplace_kernelI19rocblas_complex_numIdELi32ELi2ELb0ELb0ELb1ELb0ES1_KS1_S1_Ev17rocblas_diagonal_iiT6_lPT7_lllS6_lllPT8_llli: ; @_ZL30rocblas_trmm_outofplace_kernelI19rocblas_complex_numIdELi32ELi2ELb0ELb0ELb1ELb0ES1_KS1_S1_Ev17rocblas_diagonal_iiT6_lPT7_lllS6_lllPT8_llli
; %bb.0:
	s_load_dwordx4 s[28:31], s[4:5], 0x10
	s_mov_b64 s[54:55], s[2:3]
	s_mov_b64 s[52:53], s[0:1]
	s_add_u32 s52, s52, s9
	s_addc_u32 s53, s53, 0
	s_waitcnt lgkmcnt(0)
	v_cmp_eq_f64_e64 s[0:1], s[28:29], 0
	v_cmp_eq_f64_e64 s[2:3], s[30:31], 0
	s_and_b64 s[0:1], s[0:1], s[2:3]
	s_and_b64 vcc, exec, s[0:1]
	s_cbranch_vccnz .LBB125_63
; %bb.1:
	s_load_dwordx4 s[44:47], s[4:5], 0x0
	s_waitcnt lgkmcnt(0)
	s_add_i32 s0, s46, -1
	s_ashr_i32 s1, s0, 31
	s_lshr_b32 s1, s1, 27
	s_add_i32 s0, s0, s1
	s_ashr_i32 s33, s0, 5
	s_cmp_gt_i32 s7, s33
	s_cbranch_scc1 .LBB125_63
; %bb.2:
	s_load_dwordx16 s[12:27], s[4:5], 0x28
	s_load_dwordx8 s[36:43], s[4:5], 0x68
	v_mov_b32_e32 v30, v0
	v_lshl_add_u32 v3, s6, 5, v30
	v_ashrrev_i32_e32 v4, 31, v3
	s_waitcnt lgkmcnt(0)
	s_mul_i32 s1, s27, s8
	s_mul_hi_u32 s2, s26, s8
	s_mul_i32 s0, s26, s8
	s_add_i32 s1, s2, s1
	s_lshl_b64 s[0:1], s[0:1], 4
	s_add_u32 s2, s20, s0
	s_addc_u32 s3, s21, s1
	s_lshl_b64 s[0:1], s[22:23], 4
	v_lshlrev_b64 v[5:6], 4, v[3:4]
	s_add_u32 s2, s2, s0
	v_add_co_u32_e32 v7, vcc, s2, v5
	buffer_store_dword v5, off, s[52:55], 0 offset:52 ; 4-byte Folded Spill
	s_nop 0
	buffer_store_dword v6, off, s[52:55], 0 offset:56 ; 4-byte Folded Spill
	s_addc_u32 s3, s3, s1
	s_mul_i32 s0, s43, s8
	s_mul_hi_u32 s1, s42, s8
	s_add_i32 s1, s1, s0
	s_mul_i32 s0, s42, s8
	s_lshl_b64 s[0:1], s[0:1], 4
	s_add_u32 s9, s36, s0
	s_addc_u32 s10, s37, s1
	s_lshl_b64 s[0:1], s[38:39], 4
	s_add_u32 s48, s9, s0
	s_addc_u32 s49, s10, s1
	v_mov_b32_e32 v0, s3
	s_cmpk_eq_i32 s44, 0x84
	v_mov_b32_e32 v36, v1
	s_cselect_b64 s[22:23], -1, 0
	s_ashr_i32 s0, s45, 31
	v_mov_b32_e32 v1, s0
	s_ashr_i32 s47, s46, 31
	s_lshl_b64 s[26:27], s[16:17], 9
	s_lshl_b64 s[34:35], s[24:25], 9
	s_add_u32 s36, s46, -16
	s_addc_u32 s37, s47, -1
	v_lshlrev_b32_e32 v63, 9, v36
	s_movk_i32 s9, 0x100
	v_mov_b32_e32 v2, 0
	v_lshl_add_u32 v20, s7, 5, v36
	v_addc_co_u32_e32 v8, vcc, v0, v6, vcc
	buffer_store_dword v7, off, s[52:55], 0 offset:68 ; 4-byte Folded Spill
	s_nop 0
	buffer_store_dword v8, off, s[52:55], 0 offset:72 ; 4-byte Folded Spill
	v_mad_u64_u32 v[7:8], s[0:1], s24, v36, 0
	v_sub_co_u32_e32 v5, vcc, s45, v3
	v_subb_co_u32_e32 v6, vcc, v1, v4, vcc
	v_mov_b32_e32 v4, v8
	v_cmp_gt_i64_e32 vcc, 1, v[5:6]
	v_cmp_gt_i64_e64 s[0:1], 17, v[5:6]
	v_mad_u64_u32 v[4:5], s[2:3], s25, v36, v[4:5]
	s_load_dword s6, s[4:5], 0x94
	s_mul_i32 s4, s19, s8
	v_mov_b32_e32 v8, v4
	v_mad_u64_u32 v[4:5], s[2:3], s16, v30, 0
	v_lshlrev_b64 v[6:7], 4, v[7:8]
	s_mul_hi_u32 s5, s18, s8
	v_mad_u64_u32 v[8:9], s[2:3], s17, v30, v[5:6]
	s_add_i32 s3, s5, s4
	s_mul_i32 s2, s18, s8
	s_waitcnt lgkmcnt(0)
	s_lshl_b32 s50, s6, 5
	s_lshl_b64 s[2:3], s[2:3], 4
	s_lshl_b64 s[4:5], s[14:15], 4
	s_add_u32 s4, s12, s4
	s_addc_u32 s5, s13, s5
	s_add_u32 s2, s4, s2
	s_addc_u32 s3, s5, s3
	v_lshlrev_b32_e32 v0, 4, v30
	v_mov_b32_e32 v5, v8
	v_mov_b32_e32 v9, s3
	v_add_u32_e32 v24, v63, v0
	v_or_b32_e32 v25, 0x4000, v0
	v_add_u32_e32 v0, 0x100, v0
	v_mov_b32_e32 v8, s2
	v_mad_u64_u32 v[9:10], s[4:5], s16, v0, v[8:9]
	v_lshlrev_b64 v[4:5], 4, v[4:5]
	v_mov_b32_e32 v1, s3
	v_add_co_u32_e64 v8, s[2:3], s2, v4
	v_mov_b32_e32 v4, v10
	v_addc_co_u32_e64 v1, s[2:3], v1, v5, s[2:3]
	v_mad_u64_u32 v[4:5], s[2:3], s17, v0, v[4:5]
	v_mov_b32_e32 v0, 0x100
	v_lshl_add_u32 v0, v36, 4, v0
	v_mad_u64_u32 v[11:12], s[2:3], s24, v0, 0
	v_add_co_u32_e64 v5, s[2:3], s9, v6
	buffer_store_dword v5, off, s[52:55], 0 offset:32 ; 4-byte Folded Spill
	v_addc_co_u32_e64 v5, s[2:3], 0, v7, s[2:3]
	v_mov_b32_e32 v10, v4
	v_mov_b32_e32 v4, v11
	buffer_store_dword v5, off, s[52:55], 0 offset:36 ; 4-byte Folded Spill
	buffer_store_dword v9, off, s[52:55], 0 offset:76 ; 4-byte Folded Spill
	s_nop 0
	buffer_store_dword v10, off, s[52:55], 0 offset:80 ; 4-byte Folded Spill
	buffer_store_dword v4, off, s[52:55], 0 offset:24 ; 4-byte Folded Spill
	s_nop 0
	buffer_store_dword v5, off, s[52:55], 0 offset:28 ; 4-byte Folded Spill
	v_mov_b32_e32 v4, v12
	v_add_u32_e32 v35, v25, v63
	v_mad_u64_u32 v[4:5], s[2:3], s25, v0, v[4:5]
	v_add_co_u32_e64 v0, s[2:3], s9, v8
	v_addc_co_u32_e64 v1, s[2:3], 0, v1, s[2:3]
	buffer_store_dword v0, off, s[52:55], 0 offset:84 ; 4-byte Folded Spill
	s_nop 0
	buffer_store_dword v1, off, s[52:55], 0 offset:88 ; 4-byte Folded Spill
	v_mov_b32_e32 v0, v4
	v_add_u32_e32 v4, 16, v3
	v_ashrrev_i32_e32 v5, 31, v4
	buffer_store_dword v0, off, s[52:55], 0 offset:40 ; 4-byte Folded Spill
	v_lshlrev_b64 v[0:1], 4, v[4:5]
	buffer_store_dword v0, off, s[52:55], 0 offset:60 ; 4-byte Folded Spill
	s_nop 0
	buffer_store_dword v1, off, s[52:55], 0 offset:64 ; 4-byte Folded Spill
	v_sub_co_u32_e64 v0, s[8:9], 0, v30
	v_cmp_gt_i32_e64 s[2:3], s45, v3
	v_cmp_gt_i32_e64 s[4:5], s45, v4
	v_mov_b32_e32 v3, 0x3ff00000
	buffer_store_dword v0, off, s[52:55], 0 offset:92 ; 4-byte Folded Spill
	v_subb_co_u32_e64 v0, s[8:9], 0, 0, s[8:9]
	buffer_store_dword v0, off, s[52:55], 0 offset:96 ; 4-byte Folded Spill
	s_branch .LBB125_4
.LBB125_3:                              ;   in Loop: Header=BB125_4 Depth=1
	s_or_b64 exec, exec, s[10:11]
	s_add_i32 s7, s6, s7
	s_cmp_le_i32 s7, s33
	s_waitcnt vmcnt(1)
	v_add_u32_e32 v20, s50, v20
	s_cbranch_scc0 .LBB125_63
.LBB125_4:                              ; =>This Loop Header: Depth=1
                                        ;     Child Loop BB125_7 Depth 2
	s_lshl_b32 s51, s7, 5
	v_add_u32_e32 v37, s51, v36
	v_mov_b32_e32 v55, 0
	v_mov_b32_e32 v57, 0
	;; [unrolled: 1-line block ×9, first 2 shown]
	s_cmp_lt_i32 s7, 0
	v_mov_b32_e32 v58, 0
	v_mov_b32_e32 v17, 0
	;; [unrolled: 1-line block ×7, first 2 shown]
	v_ashrrev_i32_e32 v38, 31, v37
	buffer_store_dword v20, off, s[52:55], 0 offset:44 ; 4-byte Folded Spill
	s_waitcnt vmcnt(1)
	buffer_store_dword v21, off, s[52:55], 0 offset:48 ; 4-byte Folded Spill
	s_cbranch_scc1 .LBB125_55
; %bb.5:                                ;   in Loop: Header=BB125_4 Depth=1
	buffer_load_dword v0, off, s[52:55], 0 offset:44 ; 4-byte Folded Reload
	buffer_load_dword v1, off, s[52:55], 0 offset:48 ; 4-byte Folded Reload
	v_mov_b32_e32 v12, 0
	v_mov_b32_e32 v14, 0
	v_mov_b32_e32 v61, 0
	v_mov_b32_e32 v59, 0
	v_mov_b32_e32 v18, 0
	v_mov_b32_e32 v16, 0
	v_mov_b32_e32 v57, 0
	v_mov_b32_e32 v55, 0
	v_cmp_le_i32_e64 s[16:17], s46, v37
	v_mov_b32_e32 v13, 0
	s_mov_b64 s[24:25], 0
	v_mov_b32_e32 v15, 0
	v_mov_b32_e32 v62, 0
	;; [unrolled: 1-line block ×7, first 2 shown]
	s_waitcnt vmcnt(1)
	v_mov_b32_e32 v4, v0
	buffer_load_dword v0, off, s[52:55], 0 offset:92 ; 4-byte Folded Reload
	v_ashrrev_i32_e32 v5, 31, v4
	v_lshlrev_b64 v[41:42], 4, v[4:5]
	s_waitcnt vmcnt(0)
	v_add_co_u32_e64 v39, s[8:9], v0, v4
	buffer_load_dword v0, off, s[52:55], 0 offset:96 ; 4-byte Folded Reload
	s_waitcnt vmcnt(0)
	v_addc_co_u32_e64 v40, s[8:9], v0, v5, s[8:9]
	v_mov_b32_e32 v0, v4
	buffer_store_dword v0, off, s[52:55], 0 offset:44 ; 4-byte Folded Spill
	s_nop 0
	buffer_store_dword v1, off, s[52:55], 0 offset:48 ; 4-byte Folded Spill
	v_add_co_u32_e64 v0, s[8:9], 16, v37
	v_addc_co_u32_e64 v1, s[8:9], 0, v38, s[8:9]
	buffer_store_dword v0, off, s[52:55], 0 ; 4-byte Folded Spill
	s_nop 0
	buffer_store_dword v1, off, s[52:55], 0 offset:4 ; 4-byte Folded Spill
	v_cmp_le_i64_e64 s[8:9], s[46:47], v[0:1]
	v_add_co_u32_e64 v0, s[10:11], 16, v39
	v_addc_co_u32_e64 v1, s[10:11], 0, v40, s[10:11]
	buffer_store_dword v0, off, s[52:55], 0 offset:8 ; 4-byte Folded Spill
	s_nop 0
	buffer_store_dword v1, off, s[52:55], 0 offset:12 ; 4-byte Folded Spill
	v_add_co_u32_e64 v0, s[10:11], -16, v39
	v_addc_co_u32_e64 v1, s[10:11], -1, v40, s[10:11]
	buffer_store_dword v0, off, s[52:55], 0 offset:16 ; 4-byte Folded Spill
	s_nop 0
	buffer_store_dword v1, off, s[52:55], 0 offset:20 ; 4-byte Folded Spill
	buffer_load_dword v49, off, s[52:55], 0 offset:76 ; 4-byte Folded Reload
	buffer_load_dword v50, off, s[52:55], 0 offset:80 ; 4-byte Folded Reload
	;; [unrolled: 1-line block ×6, first 2 shown]
	s_branch .LBB125_7
.LBB125_6:                              ;   in Loop: Header=BB125_7 Depth=2
	s_or_b64 exec, exec, s[10:11]
	s_waitcnt lgkmcnt(0)
	s_barrier
	ds_read_b128 v[26:29], v63
	ds_read_b128 v[20:23], v63 offset:16
	ds_read_b128 v[8:11], v63 offset:32
	ds_read_b128 v[4:7], v63 offset:48
	ds_read_b128 v[31:34], v25
	v_add_co_u32_e64 v53, s[10:11], s34, v53
	s_add_u32 s24, s24, 32
	s_addc_u32 s25, s25, 0
	s_waitcnt lgkmcnt(0)
	v_mul_f64 v[45:46], v[28:29], v[33:34]
	v_mul_f64 v[0:1], v[26:27], v[33:34]
	s_sub_i32 s12, s24, 32
	s_cmp_ge_i32 s12, s51
	v_fma_f64 v[45:46], v[26:27], v[31:32], -v[45:46]
	v_fma_f64 v[0:1], v[28:29], v[31:32], v[0:1]
	v_add_f64 v[45:46], v[55:56], v[45:46]
	v_add_f64 v[0:1], v[0:1], v[57:58]
	ds_read_b128 v[55:58], v25 offset:256
	s_waitcnt lgkmcnt(0)
	v_mul_f64 v[47:48], v[28:29], v[57:58]
	v_fma_f64 v[47:48], v[26:27], v[55:56], -v[47:48]
	v_mul_f64 v[26:27], v[26:27], v[57:58]
	v_add_f64 v[47:48], v[16:17], v[47:48]
	v_fma_f64 v[26:27], v[28:29], v[55:56], v[26:27]
	v_add_f64 v[43:44], v[26:27], v[18:19]
	ds_read_b128 v[16:19], v63 offset:8192
	s_waitcnt lgkmcnt(0)
	v_mul_f64 v[26:27], v[18:19], v[33:34]
	v_mul_f64 v[28:29], v[16:17], v[33:34]
	v_fma_f64 v[26:27], v[16:17], v[31:32], -v[26:27]
	v_fma_f64 v[31:32], v[18:19], v[31:32], v[28:29]
	v_add_f64 v[28:29], v[59:60], v[26:27]
	v_mul_f64 v[26:27], v[18:19], v[57:58]
	v_add_f64 v[33:34], v[31:32], v[61:62]
	v_fma_f64 v[26:27], v[16:17], v[55:56], -v[26:27]
	v_mul_f64 v[16:17], v[16:17], v[57:58]
	v_add_f64 v[26:27], v[14:15], v[26:27]
	v_fma_f64 v[16:17], v[18:19], v[55:56], v[16:17]
	v_add_f64 v[31:32], v[16:17], v[12:13]
	ds_read_b128 v[16:19], v25 offset:512
	s_waitcnt lgkmcnt(0)
	v_mul_f64 v[12:13], v[22:23], v[18:19]
	v_mul_f64 v[14:15], v[20:21], v[18:19]
	v_fma_f64 v[12:13], v[20:21], v[16:17], -v[12:13]
	v_fma_f64 v[14:15], v[22:23], v[16:17], v[14:15]
	v_add_f64 v[59:60], v[45:46], v[12:13]
	v_add_f64 v[61:62], v[14:15], v[0:1]
	ds_read_b128 v[12:15], v25 offset:768
	s_waitcnt lgkmcnt(0)
	v_mul_f64 v[0:1], v[22:23], v[14:15]
	v_fma_f64 v[0:1], v[20:21], v[12:13], -v[0:1]
	v_mul_f64 v[20:21], v[20:21], v[14:15]
	v_add_f64 v[55:56], v[47:48], v[0:1]
	v_fma_f64 v[20:21], v[22:23], v[12:13], v[20:21]
	v_add_f64 v[57:58], v[20:21], v[43:44]
	ds_read_b128 v[20:23], v63 offset:8208
	s_waitcnt lgkmcnt(0)
	v_mul_f64 v[0:1], v[22:23], v[18:19]
	v_mul_f64 v[18:19], v[20:21], v[18:19]
	v_fma_f64 v[0:1], v[20:21], v[16:17], -v[0:1]
	v_fma_f64 v[18:19], v[22:23], v[16:17], v[18:19]
	v_add_f64 v[16:17], v[28:29], v[0:1]
	v_mul_f64 v[0:1], v[22:23], v[14:15]
	v_mul_f64 v[14:15], v[20:21], v[14:15]
	v_add_f64 v[18:19], v[18:19], v[33:34]
	v_fma_f64 v[0:1], v[20:21], v[12:13], -v[0:1]
	v_fma_f64 v[14:15], v[22:23], v[12:13], v[14:15]
	ds_read_b128 v[20:23], v25 offset:1024
	v_add_f64 v[12:13], v[26:27], v[0:1]
	s_waitcnt lgkmcnt(0)
	v_mul_f64 v[26:27], v[8:9], v[22:23]
	v_add_f64 v[14:15], v[14:15], v[31:32]
	v_mul_f64 v[0:1], v[10:11], v[22:23]
	v_fma_f64 v[26:27], v[10:11], v[20:21], v[26:27]
	v_fma_f64 v[0:1], v[8:9], v[20:21], -v[0:1]
	v_add_f64 v[31:32], v[26:27], v[61:62]
	ds_read_b128 v[26:29], v25 offset:1280
	v_add_f64 v[0:1], v[59:60], v[0:1]
	s_waitcnt lgkmcnt(0)
	v_mul_f64 v[33:34], v[10:11], v[28:29]
	v_fma_f64 v[33:34], v[8:9], v[26:27], -v[33:34]
	v_mul_f64 v[8:9], v[8:9], v[28:29]
	v_add_f64 v[33:34], v[55:56], v[33:34]
	v_fma_f64 v[8:9], v[10:11], v[26:27], v[8:9]
	v_add_f64 v[43:44], v[8:9], v[57:58]
	ds_read_b128 v[8:11], v63 offset:8224
	s_waitcnt lgkmcnt(0)
	v_mul_f64 v[45:46], v[10:11], v[22:23]
	v_mul_f64 v[22:23], v[8:9], v[22:23]
	v_fma_f64 v[45:46], v[8:9], v[20:21], -v[45:46]
	v_fma_f64 v[22:23], v[10:11], v[20:21], v[22:23]
	v_add_f64 v[20:21], v[16:17], v[45:46]
	v_mul_f64 v[16:17], v[10:11], v[28:29]
	v_add_f64 v[22:23], v[22:23], v[18:19]
	v_fma_f64 v[16:17], v[8:9], v[26:27], -v[16:17]
	v_mul_f64 v[8:9], v[8:9], v[28:29]
	v_fma_f64 v[8:9], v[10:11], v[26:27], v[8:9]
	v_add_f64 v[26:27], v[12:13], v[16:17]
	v_add_f64 v[28:29], v[8:9], v[14:15]
	ds_read_b128 v[8:11], v25 offset:1536
	s_waitcnt lgkmcnt(0)
	v_mul_f64 v[12:13], v[6:7], v[10:11]
	v_mul_f64 v[14:15], v[4:5], v[10:11]
	v_fma_f64 v[12:13], v[4:5], v[8:9], -v[12:13]
	v_fma_f64 v[14:15], v[6:7], v[8:9], v[14:15]
	v_add_f64 v[16:17], v[0:1], v[12:13]
	v_add_f64 v[18:19], v[14:15], v[31:32]
	ds_read_b128 v[12:15], v25 offset:1792
	s_waitcnt lgkmcnt(0)
	v_mul_f64 v[0:1], v[6:7], v[14:15]
	v_fma_f64 v[0:1], v[4:5], v[12:13], -v[0:1]
	v_mul_f64 v[4:5], v[4:5], v[14:15]
	v_fma_f64 v[6:7], v[6:7], v[12:13], v[4:5]
	v_add_f64 v[4:5], v[33:34], v[0:1]
	ds_read_b128 v[31:34], v63 offset:8240
	s_waitcnt lgkmcnt(0)
	v_mul_f64 v[0:1], v[33:34], v[10:11]
	v_mul_f64 v[10:11], v[31:32], v[10:11]
	v_add_f64 v[6:7], v[6:7], v[43:44]
	v_fma_f64 v[0:1], v[31:32], v[8:9], -v[0:1]
	v_fma_f64 v[8:9], v[33:34], v[8:9], v[10:11]
	v_mul_f64 v[10:11], v[31:32], v[14:15]
	v_add_f64 v[0:1], v[20:21], v[0:1]
	v_add_f64 v[43:44], v[8:9], v[22:23]
	v_mul_f64 v[8:9], v[33:34], v[14:15]
	v_fma_f64 v[10:11], v[33:34], v[12:13], v[10:11]
	v_fma_f64 v[8:9], v[31:32], v[12:13], -v[8:9]
	v_add_f64 v[33:34], v[10:11], v[28:29]
	v_add_f64 v[31:32], v[26:27], v[8:9]
	ds_read_b128 v[8:11], v63 offset:64
	ds_read_b128 v[12:15], v25 offset:2048
	;; [unrolled: 1-line block ×3, first 2 shown]
	s_waitcnt lgkmcnt(1)
	v_mul_f64 v[20:21], v[10:11], v[14:15]
	v_mul_f64 v[22:23], v[8:9], v[14:15]
	v_fma_f64 v[20:21], v[8:9], v[12:13], -v[20:21]
	v_fma_f64 v[22:23], v[10:11], v[12:13], v[22:23]
	v_add_f64 v[20:21], v[16:17], v[20:21]
	s_waitcnt lgkmcnt(0)
	v_mul_f64 v[16:17], v[10:11], v[28:29]
	v_add_f64 v[22:23], v[22:23], v[18:19]
	v_fma_f64 v[16:17], v[8:9], v[26:27], -v[16:17]
	v_mul_f64 v[8:9], v[8:9], v[28:29]
	v_add_f64 v[45:46], v[4:5], v[16:17]
	v_fma_f64 v[8:9], v[10:11], v[26:27], v[8:9]
	v_add_f64 v[47:48], v[8:9], v[6:7]
	ds_read_b128 v[4:7], v63 offset:8256
	s_waitcnt lgkmcnt(0)
	v_mul_f64 v[8:9], v[6:7], v[14:15]
	v_mul_f64 v[10:11], v[4:5], v[14:15]
	v_fma_f64 v[8:9], v[4:5], v[12:13], -v[8:9]
	v_fma_f64 v[10:11], v[6:7], v[12:13], v[10:11]
	v_add_f64 v[16:17], v[0:1], v[8:9]
	v_mul_f64 v[0:1], v[6:7], v[28:29]
	v_add_f64 v[18:19], v[10:11], v[43:44]
	ds_read_b128 v[55:58], v63 offset:80
	ds_read_b128 v[8:11], v25 offset:2560
	v_fma_f64 v[0:1], v[4:5], v[26:27], -v[0:1]
	v_mul_f64 v[4:5], v[4:5], v[28:29]
	v_add_f64 v[12:13], v[31:32], v[0:1]
	v_fma_f64 v[4:5], v[6:7], v[26:27], v[4:5]
	s_waitcnt lgkmcnt(0)
	v_mul_f64 v[0:1], v[57:58], v[10:11]
	v_add_f64 v[14:15], v[4:5], v[33:34]
	v_mul_f64 v[4:5], v[55:56], v[10:11]
	v_fma_f64 v[0:1], v[55:56], v[8:9], -v[0:1]
	v_fma_f64 v[4:5], v[57:58], v[8:9], v[4:5]
	v_add_f64 v[26:27], v[20:21], v[0:1]
	v_add_f64 v[31:32], v[4:5], v[22:23]
	ds_read_b128 v[4:7], v25 offset:2816
	s_waitcnt lgkmcnt(0)
	v_mul_f64 v[0:1], v[57:58], v[6:7]
	v_mul_f64 v[20:21], v[55:56], v[6:7]
	v_fma_f64 v[0:1], v[55:56], v[4:5], -v[0:1]
	v_fma_f64 v[22:23], v[57:58], v[4:5], v[20:21]
	ds_read_b128 v[55:58], v63 offset:8272
	v_add_f64 v[20:21], v[45:46], v[0:1]
	s_waitcnt lgkmcnt(0)
	v_mul_f64 v[0:1], v[57:58], v[10:11]
	v_mul_f64 v[10:11], v[55:56], v[10:11]
	v_add_f64 v[22:23], v[22:23], v[47:48]
	v_fma_f64 v[0:1], v[55:56], v[8:9], -v[0:1]
	v_fma_f64 v[8:9], v[57:58], v[8:9], v[10:11]
	v_add_f64 v[0:1], v[16:17], v[0:1]
	v_add_f64 v[28:29], v[8:9], v[18:19]
	v_mul_f64 v[8:9], v[57:58], v[6:7]
	v_mul_f64 v[6:7], v[55:56], v[6:7]
	v_fma_f64 v[8:9], v[55:56], v[4:5], -v[8:9]
	v_fma_f64 v[4:5], v[57:58], v[4:5], v[6:7]
	v_add_f64 v[33:34], v[12:13], v[8:9]
	v_add_f64 v[43:44], v[4:5], v[14:15]
	ds_read_b128 v[8:11], v63 offset:96
	ds_read_b128 v[12:15], v25 offset:3072
	;; [unrolled: 1-line block ×3, first 2 shown]
	s_waitcnt lgkmcnt(1)
	v_mul_f64 v[4:5], v[10:11], v[14:15]
	v_mul_f64 v[6:7], v[8:9], v[14:15]
	v_fma_f64 v[4:5], v[8:9], v[12:13], -v[4:5]
	v_fma_f64 v[6:7], v[10:11], v[12:13], v[6:7]
	v_add_f64 v[4:5], v[26:27], v[4:5]
	s_waitcnt lgkmcnt(0)
	v_mul_f64 v[26:27], v[10:11], v[18:19]
	v_add_f64 v[6:7], v[6:7], v[31:32]
	v_fma_f64 v[26:27], v[8:9], v[16:17], -v[26:27]
	v_mul_f64 v[8:9], v[8:9], v[18:19]
	v_add_f64 v[45:46], v[20:21], v[26:27]
	v_fma_f64 v[8:9], v[10:11], v[16:17], v[8:9]
	v_add_f64 v[47:48], v[8:9], v[22:23]
	ds_read_b128 v[8:11], v63 offset:8288
	s_waitcnt lgkmcnt(0)
	v_mul_f64 v[20:21], v[10:11], v[14:15]
	v_mul_f64 v[14:15], v[8:9], v[14:15]
	v_fma_f64 v[20:21], v[8:9], v[12:13], -v[20:21]
	v_fma_f64 v[12:13], v[10:11], v[12:13], v[14:15]
	v_add_f64 v[20:21], v[0:1], v[20:21]
	v_mul_f64 v[0:1], v[10:11], v[18:19]
	v_add_f64 v[22:23], v[12:13], v[28:29]
	v_fma_f64 v[0:1], v[8:9], v[16:17], -v[0:1]
	v_mul_f64 v[8:9], v[8:9], v[18:19]
	v_fma_f64 v[8:9], v[10:11], v[16:17], v[8:9]
	v_add_f64 v[16:17], v[33:34], v[0:1]
	v_add_f64 v[18:19], v[8:9], v[43:44]
	ds_read_b128 v[12:15], v63 offset:112
	ds_read_b128 v[8:11], v25 offset:3584
	s_waitcnt lgkmcnt(0)
	v_mul_f64 v[0:1], v[14:15], v[10:11]
	v_mul_f64 v[26:27], v[12:13], v[10:11]
	v_fma_f64 v[0:1], v[12:13], v[8:9], -v[0:1]
	v_fma_f64 v[28:29], v[14:15], v[8:9], v[26:27]
	v_add_f64 v[26:27], v[4:5], v[0:1]
	v_add_f64 v[31:32], v[28:29], v[6:7]
	ds_read_b128 v[4:7], v25 offset:3840
	s_waitcnt lgkmcnt(0)
	v_mul_f64 v[0:1], v[14:15], v[6:7]
	v_fma_f64 v[0:1], v[12:13], v[4:5], -v[0:1]
	v_mul_f64 v[12:13], v[12:13], v[6:7]
	v_add_f64 v[55:56], v[45:46], v[0:1]
	v_fma_f64 v[12:13], v[14:15], v[4:5], v[12:13]
	v_add_f64 v[57:58], v[12:13], v[47:48]
	ds_read_b128 v[12:15], v63 offset:8304
	s_waitcnt lgkmcnt(0)
	v_mul_f64 v[0:1], v[14:15], v[10:11]
	v_mul_f64 v[10:11], v[12:13], v[10:11]
	v_fma_f64 v[0:1], v[12:13], v[8:9], -v[0:1]
	v_fma_f64 v[8:9], v[14:15], v[8:9], v[10:11]
	v_add_f64 v[0:1], v[20:21], v[0:1]
	v_add_f64 v[22:23], v[8:9], v[22:23]
	v_mul_f64 v[8:9], v[14:15], v[6:7]
	v_mul_f64 v[6:7], v[12:13], v[6:7]
	v_fma_f64 v[8:9], v[12:13], v[4:5], -v[8:9]
	v_fma_f64 v[4:5], v[14:15], v[4:5], v[6:7]
	v_add_f64 v[28:29], v[16:17], v[8:9]
	v_add_f64 v[33:34], v[4:5], v[18:19]
	ds_read_b128 v[8:11], v63 offset:128
	ds_read_b128 v[12:15], v25 offset:4096
	;; [unrolled: 1-line block ×3, first 2 shown]
	s_waitcnt lgkmcnt(1)
	v_mul_f64 v[4:5], v[10:11], v[14:15]
	s_waitcnt lgkmcnt(0)
	v_mul_f64 v[20:21], v[10:11], v[18:19]
	v_mul_f64 v[6:7], v[8:9], v[14:15]
	v_fma_f64 v[4:5], v[8:9], v[12:13], -v[4:5]
	v_fma_f64 v[20:21], v[8:9], v[16:17], -v[20:21]
	v_mul_f64 v[8:9], v[8:9], v[18:19]
	v_fma_f64 v[6:7], v[10:11], v[12:13], v[6:7]
	v_add_f64 v[4:5], v[26:27], v[4:5]
	v_add_f64 v[43:44], v[55:56], v[20:21]
	v_fma_f64 v[8:9], v[10:11], v[16:17], v[8:9]
	v_add_f64 v[6:7], v[6:7], v[31:32]
	v_add_f64 v[45:46], v[8:9], v[57:58]
	ds_read_b128 v[8:11], v63 offset:8320
	s_waitcnt lgkmcnt(0)
	v_mul_f64 v[20:21], v[10:11], v[14:15]
	v_mul_f64 v[14:15], v[8:9], v[14:15]
	v_fma_f64 v[20:21], v[8:9], v[12:13], -v[20:21]
	v_fma_f64 v[12:13], v[10:11], v[12:13], v[14:15]
	v_add_f64 v[20:21], v[0:1], v[20:21]
	v_mul_f64 v[0:1], v[10:11], v[18:19]
	v_add_f64 v[22:23], v[12:13], v[22:23]
	v_fma_f64 v[0:1], v[8:9], v[16:17], -v[0:1]
	v_mul_f64 v[8:9], v[8:9], v[18:19]
	v_fma_f64 v[8:9], v[10:11], v[16:17], v[8:9]
	v_add_f64 v[16:17], v[28:29], v[0:1]
	v_add_f64 v[18:19], v[8:9], v[33:34]
	ds_read_b128 v[12:15], v63 offset:144
	ds_read_b128 v[8:11], v25 offset:4608
	s_waitcnt lgkmcnt(0)
	v_mul_f64 v[0:1], v[14:15], v[10:11]
	v_mul_f64 v[26:27], v[12:13], v[10:11]
	v_fma_f64 v[0:1], v[12:13], v[8:9], -v[0:1]
	v_fma_f64 v[28:29], v[14:15], v[8:9], v[26:27]
	v_add_f64 v[26:27], v[4:5], v[0:1]
	v_add_f64 v[31:32], v[28:29], v[6:7]
	ds_read_b128 v[4:7], v25 offset:4864
	s_waitcnt lgkmcnt(0)
	v_mul_f64 v[0:1], v[14:15], v[6:7]
	v_fma_f64 v[0:1], v[12:13], v[4:5], -v[0:1]
	v_mul_f64 v[12:13], v[12:13], v[6:7]
	v_add_f64 v[55:56], v[43:44], v[0:1]
	v_fma_f64 v[12:13], v[14:15], v[4:5], v[12:13]
	v_add_f64 v[57:58], v[12:13], v[45:46]
	ds_read_b128 v[12:15], v63 offset:8336
	s_waitcnt lgkmcnt(0)
	v_mul_f64 v[0:1], v[14:15], v[10:11]
	v_mul_f64 v[10:11], v[12:13], v[10:11]
	v_fma_f64 v[0:1], v[12:13], v[8:9], -v[0:1]
	v_fma_f64 v[8:9], v[14:15], v[8:9], v[10:11]
	v_add_f64 v[0:1], v[20:21], v[0:1]
	v_add_f64 v[22:23], v[8:9], v[22:23]
	v_mul_f64 v[8:9], v[14:15], v[6:7]
	v_mul_f64 v[6:7], v[12:13], v[6:7]
	v_fma_f64 v[8:9], v[12:13], v[4:5], -v[8:9]
	v_fma_f64 v[4:5], v[14:15], v[4:5], v[6:7]
	v_add_f64 v[28:29], v[16:17], v[8:9]
	v_add_f64 v[33:34], v[4:5], v[18:19]
	ds_read_b128 v[8:11], v63 offset:160
	ds_read_b128 v[12:15], v25 offset:5120
	;; [unrolled: 1-line block ×3, first 2 shown]
	s_waitcnt lgkmcnt(1)
	v_mul_f64 v[4:5], v[10:11], v[14:15]
	s_waitcnt lgkmcnt(0)
	v_mul_f64 v[20:21], v[10:11], v[18:19]
	v_mul_f64 v[6:7], v[8:9], v[14:15]
	v_fma_f64 v[4:5], v[8:9], v[12:13], -v[4:5]
	v_fma_f64 v[20:21], v[8:9], v[16:17], -v[20:21]
	v_mul_f64 v[8:9], v[8:9], v[18:19]
	v_fma_f64 v[6:7], v[10:11], v[12:13], v[6:7]
	v_add_f64 v[4:5], v[26:27], v[4:5]
	v_fma_f64 v[8:9], v[10:11], v[16:17], v[8:9]
	v_add_f64 v[6:7], v[6:7], v[31:32]
	v_add_f64 v[31:32], v[55:56], v[20:21]
	;; [unrolled: 1-line block ×3, first 2 shown]
	ds_read_b128 v[8:11], v63 offset:8352
	s_waitcnt lgkmcnt(0)
	v_mul_f64 v[20:21], v[10:11], v[14:15]
	v_mul_f64 v[14:15], v[8:9], v[14:15]
	v_fma_f64 v[20:21], v[8:9], v[12:13], -v[20:21]
	v_fma_f64 v[12:13], v[10:11], v[12:13], v[14:15]
	v_add_f64 v[20:21], v[0:1], v[20:21]
	v_mul_f64 v[0:1], v[10:11], v[18:19]
	v_add_f64 v[22:23], v[12:13], v[22:23]
	v_fma_f64 v[0:1], v[8:9], v[16:17], -v[0:1]
	v_mul_f64 v[8:9], v[8:9], v[18:19]
	v_fma_f64 v[8:9], v[10:11], v[16:17], v[8:9]
	v_add_f64 v[16:17], v[28:29], v[0:1]
	v_add_f64 v[18:19], v[8:9], v[33:34]
	ds_read_b128 v[12:15], v63 offset:176
	ds_read_b128 v[8:11], v25 offset:5632
	s_waitcnt lgkmcnt(0)
	v_mul_f64 v[0:1], v[14:15], v[10:11]
	v_mul_f64 v[26:27], v[12:13], v[10:11]
	v_fma_f64 v[0:1], v[12:13], v[8:9], -v[0:1]
	v_fma_f64 v[28:29], v[14:15], v[8:9], v[26:27]
	v_add_f64 v[26:27], v[4:5], v[0:1]
	v_add_f64 v[28:29], v[28:29], v[6:7]
	ds_read_b128 v[4:7], v25 offset:5888
	s_waitcnt lgkmcnt(0)
	v_mul_f64 v[0:1], v[14:15], v[6:7]
	v_fma_f64 v[0:1], v[12:13], v[4:5], -v[0:1]
	v_mul_f64 v[12:13], v[12:13], v[6:7]
	v_add_f64 v[55:56], v[31:32], v[0:1]
	v_fma_f64 v[12:13], v[14:15], v[4:5], v[12:13]
	v_add_f64 v[57:58], v[12:13], v[43:44]
	ds_read_b128 v[12:15], v63 offset:8368
	s_waitcnt lgkmcnt(0)
	v_mul_f64 v[0:1], v[14:15], v[10:11]
	v_mul_f64 v[10:11], v[12:13], v[10:11]
	v_fma_f64 v[0:1], v[12:13], v[8:9], -v[0:1]
	v_fma_f64 v[8:9], v[14:15], v[8:9], v[10:11]
	v_add_f64 v[0:1], v[20:21], v[0:1]
	v_add_f64 v[20:21], v[8:9], v[22:23]
	v_mul_f64 v[8:9], v[14:15], v[6:7]
	v_mul_f64 v[6:7], v[12:13], v[6:7]
	v_fma_f64 v[8:9], v[12:13], v[4:5], -v[8:9]
	v_fma_f64 v[4:5], v[14:15], v[4:5], v[6:7]
	v_add_f64 v[22:23], v[16:17], v[8:9]
	v_add_f64 v[31:32], v[4:5], v[18:19]
	ds_read_b128 v[4:7], v63 offset:192
	ds_read_b128 v[12:15], v25 offset:6144
	;; [unrolled: 1-line block ×3, first 2 shown]
	s_waitcnt lgkmcnt(1)
	v_mul_f64 v[8:9], v[6:7], v[14:15]
	v_mul_f64 v[10:11], v[4:5], v[14:15]
	v_fma_f64 v[8:9], v[4:5], v[12:13], -v[8:9]
	v_fma_f64 v[10:11], v[6:7], v[12:13], v[10:11]
	v_add_f64 v[8:9], v[26:27], v[8:9]
	s_waitcnt lgkmcnt(0)
	v_mul_f64 v[26:27], v[6:7], v[18:19]
	v_add_f64 v[10:11], v[10:11], v[28:29]
	v_fma_f64 v[26:27], v[4:5], v[16:17], -v[26:27]
	v_mul_f64 v[4:5], v[4:5], v[18:19]
	v_add_f64 v[28:29], v[55:56], v[26:27]
	v_fma_f64 v[4:5], v[6:7], v[16:17], v[4:5]
	v_add_f64 v[33:34], v[4:5], v[57:58]
	ds_read_b128 v[4:7], v63 offset:8384
	s_waitcnt lgkmcnt(0)
	v_mul_f64 v[26:27], v[6:7], v[14:15]
	v_mul_f64 v[14:15], v[4:5], v[14:15]
	v_fma_f64 v[26:27], v[4:5], v[12:13], -v[26:27]
	v_fma_f64 v[14:15], v[6:7], v[12:13], v[14:15]
	v_add_f64 v[12:13], v[0:1], v[26:27]
	v_mul_f64 v[0:1], v[6:7], v[18:19]
	v_add_f64 v[14:15], v[14:15], v[20:21]
	v_fma_f64 v[0:1], v[4:5], v[16:17], -v[0:1]
	v_mul_f64 v[4:5], v[4:5], v[18:19]
	v_fma_f64 v[4:5], v[6:7], v[16:17], v[4:5]
	v_add_f64 v[16:17], v[22:23], v[0:1]
	v_add_f64 v[18:19], v[4:5], v[31:32]
	ds_read_b128 v[20:23], v63 offset:208
	ds_read_b128 v[4:7], v25 offset:6656
	;; [unrolled: 1-line block ×3, first 2 shown]
	s_waitcnt lgkmcnt(1)
	v_mul_f64 v[0:1], v[22:23], v[6:7]
	v_mul_f64 v[26:27], v[20:21], v[6:7]
	v_fma_f64 v[0:1], v[20:21], v[4:5], -v[0:1]
	v_fma_f64 v[31:32], v[22:23], v[4:5], v[26:27]
	v_add_f64 v[26:27], v[8:9], v[0:1]
	v_add_f64 v[31:32], v[31:32], v[10:11]
	ds_read_b128 v[8:11], v25 offset:6912
	s_waitcnt lgkmcnt(0)
	v_mul_f64 v[0:1], v[22:23], v[10:11]
	v_fma_f64 v[0:1], v[20:21], v[8:9], -v[0:1]
	v_mul_f64 v[20:21], v[20:21], v[10:11]
	v_fma_f64 v[22:23], v[22:23], v[8:9], v[20:21]
	v_add_f64 v[20:21], v[28:29], v[0:1]
	v_mul_f64 v[0:1], v[57:58], v[6:7]
	v_mul_f64 v[6:7], v[55:56], v[6:7]
	v_add_f64 v[22:23], v[22:23], v[33:34]
	v_fma_f64 v[0:1], v[55:56], v[4:5], -v[0:1]
	v_fma_f64 v[4:5], v[57:58], v[4:5], v[6:7]
	v_mul_f64 v[6:7], v[55:56], v[10:11]
	v_add_f64 v[0:1], v[12:13], v[0:1]
	v_add_f64 v[33:34], v[4:5], v[14:15]
	v_mul_f64 v[4:5], v[57:58], v[10:11]
	v_fma_f64 v[6:7], v[57:58], v[8:9], v[6:7]
	v_fma_f64 v[4:5], v[55:56], v[8:9], -v[4:5]
	ds_read_b128 v[8:11], v63 offset:224
	ds_read_b128 v[12:15], v25 offset:7168
	v_add_f64 v[45:46], v[6:7], v[18:19]
	s_waitcnt lgkmcnt(0)
	v_mul_f64 v[6:7], v[8:9], v[14:15]
	v_add_f64 v[43:44], v[16:17], v[4:5]
	v_mul_f64 v[4:5], v[10:11], v[14:15]
	v_fma_f64 v[6:7], v[10:11], v[12:13], v[6:7]
	v_fma_f64 v[4:5], v[8:9], v[12:13], -v[4:5]
	v_add_f64 v[6:7], v[6:7], v[31:32]
	v_add_f64 v[4:5], v[26:27], v[4:5]
	ds_read_b128 v[26:29], v25 offset:7424
	s_waitcnt lgkmcnt(0)
	v_mul_f64 v[16:17], v[10:11], v[28:29]
	v_fma_f64 v[16:17], v[8:9], v[26:27], -v[16:17]
	v_mul_f64 v[8:9], v[8:9], v[28:29]
	v_add_f64 v[47:48], v[20:21], v[16:17]
	v_fma_f64 v[8:9], v[10:11], v[26:27], v[8:9]
	v_add_f64 v[55:56], v[8:9], v[22:23]
	ds_read_b128 v[8:11], v63 offset:8416
	s_waitcnt lgkmcnt(0)
	v_mul_f64 v[16:17], v[10:11], v[14:15]
	v_mul_f64 v[14:15], v[8:9], v[14:15]
	v_fma_f64 v[16:17], v[8:9], v[12:13], -v[16:17]
	v_fma_f64 v[12:13], v[10:11], v[12:13], v[14:15]
	v_add_f64 v[16:17], v[0:1], v[16:17]
	v_mul_f64 v[0:1], v[10:11], v[28:29]
	v_add_f64 v[18:19], v[12:13], v[33:34]
	v_fma_f64 v[0:1], v[8:9], v[26:27], -v[0:1]
	v_mul_f64 v[8:9], v[8:9], v[28:29]
	v_add_f64 v[12:13], v[43:44], v[0:1]
	v_fma_f64 v[8:9], v[10:11], v[26:27], v[8:9]
	v_add_f64 v[14:15], v[8:9], v[45:46]
	ds_read_b128 v[20:23], v63 offset:240
	ds_read_b128 v[8:11], v25 offset:7680
	s_waitcnt lgkmcnt(0)
	v_mul_f64 v[0:1], v[22:23], v[10:11]
	v_mul_f64 v[26:27], v[20:21], v[10:11]
	v_fma_f64 v[0:1], v[20:21], v[8:9], -v[0:1]
	v_fma_f64 v[28:29], v[22:23], v[8:9], v[26:27]
	v_add_f64 v[26:27], v[4:5], v[0:1]
	v_add_f64 v[31:32], v[28:29], v[6:7]
	ds_read_b128 v[4:7], v25 offset:7936
	s_waitcnt lgkmcnt(0)
	v_mul_f64 v[0:1], v[22:23], v[6:7]
	v_fma_f64 v[0:1], v[20:21], v[4:5], -v[0:1]
	v_mul_f64 v[20:21], v[20:21], v[6:7]
	v_fma_f64 v[22:23], v[22:23], v[4:5], v[20:21]
	v_add_f64 v[20:21], v[47:48], v[0:1]
	v_add_f64 v[22:23], v[22:23], v[55:56]
	ds_read_b128 v[55:58], v63 offset:8432
	s_waitcnt lgkmcnt(0)
	v_mul_f64 v[0:1], v[57:58], v[10:11]
	v_mul_f64 v[10:11], v[55:56], v[10:11]
	v_fma_f64 v[0:1], v[55:56], v[8:9], -v[0:1]
	v_fma_f64 v[8:9], v[57:58], v[8:9], v[10:11]
	v_add_f64 v[0:1], v[16:17], v[0:1]
	v_add_f64 v[28:29], v[8:9], v[18:19]
	v_mul_f64 v[8:9], v[57:58], v[6:7]
	v_mul_f64 v[6:7], v[55:56], v[6:7]
	v_fma_f64 v[8:9], v[55:56], v[4:5], -v[8:9]
	v_fma_f64 v[4:5], v[57:58], v[4:5], v[6:7]
	v_add_f64 v[33:34], v[12:13], v[8:9]
	v_add_f64 v[43:44], v[4:5], v[14:15]
	ds_read_b128 v[8:11], v63 offset:256
	ds_read_b128 v[12:15], v25 offset:8192
	;; [unrolled: 1-line block ×3, first 2 shown]
	s_waitcnt lgkmcnt(1)
	v_mul_f64 v[4:5], v[10:11], v[14:15]
	v_mul_f64 v[6:7], v[8:9], v[14:15]
	v_fma_f64 v[4:5], v[8:9], v[12:13], -v[4:5]
	v_fma_f64 v[6:7], v[10:11], v[12:13], v[6:7]
	v_add_f64 v[4:5], v[26:27], v[4:5]
	s_waitcnt lgkmcnt(0)
	v_mul_f64 v[26:27], v[10:11], v[18:19]
	v_add_f64 v[6:7], v[6:7], v[31:32]
	v_fma_f64 v[26:27], v[8:9], v[16:17], -v[26:27]
	v_mul_f64 v[8:9], v[8:9], v[18:19]
	v_add_f64 v[45:46], v[20:21], v[26:27]
	v_fma_f64 v[8:9], v[10:11], v[16:17], v[8:9]
	v_add_f64 v[47:48], v[8:9], v[22:23]
	ds_read_b128 v[8:11], v63 offset:8448
	s_waitcnt lgkmcnt(0)
	v_mul_f64 v[20:21], v[10:11], v[14:15]
	v_mul_f64 v[14:15], v[8:9], v[14:15]
	v_fma_f64 v[20:21], v[8:9], v[12:13], -v[20:21]
	v_fma_f64 v[12:13], v[10:11], v[12:13], v[14:15]
	v_add_f64 v[20:21], v[0:1], v[20:21]
	v_mul_f64 v[0:1], v[10:11], v[18:19]
	v_add_f64 v[22:23], v[12:13], v[28:29]
	v_fma_f64 v[0:1], v[8:9], v[16:17], -v[0:1]
	v_mul_f64 v[8:9], v[8:9], v[18:19]
	v_fma_f64 v[8:9], v[10:11], v[16:17], v[8:9]
	v_add_f64 v[16:17], v[33:34], v[0:1]
	v_add_f64 v[18:19], v[8:9], v[43:44]
	ds_read_b128 v[12:15], v63 offset:272
	ds_read_b128 v[8:11], v25 offset:8704
	s_waitcnt lgkmcnt(0)
	v_mul_f64 v[0:1], v[14:15], v[10:11]
	v_mul_f64 v[26:27], v[12:13], v[10:11]
	v_fma_f64 v[0:1], v[12:13], v[8:9], -v[0:1]
	v_fma_f64 v[28:29], v[14:15], v[8:9], v[26:27]
	v_add_f64 v[26:27], v[4:5], v[0:1]
	v_add_f64 v[31:32], v[28:29], v[6:7]
	ds_read_b128 v[4:7], v25 offset:8960
	s_waitcnt lgkmcnt(0)
	v_mul_f64 v[0:1], v[14:15], v[6:7]
	v_fma_f64 v[0:1], v[12:13], v[4:5], -v[0:1]
	v_mul_f64 v[12:13], v[12:13], v[6:7]
	v_add_f64 v[55:56], v[45:46], v[0:1]
	v_fma_f64 v[12:13], v[14:15], v[4:5], v[12:13]
	v_add_f64 v[57:58], v[12:13], v[47:48]
	ds_read_b128 v[12:15], v63 offset:8464
	s_waitcnt lgkmcnt(0)
	v_mul_f64 v[0:1], v[14:15], v[10:11]
	v_mul_f64 v[10:11], v[12:13], v[10:11]
	v_fma_f64 v[0:1], v[12:13], v[8:9], -v[0:1]
	v_fma_f64 v[8:9], v[14:15], v[8:9], v[10:11]
	v_add_f64 v[0:1], v[20:21], v[0:1]
	v_add_f64 v[22:23], v[8:9], v[22:23]
	v_mul_f64 v[8:9], v[14:15], v[6:7]
	v_mul_f64 v[6:7], v[12:13], v[6:7]
	v_fma_f64 v[8:9], v[12:13], v[4:5], -v[8:9]
	v_fma_f64 v[4:5], v[14:15], v[4:5], v[6:7]
	v_add_f64 v[28:29], v[16:17], v[8:9]
	v_add_f64 v[33:34], v[4:5], v[18:19]
	ds_read_b128 v[8:11], v63 offset:288
	ds_read_b128 v[12:15], v25 offset:9216
	;; [unrolled: 1-line block ×3, first 2 shown]
	s_waitcnt lgkmcnt(1)
	v_mul_f64 v[4:5], v[10:11], v[14:15]
	s_waitcnt lgkmcnt(0)
	v_mul_f64 v[20:21], v[10:11], v[18:19]
	v_mul_f64 v[6:7], v[8:9], v[14:15]
	v_fma_f64 v[4:5], v[8:9], v[12:13], -v[4:5]
	v_fma_f64 v[20:21], v[8:9], v[16:17], -v[20:21]
	v_mul_f64 v[8:9], v[8:9], v[18:19]
	v_fma_f64 v[6:7], v[10:11], v[12:13], v[6:7]
	v_add_f64 v[4:5], v[26:27], v[4:5]
	v_add_f64 v[43:44], v[55:56], v[20:21]
	v_fma_f64 v[8:9], v[10:11], v[16:17], v[8:9]
	v_add_f64 v[6:7], v[6:7], v[31:32]
	v_add_f64 v[45:46], v[8:9], v[57:58]
	ds_read_b128 v[8:11], v63 offset:8480
	s_waitcnt lgkmcnt(0)
	v_mul_f64 v[20:21], v[10:11], v[14:15]
	v_mul_f64 v[14:15], v[8:9], v[14:15]
	v_fma_f64 v[20:21], v[8:9], v[12:13], -v[20:21]
	v_fma_f64 v[12:13], v[10:11], v[12:13], v[14:15]
	v_add_f64 v[20:21], v[0:1], v[20:21]
	v_mul_f64 v[0:1], v[10:11], v[18:19]
	v_add_f64 v[22:23], v[12:13], v[22:23]
	v_fma_f64 v[0:1], v[8:9], v[16:17], -v[0:1]
	v_mul_f64 v[8:9], v[8:9], v[18:19]
	v_fma_f64 v[8:9], v[10:11], v[16:17], v[8:9]
	v_add_f64 v[16:17], v[28:29], v[0:1]
	v_add_f64 v[18:19], v[8:9], v[33:34]
	ds_read_b128 v[12:15], v63 offset:304
	ds_read_b128 v[8:11], v25 offset:9728
	s_waitcnt lgkmcnt(0)
	v_mul_f64 v[0:1], v[14:15], v[10:11]
	v_mul_f64 v[26:27], v[12:13], v[10:11]
	v_fma_f64 v[0:1], v[12:13], v[8:9], -v[0:1]
	v_fma_f64 v[28:29], v[14:15], v[8:9], v[26:27]
	v_add_f64 v[26:27], v[4:5], v[0:1]
	v_add_f64 v[31:32], v[28:29], v[6:7]
	ds_read_b128 v[4:7], v25 offset:9984
	s_waitcnt lgkmcnt(0)
	v_mul_f64 v[0:1], v[14:15], v[6:7]
	v_fma_f64 v[0:1], v[12:13], v[4:5], -v[0:1]
	v_mul_f64 v[12:13], v[12:13], v[6:7]
	v_add_f64 v[55:56], v[43:44], v[0:1]
	v_fma_f64 v[12:13], v[14:15], v[4:5], v[12:13]
	v_add_f64 v[57:58], v[12:13], v[45:46]
	ds_read_b128 v[12:15], v63 offset:8496
	s_waitcnt lgkmcnt(0)
	v_mul_f64 v[0:1], v[14:15], v[10:11]
	v_mul_f64 v[10:11], v[12:13], v[10:11]
	v_fma_f64 v[0:1], v[12:13], v[8:9], -v[0:1]
	v_fma_f64 v[8:9], v[14:15], v[8:9], v[10:11]
	v_add_f64 v[0:1], v[20:21], v[0:1]
	v_add_f64 v[22:23], v[8:9], v[22:23]
	v_mul_f64 v[8:9], v[14:15], v[6:7]
	v_mul_f64 v[6:7], v[12:13], v[6:7]
	v_fma_f64 v[8:9], v[12:13], v[4:5], -v[8:9]
	v_fma_f64 v[4:5], v[14:15], v[4:5], v[6:7]
	v_add_f64 v[28:29], v[16:17], v[8:9]
	v_add_f64 v[33:34], v[4:5], v[18:19]
	ds_read_b128 v[8:11], v63 offset:320
	ds_read_b128 v[12:15], v25 offset:10240
	;; [unrolled: 1-line block ×3, first 2 shown]
	s_waitcnt lgkmcnt(1)
	v_mul_f64 v[4:5], v[10:11], v[14:15]
	s_waitcnt lgkmcnt(0)
	v_mul_f64 v[20:21], v[10:11], v[18:19]
	v_mul_f64 v[6:7], v[8:9], v[14:15]
	v_fma_f64 v[4:5], v[8:9], v[12:13], -v[4:5]
	v_fma_f64 v[20:21], v[8:9], v[16:17], -v[20:21]
	v_mul_f64 v[8:9], v[8:9], v[18:19]
	v_fma_f64 v[6:7], v[10:11], v[12:13], v[6:7]
	v_add_f64 v[4:5], v[26:27], v[4:5]
	v_fma_f64 v[8:9], v[10:11], v[16:17], v[8:9]
	v_add_f64 v[6:7], v[6:7], v[31:32]
	v_add_f64 v[31:32], v[55:56], v[20:21]
	;; [unrolled: 1-line block ×3, first 2 shown]
	ds_read_b128 v[8:11], v63 offset:8512
	s_waitcnt lgkmcnt(0)
	v_mul_f64 v[20:21], v[10:11], v[14:15]
	v_mul_f64 v[14:15], v[8:9], v[14:15]
	v_fma_f64 v[20:21], v[8:9], v[12:13], -v[20:21]
	v_fma_f64 v[12:13], v[10:11], v[12:13], v[14:15]
	v_add_f64 v[20:21], v[0:1], v[20:21]
	v_mul_f64 v[0:1], v[10:11], v[18:19]
	v_add_f64 v[22:23], v[12:13], v[22:23]
	v_fma_f64 v[0:1], v[8:9], v[16:17], -v[0:1]
	v_mul_f64 v[8:9], v[8:9], v[18:19]
	v_fma_f64 v[8:9], v[10:11], v[16:17], v[8:9]
	v_add_f64 v[16:17], v[28:29], v[0:1]
	v_add_f64 v[18:19], v[8:9], v[33:34]
	ds_read_b128 v[12:15], v63 offset:336
	ds_read_b128 v[8:11], v25 offset:10752
	s_waitcnt lgkmcnt(0)
	v_mul_f64 v[0:1], v[14:15], v[10:11]
	v_mul_f64 v[26:27], v[12:13], v[10:11]
	v_fma_f64 v[0:1], v[12:13], v[8:9], -v[0:1]
	v_fma_f64 v[28:29], v[14:15], v[8:9], v[26:27]
	v_add_f64 v[26:27], v[4:5], v[0:1]
	v_add_f64 v[28:29], v[28:29], v[6:7]
	ds_read_b128 v[4:7], v25 offset:11008
	s_waitcnt lgkmcnt(0)
	v_mul_f64 v[0:1], v[14:15], v[6:7]
	v_fma_f64 v[0:1], v[12:13], v[4:5], -v[0:1]
	v_mul_f64 v[12:13], v[12:13], v[6:7]
	v_add_f64 v[55:56], v[31:32], v[0:1]
	v_fma_f64 v[12:13], v[14:15], v[4:5], v[12:13]
	v_add_f64 v[57:58], v[12:13], v[43:44]
	ds_read_b128 v[12:15], v63 offset:8528
	s_waitcnt lgkmcnt(0)
	v_mul_f64 v[0:1], v[14:15], v[10:11]
	v_mul_f64 v[10:11], v[12:13], v[10:11]
	v_fma_f64 v[0:1], v[12:13], v[8:9], -v[0:1]
	v_fma_f64 v[8:9], v[14:15], v[8:9], v[10:11]
	v_add_f64 v[0:1], v[20:21], v[0:1]
	v_add_f64 v[20:21], v[8:9], v[22:23]
	v_mul_f64 v[8:9], v[14:15], v[6:7]
	v_mul_f64 v[6:7], v[12:13], v[6:7]
	v_fma_f64 v[8:9], v[12:13], v[4:5], -v[8:9]
	v_fma_f64 v[4:5], v[14:15], v[4:5], v[6:7]
	v_add_f64 v[22:23], v[16:17], v[8:9]
	v_add_f64 v[31:32], v[4:5], v[18:19]
	ds_read_b128 v[4:7], v63 offset:352
	ds_read_b128 v[12:15], v25 offset:11264
	;; [unrolled: 1-line block ×3, first 2 shown]
	s_waitcnt lgkmcnt(1)
	v_mul_f64 v[8:9], v[6:7], v[14:15]
	v_mul_f64 v[10:11], v[4:5], v[14:15]
	v_fma_f64 v[8:9], v[4:5], v[12:13], -v[8:9]
	v_fma_f64 v[10:11], v[6:7], v[12:13], v[10:11]
	v_add_f64 v[8:9], v[26:27], v[8:9]
	s_waitcnt lgkmcnt(0)
	v_mul_f64 v[26:27], v[6:7], v[18:19]
	v_add_f64 v[10:11], v[10:11], v[28:29]
	v_fma_f64 v[26:27], v[4:5], v[16:17], -v[26:27]
	v_mul_f64 v[4:5], v[4:5], v[18:19]
	v_add_f64 v[28:29], v[55:56], v[26:27]
	v_fma_f64 v[4:5], v[6:7], v[16:17], v[4:5]
	v_add_f64 v[33:34], v[4:5], v[57:58]
	ds_read_b128 v[4:7], v63 offset:8544
	s_waitcnt lgkmcnt(0)
	v_mul_f64 v[26:27], v[6:7], v[14:15]
	v_mul_f64 v[14:15], v[4:5], v[14:15]
	v_fma_f64 v[26:27], v[4:5], v[12:13], -v[26:27]
	v_fma_f64 v[14:15], v[6:7], v[12:13], v[14:15]
	v_add_f64 v[12:13], v[0:1], v[26:27]
	v_mul_f64 v[0:1], v[6:7], v[18:19]
	v_add_f64 v[14:15], v[14:15], v[20:21]
	v_fma_f64 v[0:1], v[4:5], v[16:17], -v[0:1]
	v_mul_f64 v[4:5], v[4:5], v[18:19]
	v_fma_f64 v[4:5], v[6:7], v[16:17], v[4:5]
	v_add_f64 v[16:17], v[22:23], v[0:1]
	v_add_f64 v[18:19], v[4:5], v[31:32]
	ds_read_b128 v[20:23], v63 offset:368
	ds_read_b128 v[4:7], v25 offset:11776
	;; [unrolled: 1-line block ×3, first 2 shown]
	s_waitcnt lgkmcnt(1)
	v_mul_f64 v[0:1], v[22:23], v[6:7]
	v_mul_f64 v[26:27], v[20:21], v[6:7]
	v_fma_f64 v[0:1], v[20:21], v[4:5], -v[0:1]
	v_fma_f64 v[31:32], v[22:23], v[4:5], v[26:27]
	v_add_f64 v[26:27], v[8:9], v[0:1]
	v_add_f64 v[31:32], v[31:32], v[10:11]
	ds_read_b128 v[8:11], v25 offset:12032
	s_waitcnt lgkmcnt(0)
	v_mul_f64 v[0:1], v[22:23], v[10:11]
	v_fma_f64 v[0:1], v[20:21], v[8:9], -v[0:1]
	v_mul_f64 v[20:21], v[20:21], v[10:11]
	v_fma_f64 v[22:23], v[22:23], v[8:9], v[20:21]
	v_add_f64 v[20:21], v[28:29], v[0:1]
	v_mul_f64 v[0:1], v[57:58], v[6:7]
	v_mul_f64 v[6:7], v[55:56], v[6:7]
	v_add_f64 v[22:23], v[22:23], v[33:34]
	v_fma_f64 v[0:1], v[55:56], v[4:5], -v[0:1]
	v_fma_f64 v[4:5], v[57:58], v[4:5], v[6:7]
	v_mul_f64 v[6:7], v[55:56], v[10:11]
	v_add_f64 v[0:1], v[12:13], v[0:1]
	v_add_f64 v[33:34], v[4:5], v[14:15]
	v_mul_f64 v[4:5], v[57:58], v[10:11]
	v_fma_f64 v[6:7], v[57:58], v[8:9], v[6:7]
	v_fma_f64 v[4:5], v[55:56], v[8:9], -v[4:5]
	ds_read_b128 v[8:11], v63 offset:384
	ds_read_b128 v[12:15], v25 offset:12288
	v_add_f64 v[45:46], v[6:7], v[18:19]
	s_waitcnt lgkmcnt(0)
	v_mul_f64 v[6:7], v[8:9], v[14:15]
	v_add_f64 v[43:44], v[16:17], v[4:5]
	v_mul_f64 v[4:5], v[10:11], v[14:15]
	v_fma_f64 v[6:7], v[10:11], v[12:13], v[6:7]
	v_fma_f64 v[4:5], v[8:9], v[12:13], -v[4:5]
	v_add_f64 v[6:7], v[6:7], v[31:32]
	v_add_f64 v[4:5], v[26:27], v[4:5]
	ds_read_b128 v[26:29], v25 offset:12544
	s_waitcnt lgkmcnt(0)
	v_mul_f64 v[16:17], v[10:11], v[28:29]
	v_fma_f64 v[16:17], v[8:9], v[26:27], -v[16:17]
	v_mul_f64 v[8:9], v[8:9], v[28:29]
	v_add_f64 v[47:48], v[20:21], v[16:17]
	v_fma_f64 v[8:9], v[10:11], v[26:27], v[8:9]
	v_add_f64 v[55:56], v[8:9], v[22:23]
	ds_read_b128 v[8:11], v63 offset:8576
	s_waitcnt lgkmcnt(0)
	v_mul_f64 v[16:17], v[10:11], v[14:15]
	v_mul_f64 v[14:15], v[8:9], v[14:15]
	v_fma_f64 v[16:17], v[8:9], v[12:13], -v[16:17]
	v_fma_f64 v[12:13], v[10:11], v[12:13], v[14:15]
	v_add_f64 v[16:17], v[0:1], v[16:17]
	v_mul_f64 v[0:1], v[10:11], v[28:29]
	v_add_f64 v[18:19], v[12:13], v[33:34]
	v_fma_f64 v[0:1], v[8:9], v[26:27], -v[0:1]
	v_mul_f64 v[8:9], v[8:9], v[28:29]
	v_add_f64 v[12:13], v[43:44], v[0:1]
	v_fma_f64 v[8:9], v[10:11], v[26:27], v[8:9]
	v_add_f64 v[14:15], v[8:9], v[45:46]
	ds_read_b128 v[20:23], v63 offset:400
	ds_read_b128 v[8:11], v25 offset:12800
	s_waitcnt lgkmcnt(0)
	v_mul_f64 v[0:1], v[22:23], v[10:11]
	v_mul_f64 v[26:27], v[20:21], v[10:11]
	v_fma_f64 v[0:1], v[20:21], v[8:9], -v[0:1]
	v_fma_f64 v[28:29], v[22:23], v[8:9], v[26:27]
	v_add_f64 v[26:27], v[4:5], v[0:1]
	v_add_f64 v[31:32], v[28:29], v[6:7]
	ds_read_b128 v[4:7], v25 offset:13056
	s_waitcnt lgkmcnt(0)
	v_mul_f64 v[0:1], v[22:23], v[6:7]
	v_fma_f64 v[0:1], v[20:21], v[4:5], -v[0:1]
	v_mul_f64 v[20:21], v[20:21], v[6:7]
	v_fma_f64 v[22:23], v[22:23], v[4:5], v[20:21]
	v_add_f64 v[20:21], v[47:48], v[0:1]
	v_add_f64 v[22:23], v[22:23], v[55:56]
	ds_read_b128 v[55:58], v63 offset:8592
	s_waitcnt lgkmcnt(0)
	v_mul_f64 v[0:1], v[57:58], v[10:11]
	v_mul_f64 v[10:11], v[55:56], v[10:11]
	v_fma_f64 v[0:1], v[55:56], v[8:9], -v[0:1]
	v_fma_f64 v[8:9], v[57:58], v[8:9], v[10:11]
	v_add_f64 v[0:1], v[16:17], v[0:1]
	v_add_f64 v[28:29], v[8:9], v[18:19]
	v_mul_f64 v[8:9], v[57:58], v[6:7]
	v_mul_f64 v[6:7], v[55:56], v[6:7]
	v_fma_f64 v[8:9], v[55:56], v[4:5], -v[8:9]
	v_fma_f64 v[4:5], v[57:58], v[4:5], v[6:7]
	v_add_f64 v[33:34], v[12:13], v[8:9]
	v_add_f64 v[43:44], v[4:5], v[14:15]
	ds_read_b128 v[8:11], v63 offset:416
	ds_read_b128 v[12:15], v25 offset:13312
	;; [unrolled: 1-line block ×3, first 2 shown]
	s_waitcnt lgkmcnt(1)
	v_mul_f64 v[4:5], v[10:11], v[14:15]
	v_mul_f64 v[6:7], v[8:9], v[14:15]
	v_fma_f64 v[4:5], v[8:9], v[12:13], -v[4:5]
	v_fma_f64 v[6:7], v[10:11], v[12:13], v[6:7]
	v_add_f64 v[4:5], v[26:27], v[4:5]
	s_waitcnt lgkmcnt(0)
	v_mul_f64 v[26:27], v[10:11], v[18:19]
	v_add_f64 v[6:7], v[6:7], v[31:32]
	v_fma_f64 v[26:27], v[8:9], v[16:17], -v[26:27]
	v_mul_f64 v[8:9], v[8:9], v[18:19]
	v_add_f64 v[45:46], v[20:21], v[26:27]
	v_fma_f64 v[8:9], v[10:11], v[16:17], v[8:9]
	v_add_f64 v[47:48], v[8:9], v[22:23]
	ds_read_b128 v[8:11], v63 offset:8608
	s_waitcnt lgkmcnt(0)
	v_mul_f64 v[20:21], v[10:11], v[14:15]
	v_mul_f64 v[14:15], v[8:9], v[14:15]
	v_fma_f64 v[20:21], v[8:9], v[12:13], -v[20:21]
	v_fma_f64 v[12:13], v[10:11], v[12:13], v[14:15]
	v_add_f64 v[20:21], v[0:1], v[20:21]
	v_mul_f64 v[0:1], v[10:11], v[18:19]
	v_add_f64 v[22:23], v[12:13], v[28:29]
	v_fma_f64 v[0:1], v[8:9], v[16:17], -v[0:1]
	v_mul_f64 v[8:9], v[8:9], v[18:19]
	v_fma_f64 v[8:9], v[10:11], v[16:17], v[8:9]
	v_add_f64 v[16:17], v[33:34], v[0:1]
	v_add_f64 v[18:19], v[8:9], v[43:44]
	ds_read_b128 v[12:15], v63 offset:432
	ds_read_b128 v[8:11], v25 offset:13824
	s_waitcnt lgkmcnt(0)
	v_mul_f64 v[0:1], v[14:15], v[10:11]
	v_mul_f64 v[26:27], v[12:13], v[10:11]
	v_fma_f64 v[0:1], v[12:13], v[8:9], -v[0:1]
	v_fma_f64 v[28:29], v[14:15], v[8:9], v[26:27]
	v_add_f64 v[26:27], v[4:5], v[0:1]
	v_add_f64 v[31:32], v[28:29], v[6:7]
	ds_read_b128 v[4:7], v25 offset:14080
	s_waitcnt lgkmcnt(0)
	v_mul_f64 v[0:1], v[14:15], v[6:7]
	v_fma_f64 v[0:1], v[12:13], v[4:5], -v[0:1]
	v_mul_f64 v[12:13], v[12:13], v[6:7]
	v_add_f64 v[55:56], v[45:46], v[0:1]
	v_fma_f64 v[12:13], v[14:15], v[4:5], v[12:13]
	v_add_f64 v[57:58], v[12:13], v[47:48]
	ds_read_b128 v[12:15], v63 offset:8624
	s_waitcnt lgkmcnt(0)
	v_mul_f64 v[0:1], v[14:15], v[10:11]
	v_mul_f64 v[10:11], v[12:13], v[10:11]
	v_fma_f64 v[0:1], v[12:13], v[8:9], -v[0:1]
	v_fma_f64 v[8:9], v[14:15], v[8:9], v[10:11]
	v_add_f64 v[0:1], v[20:21], v[0:1]
	v_add_f64 v[22:23], v[8:9], v[22:23]
	v_mul_f64 v[8:9], v[14:15], v[6:7]
	v_mul_f64 v[6:7], v[12:13], v[6:7]
	v_fma_f64 v[8:9], v[12:13], v[4:5], -v[8:9]
	v_fma_f64 v[4:5], v[14:15], v[4:5], v[6:7]
	v_add_f64 v[28:29], v[16:17], v[8:9]
	v_add_f64 v[33:34], v[4:5], v[18:19]
	ds_read_b128 v[8:11], v63 offset:448
	ds_read_b128 v[12:15], v25 offset:14336
	;; [unrolled: 1-line block ×3, first 2 shown]
	s_waitcnt lgkmcnt(1)
	v_mul_f64 v[4:5], v[10:11], v[14:15]
	s_waitcnt lgkmcnt(0)
	v_mul_f64 v[20:21], v[10:11], v[18:19]
	v_mul_f64 v[6:7], v[8:9], v[14:15]
	v_fma_f64 v[4:5], v[8:9], v[12:13], -v[4:5]
	v_fma_f64 v[20:21], v[8:9], v[16:17], -v[20:21]
	v_mul_f64 v[8:9], v[8:9], v[18:19]
	v_fma_f64 v[6:7], v[10:11], v[12:13], v[6:7]
	v_add_f64 v[4:5], v[26:27], v[4:5]
	v_add_f64 v[43:44], v[55:56], v[20:21]
	v_fma_f64 v[8:9], v[10:11], v[16:17], v[8:9]
	v_add_f64 v[6:7], v[6:7], v[31:32]
	v_add_f64 v[45:46], v[8:9], v[57:58]
	ds_read_b128 v[8:11], v63 offset:8640
	s_waitcnt lgkmcnt(0)
	v_mul_f64 v[20:21], v[10:11], v[14:15]
	v_mul_f64 v[14:15], v[8:9], v[14:15]
	v_fma_f64 v[20:21], v[8:9], v[12:13], -v[20:21]
	v_fma_f64 v[12:13], v[10:11], v[12:13], v[14:15]
	v_add_f64 v[20:21], v[0:1], v[20:21]
	v_mul_f64 v[0:1], v[10:11], v[18:19]
	v_add_f64 v[22:23], v[12:13], v[22:23]
	v_fma_f64 v[0:1], v[8:9], v[16:17], -v[0:1]
	v_mul_f64 v[8:9], v[8:9], v[18:19]
	v_fma_f64 v[8:9], v[10:11], v[16:17], v[8:9]
	v_add_f64 v[16:17], v[28:29], v[0:1]
	v_add_f64 v[18:19], v[8:9], v[33:34]
	ds_read_b128 v[12:15], v63 offset:464
	ds_read_b128 v[8:11], v25 offset:14848
	s_waitcnt lgkmcnt(0)
	v_mul_f64 v[0:1], v[14:15], v[10:11]
	v_mul_f64 v[26:27], v[12:13], v[10:11]
	v_fma_f64 v[0:1], v[12:13], v[8:9], -v[0:1]
	v_fma_f64 v[28:29], v[14:15], v[8:9], v[26:27]
	v_add_f64 v[26:27], v[4:5], v[0:1]
	v_add_f64 v[31:32], v[28:29], v[6:7]
	ds_read_b128 v[4:7], v25 offset:15104
	s_waitcnt lgkmcnt(0)
	v_mul_f64 v[0:1], v[14:15], v[6:7]
	v_fma_f64 v[0:1], v[12:13], v[4:5], -v[0:1]
	v_mul_f64 v[12:13], v[12:13], v[6:7]
	v_add_f64 v[55:56], v[43:44], v[0:1]
	v_fma_f64 v[12:13], v[14:15], v[4:5], v[12:13]
	v_add_f64 v[57:58], v[12:13], v[45:46]
	ds_read_b128 v[12:15], v63 offset:8656
	s_waitcnt lgkmcnt(0)
	v_mul_f64 v[0:1], v[14:15], v[10:11]
	v_mul_f64 v[10:11], v[12:13], v[10:11]
	v_fma_f64 v[0:1], v[12:13], v[8:9], -v[0:1]
	v_fma_f64 v[8:9], v[14:15], v[8:9], v[10:11]
	v_add_f64 v[0:1], v[20:21], v[0:1]
	v_add_f64 v[20:21], v[8:9], v[22:23]
	v_mul_f64 v[8:9], v[14:15], v[6:7]
	v_mul_f64 v[6:7], v[12:13], v[6:7]
	v_fma_f64 v[8:9], v[12:13], v[4:5], -v[8:9]
	v_fma_f64 v[4:5], v[14:15], v[4:5], v[6:7]
	v_add_f64 v[22:23], v[16:17], v[8:9]
	ds_read_b128 v[8:11], v63 offset:480
	ds_read_b128 v[12:15], v25 offset:15360
	v_add_f64 v[28:29], v[4:5], v[18:19]
	ds_read_b128 v[16:19], v25 offset:15616
	s_waitcnt lgkmcnt(1)
	v_mul_f64 v[4:5], v[10:11], v[14:15]
	v_mul_f64 v[6:7], v[8:9], v[14:15]
	v_fma_f64 v[4:5], v[8:9], v[12:13], -v[4:5]
	v_fma_f64 v[6:7], v[10:11], v[12:13], v[6:7]
	v_add_f64 v[4:5], v[26:27], v[4:5]
	s_waitcnt lgkmcnt(0)
	v_mul_f64 v[26:27], v[10:11], v[18:19]
	v_add_f64 v[6:7], v[6:7], v[31:32]
	v_fma_f64 v[26:27], v[8:9], v[16:17], -v[26:27]
	v_mul_f64 v[8:9], v[8:9], v[18:19]
	v_add_f64 v[26:27], v[55:56], v[26:27]
	v_fma_f64 v[8:9], v[10:11], v[16:17], v[8:9]
	v_add_f64 v[31:32], v[8:9], v[57:58]
	ds_read_b128 v[8:11], v63 offset:8672
	s_waitcnt lgkmcnt(0)
	v_mul_f64 v[33:34], v[10:11], v[14:15]
	v_mul_f64 v[14:15], v[8:9], v[14:15]
	v_fma_f64 v[33:34], v[8:9], v[12:13], -v[33:34]
	v_fma_f64 v[12:13], v[10:11], v[12:13], v[14:15]
	v_add_f64 v[59:60], v[0:1], v[33:34]
	v_mul_f64 v[0:1], v[10:11], v[18:19]
	v_add_f64 v[61:62], v[12:13], v[20:21]
	v_fma_f64 v[0:1], v[8:9], v[16:17], -v[0:1]
	v_mul_f64 v[8:9], v[8:9], v[18:19]
	v_add_f64 v[20:21], v[22:23], v[0:1]
	v_fma_f64 v[8:9], v[10:11], v[16:17], v[8:9]
	v_add_f64 v[22:23], v[8:9], v[28:29]
	ds_read_b128 v[12:15], v63 offset:496
	ds_read_b128 v[8:11], v25 offset:15872
	s_waitcnt lgkmcnt(0)
	v_mul_f64 v[0:1], v[14:15], v[10:11]
	v_mul_f64 v[16:17], v[12:13], v[10:11]
	v_fma_f64 v[0:1], v[12:13], v[8:9], -v[0:1]
	v_fma_f64 v[16:17], v[14:15], v[8:9], v[16:17]
	v_add_f64 v[55:56], v[4:5], v[0:1]
	v_add_f64 v[57:58], v[16:17], v[6:7]
	ds_read_b128 v[4:7], v25 offset:16128
	s_waitcnt lgkmcnt(0)
	v_mul_f64 v[0:1], v[14:15], v[6:7]
	v_fma_f64 v[0:1], v[12:13], v[4:5], -v[0:1]
	v_mul_f64 v[12:13], v[12:13], v[6:7]
	v_add_f64 v[16:17], v[26:27], v[0:1]
	v_fma_f64 v[12:13], v[14:15], v[4:5], v[12:13]
	v_add_f64 v[18:19], v[12:13], v[31:32]
	ds_read_b128 v[12:15], v63 offset:8688
	s_waitcnt lgkmcnt(0)
	s_barrier
	v_mul_f64 v[0:1], v[14:15], v[10:11]
	v_mul_f64 v[10:11], v[12:13], v[10:11]
	v_fma_f64 v[0:1], v[12:13], v[8:9], -v[0:1]
	v_fma_f64 v[8:9], v[14:15], v[8:9], v[10:11]
	v_add_f64 v[59:60], v[59:60], v[0:1]
	v_mul_f64 v[0:1], v[14:15], v[6:7]
	v_mul_f64 v[6:7], v[12:13], v[6:7]
	v_add_f64 v[61:62], v[8:9], v[61:62]
	v_fma_f64 v[0:1], v[12:13], v[4:5], -v[0:1]
	v_fma_f64 v[4:5], v[14:15], v[4:5], v[6:7]
	v_add_f64 v[14:15], v[20:21], v[0:1]
	v_add_f64 v[12:13], v[4:5], v[22:23]
	v_mov_b32_e32 v0, s35
	v_addc_co_u32_e64 v54, s[10:11], v54, v0, s[10:11]
	v_add_co_u32_e64 v51, s[10:11], s26, v51
	v_mov_b32_e32 v0, s27
	v_addc_co_u32_e64 v52, s[10:11], v52, v0, s[10:11]
	v_add_co_u32_e64 v49, s[10:11], s26, v49
	v_addc_co_u32_e64 v50, s[10:11], v50, v0, s[10:11]
	s_cbranch_scc1 .LBB125_55
.LBB125_7:                              ;   Parent Loop BB125_4 Depth=1
                                        ; =>  This Inner Loop Header: Depth=2
	v_mov_b32_e32 v0, s25
	v_add_co_u32_e64 v8, s[10:11], s24, v30
	v_addc_co_u32_e64 v9, s[10:11], 0, v0, s[10:11]
	v_cmp_eq_u64_e64 s[10:11], s[24:25], v[39:40]
	s_waitcnt vmcnt(3)
	v_add_co_u32_e64 v6, s[12:13], v51, v41
	s_and_b64 s[42:43], s[22:23], s[10:11]
	v_cmp_gt_i64_e64 s[10:11], v[8:9], v[37:38]
	s_waitcnt vmcnt(2)
	v_addc_co_u32_e64 v7, s[12:13], v52, v42, s[12:13]
	v_cmp_le_i64_e64 s[12:13], s[46:47], v[8:9]
	s_or_b64 s[14:15], s[16:17], s[10:11]
	s_or_b64 s[14:15], s[14:15], s[42:43]
	s_nor_b64 s[14:15], s[12:13], s[14:15]
	s_and_saveexec_b64 s[18:19], s[14:15]
	s_xor_b64 s[14:15], exec, s[18:19]
	s_cbranch_execz .LBB125_9
; %bb.8:                                ;   in Loop: Header=BB125_7 Depth=2
	global_load_dwordx4 v[20:23], v[6:7], off offset:-256
	s_waitcnt vmcnt(0)
	ds_write2_b64 v24, v[20:21], v[22:23] offset1:1
.LBB125_9:                              ;   in Loop: Header=BB125_7 Depth=2
	s_or_saveexec_b64 s[14:15], s[14:15]
	s_xor_b64 s[38:39], s[42:43], -1
	s_xor_b64 exec, exec, s[14:15]
	s_cbranch_execz .LBB125_15
; %bb.10:                               ;   in Loop: Header=BB125_7 Depth=2
	s_and_saveexec_b64 s[18:19], s[38:39]
	s_xor_b64 s[18:19], exec, s[18:19]
; %bb.11:                               ;   in Loop: Header=BB125_7 Depth=2
	v_mov_b32_e32 v20, v2
	v_mov_b32_e32 v21, v2
	;; [unrolled: 1-line block ×4, first 2 shown]
	ds_write_b128 v24, v[20:23]
; %bb.12:                               ;   in Loop: Header=BB125_7 Depth=2
	s_andn2_saveexec_b64 s[18:19], s[18:19]
; %bb.13:                               ;   in Loop: Header=BB125_7 Depth=2
	v_mov_b32_e32 v4, v2
	v_mov_b32_e32 v5, v2
	ds_write_b128 v24, v[2:5]
; %bb.14:                               ;   in Loop: Header=BB125_7 Depth=2
	s_or_b64 exec, exec, s[18:19]
.LBB125_15:                             ;   in Loop: Header=BB125_7 Depth=2
	s_or_b64 exec, exec, s[14:15]
	buffer_load_dword v0, off, s[52:55], 0 offset:16 ; 4-byte Folded Reload
	buffer_load_dword v1, off, s[52:55], 0 offset:20 ; 4-byte Folded Reload
	v_add_co_u32_e64 v4, s[18:19], 16, v8
	v_addc_co_u32_e64 v5, s[18:19], 0, v9, s[18:19]
	v_cmp_gt_i64_e64 s[18:19], v[4:5], v[37:38]
	s_or_b64 s[18:19], s[16:17], s[18:19]
	s_waitcnt vmcnt(0)
	v_cmp_eq_u64_e64 s[14:15], s[24:25], v[0:1]
	s_and_b64 s[20:21], s[22:23], s[14:15]
	v_cmp_le_i64_e64 s[14:15], s[46:47], v[4:5]
	s_or_b64 s[18:19], s[18:19], s[20:21]
	s_nor_b64 s[18:19], s[14:15], s[18:19]
	s_and_saveexec_b64 s[44:45], s[18:19]
	s_xor_b64 s[44:45], exec, s[44:45]
	s_cbranch_execz .LBB125_17
; %bb.16:                               ;   in Loop: Header=BB125_7 Depth=2
	v_add_co_u32_e64 v4, s[18:19], v49, v41
	v_addc_co_u32_e64 v5, s[18:19], v50, v42, s[18:19]
	global_load_dwordx4 v[20:23], v[4:5], off
	v_add_u32_e32 v0, 0x100, v24
	s_waitcnt vmcnt(0)
	ds_write2_b64 v0, v[20:21], v[22:23] offset1:1
.LBB125_17:                             ;   in Loop: Header=BB125_7 Depth=2
	s_andn2_saveexec_b64 s[18:19], s[44:45]
	s_cbranch_execz .LBB125_23
; %bb.18:                               ;   in Loop: Header=BB125_7 Depth=2
	s_xor_b64 s[20:21], s[20:21], -1
	s_and_saveexec_b64 s[44:45], s[20:21]
	s_xor_b64 s[20:21], exec, s[44:45]
; %bb.19:                               ;   in Loop: Header=BB125_7 Depth=2
	v_mov_b32_e32 v20, v2
	v_mov_b32_e32 v21, v2
	;; [unrolled: 1-line block ×4, first 2 shown]
	ds_write_b128 v24, v[20:23] offset:256
; %bb.20:                               ;   in Loop: Header=BB125_7 Depth=2
	s_andn2_saveexec_b64 s[20:21], s[20:21]
; %bb.21:                               ;   in Loop: Header=BB125_7 Depth=2
	v_mov_b32_e32 v4, v2
	v_mov_b32_e32 v5, v2
	ds_write_b128 v24, v[2:5] offset:256
; %bb.22:                               ;   in Loop: Header=BB125_7 Depth=2
	s_or_b64 exec, exec, s[20:21]
.LBB125_23:                             ;   in Loop: Header=BB125_7 Depth=2
	s_or_b64 exec, exec, s[18:19]
	buffer_load_dword v0, off, s[52:55], 0 offset:8 ; 4-byte Folded Reload
	buffer_load_dword v1, off, s[52:55], 0 offset:12 ; 4-byte Folded Reload
	s_waitcnt vmcnt(0)
	v_cmp_eq_u64_e64 s[18:19], s[24:25], v[0:1]
	buffer_load_dword v0, off, s[52:55], 0  ; 4-byte Folded Reload
	buffer_load_dword v1, off, s[52:55], 0 offset:4 ; 4-byte Folded Reload
	s_and_b64 s[18:19], s[22:23], s[18:19]
	s_waitcnt vmcnt(0)
	v_cmp_gt_i64_e64 s[20:21], v[8:9], v[0:1]
	s_or_b64 s[20:21], s[8:9], s[20:21]
	s_or_b64 s[20:21], s[20:21], s[18:19]
	s_nor_b64 s[12:13], s[12:13], s[20:21]
	s_and_saveexec_b64 s[20:21], s[12:13]
	s_xor_b64 s[12:13], exec, s[20:21]
	s_cbranch_execz .LBB125_25
; %bb.24:                               ;   in Loop: Header=BB125_7 Depth=2
	global_load_dwordx4 v[4:7], v[6:7], off
	v_add_u32_e32 v0, 0x2000, v24
	s_waitcnt vmcnt(0)
	ds_write2_b64 v0, v[4:5], v[6:7] offset1:1
.LBB125_25:                             ;   in Loop: Header=BB125_7 Depth=2
	s_andn2_saveexec_b64 s[12:13], s[12:13]
	s_cbranch_execz .LBB125_31
; %bb.26:                               ;   in Loop: Header=BB125_7 Depth=2
	s_xor_b64 s[18:19], s[18:19], -1
	s_and_saveexec_b64 s[20:21], s[18:19]
	s_xor_b64 s[18:19], exec, s[20:21]
; %bb.27:                               ;   in Loop: Header=BB125_7 Depth=2
	v_mov_b32_e32 v4, v2
	v_mov_b32_e32 v5, v2
	;; [unrolled: 1-line block ×4, first 2 shown]
	ds_write_b128 v24, v[4:7] offset:8192
; %bb.28:                               ;   in Loop: Header=BB125_7 Depth=2
	s_andn2_saveexec_b64 s[18:19], s[18:19]
; %bb.29:                               ;   in Loop: Header=BB125_7 Depth=2
	v_mov_b32_e32 v4, v2
	v_mov_b32_e32 v5, v2
	ds_write_b128 v24, v[2:5] offset:8192
; %bb.30:                               ;   in Loop: Header=BB125_7 Depth=2
	s_or_b64 exec, exec, s[18:19]
.LBB125_31:                             ;   in Loop: Header=BB125_7 Depth=2
	s_or_b64 exec, exec, s[12:13]
	s_or_b64 s[10:11], s[8:9], s[10:11]
	s_or_b64 s[10:11], s[10:11], s[42:43]
	s_nor_b64 s[10:11], s[14:15], s[10:11]
	s_and_saveexec_b64 s[12:13], s[10:11]
	s_xor_b64 s[12:13], exec, s[12:13]
	s_cbranch_execz .LBB125_33
; %bb.32:                               ;   in Loop: Header=BB125_7 Depth=2
	v_add_co_u32_e64 v4, s[10:11], v49, v41
	v_addc_co_u32_e64 v5, s[10:11], v50, v42, s[10:11]
	global_load_dwordx4 v[4:7], v[4:5], off offset:256
	v_add_u32_e32 v0, 0x2100, v24
	s_waitcnt vmcnt(0)
	ds_write2_b64 v0, v[4:5], v[6:7] offset1:1
.LBB125_33:                             ;   in Loop: Header=BB125_7 Depth=2
	s_andn2_saveexec_b64 s[10:11], s[12:13]
	s_cbranch_execz .LBB125_39
; %bb.34:                               ;   in Loop: Header=BB125_7 Depth=2
	s_and_saveexec_b64 s[12:13], s[38:39]
	s_xor_b64 s[12:13], exec, s[12:13]
; %bb.35:                               ;   in Loop: Header=BB125_7 Depth=2
	v_mov_b32_e32 v4, v2
	v_mov_b32_e32 v5, v2
	;; [unrolled: 1-line block ×4, first 2 shown]
	ds_write_b128 v24, v[4:7] offset:8448
; %bb.36:                               ;   in Loop: Header=BB125_7 Depth=2
	s_andn2_saveexec_b64 s[12:13], s[12:13]
; %bb.37:                               ;   in Loop: Header=BB125_7 Depth=2
	v_mov_b32_e32 v4, v2
	v_mov_b32_e32 v5, v2
	ds_write_b128 v24, v[2:5] offset:8448
; %bb.38:                               ;   in Loop: Header=BB125_7 Depth=2
	s_or_b64 exec, exec, s[12:13]
.LBB125_39:                             ;   in Loop: Header=BB125_7 Depth=2
	s_or_b64 exec, exec, s[10:11]
	v_add_co_u32_e64 v4, s[10:11], s24, v36
	v_mov_b32_e32 v0, s25
	v_addc_co_u32_e64 v5, s[10:11], 0, v0, s[10:11]
	buffer_load_dword v0, off, s[52:55], 0 offset:32 ; 4-byte Folded Reload
	s_waitcnt vmcnt(0)
	v_add_co_u32_e64 v6, s[10:11], v53, v0
	buffer_load_dword v0, off, s[52:55], 0 offset:36 ; 4-byte Folded Reload
	s_waitcnt vmcnt(0)
	v_addc_co_u32_e64 v7, s[10:11], v54, v0, s[10:11]
	v_cmp_le_i64_e64 s[10:11], s[46:47], v[4:5]
	s_nor_b64 s[12:13], s[10:11], vcc
	s_and_saveexec_b64 s[14:15], s[12:13]
	s_xor_b64 s[12:13], exec, s[14:15]
	s_cbranch_execz .LBB125_41
; %bb.40:                               ;   in Loop: Header=BB125_7 Depth=2
	global_load_dwordx4 v[8:11], v[6:7], off offset:-256
	s_waitcnt vmcnt(0)
	ds_write2_b64 v35, v[8:9], v[10:11] offset1:1
.LBB125_41:                             ;   in Loop: Header=BB125_7 Depth=2
	s_andn2_saveexec_b64 s[12:13], s[12:13]
; %bb.42:                               ;   in Loop: Header=BB125_7 Depth=2
	v_mov_b32_e32 v8, v2
	v_mov_b32_e32 v9, v2
	;; [unrolled: 1-line block ×4, first 2 shown]
	ds_write_b128 v35, v[8:11]
; %bb.43:                               ;   in Loop: Header=BB125_7 Depth=2
	s_or_b64 exec, exec, s[12:13]
	s_nor_b64 s[10:11], s[10:11], s[0:1]
	s_and_saveexec_b64 s[12:13], s[10:11]
	s_xor_b64 s[10:11], exec, s[12:13]
	s_cbranch_execz .LBB125_45
; %bb.44:                               ;   in Loop: Header=BB125_7 Depth=2
	global_load_dwordx4 v[6:9], v[6:7], off
	v_add_u32_e32 v0, 0x100, v35
	s_waitcnt vmcnt(0)
	ds_write2_b64 v0, v[6:7], v[8:9] offset1:1
.LBB125_45:                             ;   in Loop: Header=BB125_7 Depth=2
	s_andn2_saveexec_b64 s[10:11], s[10:11]
; %bb.46:                               ;   in Loop: Header=BB125_7 Depth=2
	v_mov_b32_e32 v6, v2
	v_mov_b32_e32 v7, v2
	v_mov_b32_e32 v8, v2
	v_mov_b32_e32 v9, v2
	ds_write_b128 v35, v[6:9] offset:256
; %bb.47:                               ;   in Loop: Header=BB125_7 Depth=2
	s_or_b64 exec, exec, s[10:11]
	buffer_load_dword v0, off, s[52:55], 0 offset:24 ; 4-byte Folded Reload
	buffer_load_dword v1, off, s[52:55], 0 offset:28 ; 4-byte Folded Reload
	v_cmp_le_i64_e64 s[10:11], s[36:37], v[4:5]
	s_waitcnt vmcnt(1)
	v_add_co_u32_e64 v4, s[12:13], v53, v0
	buffer_load_dword v0, off, s[52:55], 0 offset:40 ; 4-byte Folded Reload
	s_waitcnt vmcnt(0)
	v_addc_co_u32_e64 v5, s[12:13], v54, v0, s[12:13]
	s_nor_b64 s[12:13], s[10:11], vcc
	s_and_saveexec_b64 s[14:15], s[12:13]
	s_xor_b64 s[12:13], exec, s[14:15]
	s_cbranch_execz .LBB125_49
; %bb.48:                               ;   in Loop: Header=BB125_7 Depth=2
	global_load_dwordx4 v[6:9], v[4:5], off
	v_add_u32_e32 v0, 0x2000, v35
	s_waitcnt vmcnt(0)
	ds_write2_b64 v0, v[6:7], v[8:9] offset1:1
.LBB125_49:                             ;   in Loop: Header=BB125_7 Depth=2
	s_andn2_saveexec_b64 s[12:13], s[12:13]
; %bb.50:                               ;   in Loop: Header=BB125_7 Depth=2
	v_mov_b32_e32 v6, v2
	v_mov_b32_e32 v7, v2
	;; [unrolled: 1-line block ×4, first 2 shown]
	ds_write_b128 v35, v[6:9] offset:8192
; %bb.51:                               ;   in Loop: Header=BB125_7 Depth=2
	s_or_b64 exec, exec, s[12:13]
	s_nor_b64 s[10:11], s[10:11], s[0:1]
	s_and_saveexec_b64 s[12:13], s[10:11]
	s_xor_b64 s[10:11], exec, s[12:13]
	s_cbranch_execz .LBB125_53
; %bb.52:                               ;   in Loop: Header=BB125_7 Depth=2
	global_load_dwordx4 v[4:7], v[4:5], off offset:256
	v_add_u32_e32 v0, 0x2100, v35
	s_waitcnt vmcnt(0)
	ds_write2_b64 v0, v[4:5], v[6:7] offset1:1
.LBB125_53:                             ;   in Loop: Header=BB125_7 Depth=2
	s_andn2_saveexec_b64 s[10:11], s[10:11]
	s_cbranch_execz .LBB125_6
; %bb.54:                               ;   in Loop: Header=BB125_7 Depth=2
	v_mov_b32_e32 v4, v2
	v_mov_b32_e32 v5, v2
	;; [unrolled: 1-line block ×4, first 2 shown]
	ds_write_b128 v35, v[4:7] offset:8448
	s_branch .LBB125_6
.LBB125_55:                             ;   in Loop: Header=BB125_4 Depth=1
	v_mul_lo_u32 v0, s41, v37
	v_mul_lo_u32 v1, s40, v38
	v_mad_u64_u32 v[4:5], s[8:9], s40, v37, 0
	v_cmp_gt_i32_e64 s[8:9], s46, v37
	v_add3_u32 v5, v5, v1, v0
	v_lshlrev_b64 v[4:5], 4, v[4:5]
	v_mov_b32_e32 v0, s49
	v_add_co_u32_e64 v4, s[10:11], s48, v4
	v_addc_co_u32_e64 v5, s[10:11], v0, v5, s[10:11]
	s_and_b64 s[10:11], s[2:3], s[8:9]
	s_and_saveexec_b64 s[12:13], s[10:11]
	s_cbranch_execz .LBB125_57
; %bb.56:                               ;   in Loop: Header=BB125_4 Depth=1
	buffer_load_dword v0, off, s[52:55], 0 offset:52 ; 4-byte Folded Reload
	buffer_load_dword v1, off, s[52:55], 0 offset:56 ; 4-byte Folded Reload
	v_mul_f64 v[10:11], s[30:31], v[57:58]
	v_mul_f64 v[20:21], s[28:29], v[57:58]
	v_fma_f64 v[10:11], s[28:29], v[55:56], -v[10:11]
	v_fma_f64 v[20:21], s[30:31], v[55:56], v[20:21]
	s_waitcnt vmcnt(1)
	v_add_co_u32_e64 v0, s[10:11], v4, v0
	s_waitcnt vmcnt(0)
	v_addc_co_u32_e64 v1, s[10:11], v5, v1, s[10:11]
	global_load_dwordx4 v[6:9], v[0:1], off
	s_waitcnt vmcnt(0)
	v_add_f64 v[6:7], v[6:7], v[10:11]
	v_add_f64 v[8:9], v[20:21], v[8:9]
	global_store_dwordx4 v[0:1], v[6:9], off
.LBB125_57:                             ;   in Loop: Header=BB125_4 Depth=1
	s_or_b64 exec, exec, s[12:13]
	s_and_b64 s[8:9], s[4:5], s[8:9]
	s_mov_b64 s[10:11], exec
	buffer_load_dword v20, off, s[52:55], 0 offset:44 ; 4-byte Folded Reload
	buffer_load_dword v21, off, s[52:55], 0 offset:48 ; 4-byte Folded Reload
	s_and_b64 s[8:9], s[10:11], s[8:9]
	s_mov_b64 exec, s[8:9]
	s_cbranch_execz .LBB125_59
; %bb.58:                               ;   in Loop: Header=BB125_4 Depth=1
	buffer_load_dword v0, off, s[52:55], 0 offset:60 ; 4-byte Folded Reload
	buffer_load_dword v1, off, s[52:55], 0 offset:64 ; 4-byte Folded Reload
	v_mul_f64 v[8:9], s[30:31], v[18:19]
	v_mul_f64 v[10:11], s[28:29], v[18:19]
	v_fma_f64 v[8:9], s[28:29], v[16:17], -v[8:9]
	v_fma_f64 v[10:11], s[30:31], v[16:17], v[10:11]
	s_waitcnt vmcnt(1)
	v_add_co_u32_e64 v0, s[8:9], v4, v0
	s_waitcnt vmcnt(0)
	v_addc_co_u32_e64 v1, s[8:9], v5, v1, s[8:9]
	global_load_dwordx4 v[4:7], v[0:1], off
	s_waitcnt vmcnt(0)
	v_add_f64 v[4:5], v[4:5], v[8:9]
	v_add_f64 v[6:7], v[10:11], v[6:7]
	global_store_dwordx4 v[0:1], v[4:7], off
.LBB125_59:                             ;   in Loop: Header=BB125_4 Depth=1
	s_or_b64 exec, exec, s[10:11]
	v_add_u32_e32 v4, 16, v37
	v_ashrrev_i32_e32 v0, 31, v4
	v_mul_lo_u32 v5, s40, v0
	v_mul_lo_u32 v6, s41, v4
	v_mad_u64_u32 v[0:1], s[8:9], s40, v4, 0
	v_cmp_gt_i32_e64 s[8:9], s46, v4
	v_add3_u32 v1, v1, v5, v6
	v_lshlrev_b64 v[0:1], 4, v[0:1]
	v_mov_b32_e32 v5, s49
	v_add_co_u32_e64 v4, s[10:11], s48, v0
	v_addc_co_u32_e64 v5, s[10:11], v5, v1, s[10:11]
	s_and_b64 s[10:11], s[2:3], s[8:9]
	s_and_saveexec_b64 s[12:13], s[10:11]
	s_cbranch_execz .LBB125_61
; %bb.60:                               ;   in Loop: Header=BB125_4 Depth=1
	buffer_load_dword v0, off, s[52:55], 0 offset:52 ; 4-byte Folded Reload
	buffer_load_dword v1, off, s[52:55], 0 offset:56 ; 4-byte Folded Reload
	v_mul_f64 v[10:11], s[30:31], v[61:62]
	v_mul_f64 v[16:17], s[28:29], v[61:62]
	v_fma_f64 v[10:11], s[28:29], v[59:60], -v[10:11]
	v_fma_f64 v[16:17], s[30:31], v[59:60], v[16:17]
	s_waitcnt vmcnt(1)
	v_add_co_u32_e64 v0, s[10:11], v4, v0
	s_waitcnt vmcnt(0)
	v_addc_co_u32_e64 v1, s[10:11], v5, v1, s[10:11]
	global_load_dwordx4 v[6:9], v[0:1], off
	s_waitcnt vmcnt(0)
	v_add_f64 v[6:7], v[6:7], v[10:11]
	v_add_f64 v[8:9], v[16:17], v[8:9]
	global_store_dwordx4 v[0:1], v[6:9], off
.LBB125_61:                             ;   in Loop: Header=BB125_4 Depth=1
	s_or_b64 exec, exec, s[12:13]
	s_and_b64 s[8:9], s[4:5], s[8:9]
	s_and_saveexec_b64 s[10:11], s[8:9]
	s_cbranch_execz .LBB125_3
; %bb.62:                               ;   in Loop: Header=BB125_4 Depth=1
	buffer_load_dword v0, off, s[52:55], 0 offset:60 ; 4-byte Folded Reload
	buffer_load_dword v1, off, s[52:55], 0 offset:64 ; 4-byte Folded Reload
	v_mul_f64 v[8:9], s[30:31], v[12:13]
	v_mul_f64 v[10:11], s[28:29], v[12:13]
	v_fma_f64 v[8:9], s[28:29], v[14:15], -v[8:9]
	v_fma_f64 v[10:11], s[30:31], v[14:15], v[10:11]
	s_waitcnt vmcnt(1)
	v_add_co_u32_e64 v0, s[8:9], v4, v0
	s_waitcnt vmcnt(0)
	v_addc_co_u32_e64 v1, s[8:9], v5, v1, s[8:9]
	global_load_dwordx4 v[4:7], v[0:1], off
	s_waitcnt vmcnt(0)
	v_add_f64 v[4:5], v[4:5], v[8:9]
	v_add_f64 v[6:7], v[10:11], v[6:7]
	global_store_dwordx4 v[0:1], v[4:7], off
	s_branch .LBB125_3
.LBB125_63:
	s_endpgm
	.section	.rodata,"a",@progbits
	.p2align	6, 0x0
	.amdhsa_kernel _ZL30rocblas_trmm_outofplace_kernelI19rocblas_complex_numIdELi32ELi2ELb0ELb0ELb1ELb0ES1_KS1_S1_Ev17rocblas_diagonal_iiT6_lPT7_lllS6_lllPT8_llli
		.amdhsa_group_segment_fixed_size 32768
		.amdhsa_private_segment_fixed_size 104
		.amdhsa_kernarg_size 400
		.amdhsa_user_sgpr_count 6
		.amdhsa_user_sgpr_private_segment_buffer 1
		.amdhsa_user_sgpr_dispatch_ptr 0
		.amdhsa_user_sgpr_queue_ptr 0
		.amdhsa_user_sgpr_kernarg_segment_ptr 1
		.amdhsa_user_sgpr_dispatch_id 0
		.amdhsa_user_sgpr_flat_scratch_init 0
		.amdhsa_user_sgpr_private_segment_size 0
		.amdhsa_uses_dynamic_stack 0
		.amdhsa_system_sgpr_private_segment_wavefront_offset 1
		.amdhsa_system_sgpr_workgroup_id_x 1
		.amdhsa_system_sgpr_workgroup_id_y 1
		.amdhsa_system_sgpr_workgroup_id_z 1
		.amdhsa_system_sgpr_workgroup_info 0
		.amdhsa_system_vgpr_workitem_id 1
		.amdhsa_next_free_vgpr 64
		.amdhsa_next_free_sgpr 61
		.amdhsa_reserve_vcc 1
		.amdhsa_reserve_flat_scratch 0
		.amdhsa_float_round_mode_32 0
		.amdhsa_float_round_mode_16_64 0
		.amdhsa_float_denorm_mode_32 3
		.amdhsa_float_denorm_mode_16_64 3
		.amdhsa_dx10_clamp 1
		.amdhsa_ieee_mode 1
		.amdhsa_fp16_overflow 0
		.amdhsa_exception_fp_ieee_invalid_op 0
		.amdhsa_exception_fp_denorm_src 0
		.amdhsa_exception_fp_ieee_div_zero 0
		.amdhsa_exception_fp_ieee_overflow 0
		.amdhsa_exception_fp_ieee_underflow 0
		.amdhsa_exception_fp_ieee_inexact 0
		.amdhsa_exception_int_div_zero 0
	.end_amdhsa_kernel
	.section	.text._ZL30rocblas_trmm_outofplace_kernelI19rocblas_complex_numIdELi32ELi2ELb0ELb0ELb1ELb0ES1_KS1_S1_Ev17rocblas_diagonal_iiT6_lPT7_lllS6_lllPT8_llli,"axG",@progbits,_ZL30rocblas_trmm_outofplace_kernelI19rocblas_complex_numIdELi32ELi2ELb0ELb0ELb1ELb0ES1_KS1_S1_Ev17rocblas_diagonal_iiT6_lPT7_lllS6_lllPT8_llli,comdat
.Lfunc_end125:
	.size	_ZL30rocblas_trmm_outofplace_kernelI19rocblas_complex_numIdELi32ELi2ELb0ELb0ELb1ELb0ES1_KS1_S1_Ev17rocblas_diagonal_iiT6_lPT7_lllS6_lllPT8_llli, .Lfunc_end125-_ZL30rocblas_trmm_outofplace_kernelI19rocblas_complex_numIdELi32ELi2ELb0ELb0ELb1ELb0ES1_KS1_S1_Ev17rocblas_diagonal_iiT6_lPT7_lllS6_lllPT8_llli
                                        ; -- End function
	.set _ZL30rocblas_trmm_outofplace_kernelI19rocblas_complex_numIdELi32ELi2ELb0ELb0ELb1ELb0ES1_KS1_S1_Ev17rocblas_diagonal_iiT6_lPT7_lllS6_lllPT8_llli.num_vgpr, 64
	.set _ZL30rocblas_trmm_outofplace_kernelI19rocblas_complex_numIdELi32ELi2ELb0ELb0ELb1ELb0ES1_KS1_S1_Ev17rocblas_diagonal_iiT6_lPT7_lllS6_lllPT8_llli.num_agpr, 0
	.set _ZL30rocblas_trmm_outofplace_kernelI19rocblas_complex_numIdELi32ELi2ELb0ELb0ELb1ELb0ES1_KS1_S1_Ev17rocblas_diagonal_iiT6_lPT7_lllS6_lllPT8_llli.numbered_sgpr, 56
	.set _ZL30rocblas_trmm_outofplace_kernelI19rocblas_complex_numIdELi32ELi2ELb0ELb0ELb1ELb0ES1_KS1_S1_Ev17rocblas_diagonal_iiT6_lPT7_lllS6_lllPT8_llli.num_named_barrier, 0
	.set _ZL30rocblas_trmm_outofplace_kernelI19rocblas_complex_numIdELi32ELi2ELb0ELb0ELb1ELb0ES1_KS1_S1_Ev17rocblas_diagonal_iiT6_lPT7_lllS6_lllPT8_llli.private_seg_size, 104
	.set _ZL30rocblas_trmm_outofplace_kernelI19rocblas_complex_numIdELi32ELi2ELb0ELb0ELb1ELb0ES1_KS1_S1_Ev17rocblas_diagonal_iiT6_lPT7_lllS6_lllPT8_llli.uses_vcc, 1
	.set _ZL30rocblas_trmm_outofplace_kernelI19rocblas_complex_numIdELi32ELi2ELb0ELb0ELb1ELb0ES1_KS1_S1_Ev17rocblas_diagonal_iiT6_lPT7_lllS6_lllPT8_llli.uses_flat_scratch, 0
	.set _ZL30rocblas_trmm_outofplace_kernelI19rocblas_complex_numIdELi32ELi2ELb0ELb0ELb1ELb0ES1_KS1_S1_Ev17rocblas_diagonal_iiT6_lPT7_lllS6_lllPT8_llli.has_dyn_sized_stack, 0
	.set _ZL30rocblas_trmm_outofplace_kernelI19rocblas_complex_numIdELi32ELi2ELb0ELb0ELb1ELb0ES1_KS1_S1_Ev17rocblas_diagonal_iiT6_lPT7_lllS6_lllPT8_llli.has_recursion, 0
	.set _ZL30rocblas_trmm_outofplace_kernelI19rocblas_complex_numIdELi32ELi2ELb0ELb0ELb1ELb0ES1_KS1_S1_Ev17rocblas_diagonal_iiT6_lPT7_lllS6_lllPT8_llli.has_indirect_call, 0
	.section	.AMDGPU.csdata,"",@progbits
; Kernel info:
; codeLenInByte = 10720
; TotalNumSgprs: 60
; NumVgprs: 64
; ScratchSize: 104
; MemoryBound: 0
; FloatMode: 240
; IeeeMode: 1
; LDSByteSize: 32768 bytes/workgroup (compile time only)
; SGPRBlocks: 8
; VGPRBlocks: 15
; NumSGPRsForWavesPerEU: 65
; NumVGPRsForWavesPerEU: 64
; Occupancy: 4
; WaveLimiterHint : 0
; COMPUTE_PGM_RSRC2:SCRATCH_EN: 1
; COMPUTE_PGM_RSRC2:USER_SGPR: 6
; COMPUTE_PGM_RSRC2:TRAP_HANDLER: 0
; COMPUTE_PGM_RSRC2:TGID_X_EN: 1
; COMPUTE_PGM_RSRC2:TGID_Y_EN: 1
; COMPUTE_PGM_RSRC2:TGID_Z_EN: 1
; COMPUTE_PGM_RSRC2:TIDIG_COMP_CNT: 1
	.section	.text._ZL30rocblas_trmm_outofplace_kernelI19rocblas_complex_numIdELi32ELi2ELb0ELb1ELb1ELb0EPKS1_S2_S1_Ev17rocblas_diagonal_iiT6_lPT7_lllS7_lllPT8_llli,"axG",@progbits,_ZL30rocblas_trmm_outofplace_kernelI19rocblas_complex_numIdELi32ELi2ELb0ELb1ELb1ELb0EPKS1_S2_S1_Ev17rocblas_diagonal_iiT6_lPT7_lllS7_lllPT8_llli,comdat
	.globl	_ZL30rocblas_trmm_outofplace_kernelI19rocblas_complex_numIdELi32ELi2ELb0ELb1ELb1ELb0EPKS1_S2_S1_Ev17rocblas_diagonal_iiT6_lPT7_lllS7_lllPT8_llli ; -- Begin function _ZL30rocblas_trmm_outofplace_kernelI19rocblas_complex_numIdELi32ELi2ELb0ELb1ELb1ELb0EPKS1_S2_S1_Ev17rocblas_diagonal_iiT6_lPT7_lllS7_lllPT8_llli
	.p2align	8
	.type	_ZL30rocblas_trmm_outofplace_kernelI19rocblas_complex_numIdELi32ELi2ELb0ELb1ELb1ELb0EPKS1_S2_S1_Ev17rocblas_diagonal_iiT6_lPT7_lllS7_lllPT8_llli,@function
_ZL30rocblas_trmm_outofplace_kernelI19rocblas_complex_numIdELi32ELi2ELb0ELb1ELb1ELb0EPKS1_S2_S1_Ev17rocblas_diagonal_iiT6_lPT7_lllS7_lllPT8_llli: ; @_ZL30rocblas_trmm_outofplace_kernelI19rocblas_complex_numIdELi32ELi2ELb0ELb1ELb1ELb0EPKS1_S2_S1_Ev17rocblas_diagonal_iiT6_lPT7_lllS7_lllPT8_llli
; %bb.0:
	s_load_dwordx16 s[16:31], s[4:5], 0x10
	s_mov_b64 s[74:75], s[2:3]
	s_mov_b64 s[72:73], s[0:1]
	s_add_u32 s72, s72, s9
	s_addc_u32 s73, s73, 0
	s_waitcnt lgkmcnt(0)
	s_mul_i32 s0, s19, s8
	s_mul_hi_u32 s1, s18, s8
	s_add_i32 s1, s1, s0
	s_mul_i32 s0, s18, s8
	s_lshl_b64 s[0:1], s[0:1], 4
	s_add_u32 s0, s16, s0
	s_addc_u32 s1, s17, s1
	s_load_dwordx4 s[44:47], s[0:1], 0x0
	buffer_store_dword v1, off, s[72:75], 0 offset:56 ; 4-byte Folded Spill
	s_waitcnt lgkmcnt(0)
	v_cmp_eq_f64_e64 s[0:1], s[44:45], 0
	v_cmp_eq_f64_e64 s[2:3], s[46:47], 0
	s_and_b64 s[0:1], s[0:1], s[2:3]
	s_and_b64 vcc, exec, s[0:1]
	s_cbranch_vccnz .LBB126_64
; %bb.1:
	s_load_dwordx4 s[48:51], s[4:5], 0x0
	s_waitcnt lgkmcnt(0)
	s_add_i32 s0, s50, -1
	s_ashr_i32 s1, s0, 31
	s_lshr_b32 s1, s1, 27
	s_add_i32 s0, s0, s1
	s_ashr_i32 s33, s0, 5
	s_cmp_gt_i32 s7, s33
	s_cbranch_scc1 .LBB126_64
; %bb.2:
	s_load_dwordx4 s[52:55], s[4:5], 0x70
	s_load_dwordx8 s[36:43], s[4:5], 0x50
	s_load_dword s64, s[4:5], 0x8c
	buffer_load_dword v6, off, s[72:75], 0 offset:56 ; 4-byte Folded Reload
	v_lshl_add_u32 v1, s6, 5, v0
	s_waitcnt lgkmcnt(0)
	s_mul_i32 s1, s55, s8
	s_mul_hi_u32 s2, s54, s8
	s_mul_i32 s0, s54, s8
	s_add_i32 s1, s2, s1
	s_lshl_b64 s[0:1], s[0:1], 4
	s_add_u32 s2, s40, s0
	s_addc_u32 s3, s41, s1
	s_lshl_b64 s[0:1], s[42:43], 4
	s_add_u32 s65, s2, s0
	s_addc_u32 s66, s3, s1
	s_cmpk_eq_i32 s48, 0x84
	s_cselect_b64 s[34:35], -1, 0
	s_ashr_i32 s51, s50, 31
	s_ashr_i32 s0, s49, 31
	s_lshl_b64 s[40:41], s[24:25], 9
	s_lshl_b64 s[42:43], s[36:37], 9
	v_ashrrev_i32_e32 v2, 31, v1
	v_mov_b32_e32 v4, s0
	v_sub_co_u32_e32 v3, vcc, s49, v1
	s_add_u32 s54, s50, -16
	v_subb_co_u32_e32 v4, vcc, v4, v2, vcc
	s_addc_u32 s55, s51, -1
	s_lshl_b32 s9, s7, 5
	s_lshl_b32 s67, s64, 5
	v_cmp_gt_i64_e32 vcc, 1, v[3:4]
	v_cmp_gt_i64_e64 s[0:1], 17, v[3:4]
	v_add_u32_e32 v3, 16, v1
	v_add_u32_e32 v26, s9, v0
	s_add_u32 s48, s28, 0x100
	s_mul_hi_u32 s10, s38, s8
	v_cmp_gt_i32_e64 s[2:3], s49, v1
	v_cmp_gt_i32_e64 s[4:5], s49, v3
	s_addc_u32 s49, s29, 0
	s_lshl_b64 s[56:57], s[36:37], 4
	s_lshl_b64 s[12:13], s[30:31], 4
	v_ashrrev_i32_e32 v4, 31, v3
	v_lshlrev_b64 v[1:2], 4, v[1:2]
	buffer_store_dword v3, off, s[72:75], 0 offset:60 ; 4-byte Folded Spill
	s_nop 0
	buffer_store_dword v4, off, s[72:75], 0 offset:64 ; 4-byte Folded Spill
	v_lshlrev_b32_e32 v5, 4, v0
	v_or_b32_e32 v52, 0x4000, v5
	s_movk_i32 s6, 0x100
	s_waitcnt vmcnt(2)
	v_add_u32_e32 v28, s9, v6
	s_mul_i32 s9, s39, s8
	s_add_i32 s11, s10, s9
	s_mul_i32 s10, s38, s8
	s_lshl_b64 s[10:11], s[10:11], 4
	s_add_u32 s9, s10, s12
	s_addc_u32 s10, s11, s13
	v_mov_b32_e32 v0, s10
	v_add_co_u32_e64 v3, s[10:11], s9, v1
	buffer_store_dword v1, off, s[72:75], 0 offset:68 ; 4-byte Folded Spill
	s_nop 0
	buffer_store_dword v2, off, s[72:75], 0 offset:72 ; 4-byte Folded Spill
	s_mul_i32 s9, s27, s8
	v_lshlrev_b32_e32 v50, 9, v6
	v_add_u32_e32 v51, v50, v5
	v_add_u32_e32 v53, v52, v50
	v_addc_co_u32_e64 v4, s[10:11], v0, v2, s[10:11]
	s_mul_hi_u32 s10, s26, s8
	s_add_i32 s9, s10, s9
	s_mul_i32 s8, s26, s8
	s_lshl_b64 s[8:9], s[8:9], 4
	s_lshl_b64 s[10:11], s[22:23], 4
	s_add_u32 s8, s8, s10
	s_addc_u32 s9, s9, s11
	s_add_u32 s22, s20, s8
	s_addc_u32 s23, s21, s9
	buffer_store_dword v3, off, s[72:75], 0 offset:76 ; 4-byte Folded Spill
	s_nop 0
	buffer_store_dword v4, off, s[72:75], 0 offset:80 ; 4-byte Folded Spill
	s_add_u32 s26, s22, 0x100
	s_addc_u32 s27, s23, 0
	s_lshl_b64 s[30:31], s[24:25], 4
	v_mov_b32_e32 v2, 0
	v_mov_b32_e32 v3, 0x3ff00000
	s_branch .LBB126_4
.LBB126_3:                              ;   in Loop: Header=BB126_4 Depth=1
	s_or_b64 exec, exec, s[10:11]
	s_add_i32 s7, s64, s7
	v_add_u32_e32 v26, s67, v26
	s_cmp_le_i32 s7, s33
	v_add_u32_e32 v28, s67, v28
	s_cbranch_scc0 .LBB126_64
.LBB126_4:                              ; =>This Loop Header: Depth=1
                                        ;     Child Loop BB126_7 Depth 2
	buffer_load_dword v0, off, s[72:75], 0 offset:56 ; 4-byte Folded Reload
	s_lshl_b32 s8, s7, 5
	s_sub_i32 s68, s50, s8
	v_ashrrev_i32_e32 v27, 31, v26
	v_ashrrev_i32_e32 v29, 31, v28
	s_cmp_lt_i32 s68, 1
	s_waitcnt vmcnt(0)
	v_add_u32_e32 v13, s8, v0
	v_ashrrev_i32_e32 v14, 31, v13
	buffer_store_dword v13, off, s[72:75], 0 ; 4-byte Folded Spill
	s_nop 0
	buffer_store_dword v14, off, s[72:75], 0 offset:4 ; 4-byte Folded Spill
	s_cbranch_scc1 .LBB126_55
; %bb.5:                                ;   in Loop: Header=BB126_4 Depth=1
	v_mov_b32_e32 v0, s48
	v_sub_co_u32_e64 v15, s[8:9], v28, v26
	v_mov_b32_e32 v1, s49
	v_subb_co_u32_e64 v16, s[8:9], v29, v27, s[8:9]
	v_mad_u64_u32 v[17:18], s[8:9], s56, v28, v[0:1]
	v_mov_b32_e32 v0, s26
	v_mov_b32_e32 v1, s27
	v_mad_u64_u32 v[42:43], s[8:9], s30, v26, v[0:1]
	v_lshlrev_b64 v[0:1], 4, v[26:27]
	v_lshlrev_b64 v[11:12], 4, v[28:29]
	v_add_co_u32_e64 v8, s[8:9], s6, v0
	v_addc_co_u32_e64 v0, s[8:9], 0, v1, s[8:9]
	v_mul_lo_u32 v9, s24, v0
	v_mov_b32_e32 v0, s22
	v_mov_b32_e32 v1, s23
	v_mad_u64_u32 v[44:45], s[8:9], s24, v8, v[0:1]
	v_mul_lo_u32 v10, s25, v8
	v_add_co_u32_e64 v8, s[8:9], s6, v11
	v_addc_co_u32_e64 v0, s[8:9], 0, v12, s[8:9]
	v_mul_lo_u32 v11, s36, v0
	v_mov_b32_e32 v0, s28
	v_mov_b32_e32 v1, s29
	v_mul_lo_u32 v4, s56, v29
	v_mul_lo_u32 v5, s57, v28
	;; [unrolled: 1-line block ×3, first 2 shown]
	v_mad_u64_u32 v[0:1], s[8:9], s36, v8, v[0:1]
	v_add3_u32 v18, v5, v18, v4
	buffer_store_dword v17, off, s[72:75], 0 offset:16 ; 4-byte Folded Spill
	s_nop 0
	buffer_store_dword v18, off, s[72:75], 0 offset:20 ; 4-byte Folded Spill
	v_add3_u32 v1, v12, v1, v11
	buffer_store_dword v0, off, s[72:75], 0 offset:24 ; 4-byte Folded Spill
	s_nop 0
	buffer_store_dword v1, off, s[72:75], 0 offset:28 ; 4-byte Folded Spill
	v_add_co_u32_e64 v0, s[8:9], 16, v13
	v_addc_co_u32_e64 v1, s[8:9], 0, v14, s[8:9]
	buffer_store_dword v0, off, s[72:75], 0 offset:32 ; 4-byte Folded Spill
	s_nop 0
	buffer_store_dword v1, off, s[72:75], 0 offset:36 ; 4-byte Folded Spill
	v_mul_lo_u32 v6, s30, v27
	v_mul_lo_u32 v7, s31, v26
	v_cmp_le_i32_e64 s[16:17], s50, v13
	v_mov_b32_e32 v12, 0
	v_mov_b32_e32 v62, 0
	;; [unrolled: 1-line block ×6, first 2 shown]
	v_add3_u32 v43, v7, v43, v6
	v_add3_u32 v45, v10, v45, v9
	v_mov_b32_e32 v13, 0
	s_mov_b64 s[38:39], 0
	v_mov_b32_e32 v63, 0
	v_mov_b32_e32 v61, 0
	v_mov_b32_e32 v19, 0
	v_mov_b32_e32 v59, 0
	v_mov_b32_e32 v57, 0
	v_cmp_le_i64_e64 s[8:9], s[50:51], v[0:1]
	v_add_co_u32_e64 v0, s[10:11], 16, v15
	v_addc_co_u32_e64 v1, s[10:11], 0, v16, s[10:11]
	buffer_store_dword v0, off, s[72:75], 0 offset:40 ; 4-byte Folded Spill
	s_nop 0
	buffer_store_dword v1, off, s[72:75], 0 offset:44 ; 4-byte Folded Spill
	v_add_co_u32_e64 v0, s[10:11], -16, v15
	buffer_store_dword v15, off, s[72:75], 0 offset:8 ; 4-byte Folded Spill
	s_nop 0
	buffer_store_dword v16, off, s[72:75], 0 offset:12 ; 4-byte Folded Spill
	v_mov_b32_e32 v14, 0
	v_mov_b32_e32 v15, 0
	v_addc_co_u32_e64 v1, s[10:11], -1, v16, s[10:11]
	buffer_store_dword v0, off, s[72:75], 0 offset:48 ; 4-byte Folded Spill
	s_nop 0
	buffer_store_dword v1, off, s[72:75], 0 offset:52 ; 4-byte Folded Spill
	buffer_load_dword v54, off, s[72:75], 0 offset:76 ; 4-byte Folded Reload
	buffer_load_dword v55, off, s[72:75], 0 offset:80 ; 4-byte Folded Reload
	v_mov_b32_e32 v16, 0
	v_mov_b32_e32 v17, 0
	s_branch .LBB126_7
.LBB126_6:                              ;   in Loop: Header=BB126_7 Depth=2
	s_or_b64 exec, exec, s[10:11]
	s_waitcnt lgkmcnt(0)
	s_barrier
	ds_read_b128 v[30:33], v50
	ds_read_b128 v[20:23], v50 offset:16
	ds_read_b128 v[8:11], v50 offset:32
	;; [unrolled: 1-line block ×3, first 2 shown]
	ds_read_b128 v[36:39], v52
	v_add_co_u32_e64 v54, s[10:11], s42, v54
	s_add_u32 s38, s38, 32
	s_addc_u32 s39, s39, 0
	s_waitcnt lgkmcnt(0)
	v_mul_f64 v[0:1], v[32:33], v[38:39]
	v_mul_f64 v[24:25], v[30:31], v[38:39]
	s_cmp_ge_i32 s38, s68
	v_fma_f64 v[0:1], v[30:31], v[36:37], -v[0:1]
	v_fma_f64 v[24:25], v[32:33], v[36:37], v[24:25]
	v_add_f64 v[48:49], v[56:57], v[0:1]
	v_add_f64 v[40:41], v[24:25], v[58:59]
	ds_read_b128 v[56:59], v52 offset:256
	s_waitcnt lgkmcnt(0)
	v_mul_f64 v[0:1], v[32:33], v[58:59]
	v_mul_f64 v[24:25], v[30:31], v[58:59]
	v_fma_f64 v[0:1], v[30:31], v[56:57], -v[0:1]
	v_fma_f64 v[24:25], v[32:33], v[56:57], v[24:25]
	v_add_f64 v[46:47], v[16:17], v[0:1]
	v_add_f64 v[34:35], v[24:25], v[18:19]
	ds_read_b128 v[16:19], v50 offset:8192
	s_waitcnt lgkmcnt(0)
	v_mul_f64 v[0:1], v[18:19], v[38:39]
	v_mul_f64 v[24:25], v[16:17], v[38:39]
	v_fma_f64 v[0:1], v[16:17], v[36:37], -v[0:1]
	v_fma_f64 v[24:25], v[18:19], v[36:37], v[24:25]
	v_add_f64 v[30:31], v[60:61], v[0:1]
	v_add_f64 v[0:1], v[24:25], v[62:63]
	v_mul_f64 v[24:25], v[18:19], v[58:59]
	v_fma_f64 v[24:25], v[16:17], v[56:57], -v[24:25]
	v_mul_f64 v[16:17], v[16:17], v[58:59]
	v_add_f64 v[32:33], v[14:15], v[24:25]
	v_fma_f64 v[16:17], v[18:19], v[56:57], v[16:17]
	v_add_f64 v[24:25], v[16:17], v[12:13]
	ds_read_b128 v[16:19], v52 offset:512
	s_waitcnt lgkmcnt(0)
	v_mul_f64 v[12:13], v[22:23], v[18:19]
	v_mul_f64 v[14:15], v[20:21], v[18:19]
	v_fma_f64 v[12:13], v[20:21], v[16:17], -v[12:13]
	v_fma_f64 v[14:15], v[22:23], v[16:17], v[14:15]
	v_add_f64 v[60:61], v[48:49], v[12:13]
	v_add_f64 v[62:63], v[14:15], v[40:41]
	ds_read_b128 v[12:15], v52 offset:768
	s_waitcnt lgkmcnt(0)
	v_mul_f64 v[36:37], v[22:23], v[14:15]
	v_fma_f64 v[36:37], v[20:21], v[12:13], -v[36:37]
	v_mul_f64 v[20:21], v[20:21], v[14:15]
	v_add_f64 v[56:57], v[46:47], v[36:37]
	v_fma_f64 v[20:21], v[22:23], v[12:13], v[20:21]
	v_add_f64 v[58:59], v[20:21], v[34:35]
	ds_read_b128 v[20:23], v50 offset:8208
	s_waitcnt lgkmcnt(0)
	v_mul_f64 v[34:35], v[22:23], v[18:19]
	v_mul_f64 v[18:19], v[20:21], v[18:19]
	v_fma_f64 v[34:35], v[20:21], v[16:17], -v[34:35]
	v_fma_f64 v[18:19], v[22:23], v[16:17], v[18:19]
	v_add_f64 v[16:17], v[30:31], v[34:35]
	v_add_f64 v[18:19], v[18:19], v[0:1]
	v_mul_f64 v[0:1], v[22:23], v[14:15]
	v_mul_f64 v[14:15], v[20:21], v[14:15]
	v_fma_f64 v[0:1], v[20:21], v[12:13], -v[0:1]
	v_fma_f64 v[14:15], v[22:23], v[12:13], v[14:15]
	ds_read_b128 v[20:23], v52 offset:1024
	v_add_f64 v[12:13], v[32:33], v[0:1]
	ds_read_b128 v[30:33], v52 offset:1280
	s_waitcnt lgkmcnt(1)
	v_mul_f64 v[0:1], v[10:11], v[22:23]
	v_add_f64 v[14:15], v[14:15], v[24:25]
	v_mul_f64 v[24:25], v[8:9], v[22:23]
	v_fma_f64 v[0:1], v[8:9], v[20:21], -v[0:1]
	v_fma_f64 v[24:25], v[10:11], v[20:21], v[24:25]
	v_add_f64 v[34:35], v[60:61], v[0:1]
	s_waitcnt lgkmcnt(0)
	v_mul_f64 v[0:1], v[10:11], v[32:33]
	v_add_f64 v[36:37], v[24:25], v[62:63]
	v_fma_f64 v[0:1], v[8:9], v[30:31], -v[0:1]
	v_mul_f64 v[8:9], v[8:9], v[32:33]
	v_add_f64 v[38:39], v[56:57], v[0:1]
	v_fma_f64 v[8:9], v[10:11], v[30:31], v[8:9]
	v_add_f64 v[40:41], v[8:9], v[58:59]
	ds_read_b128 v[8:11], v50 offset:8224
	s_waitcnt lgkmcnt(0)
	v_mul_f64 v[0:1], v[10:11], v[22:23]
	v_mul_f64 v[22:23], v[8:9], v[22:23]
	v_fma_f64 v[0:1], v[8:9], v[20:21], -v[0:1]
	v_fma_f64 v[20:21], v[10:11], v[20:21], v[22:23]
	v_add_f64 v[0:1], v[16:17], v[0:1]
	v_mul_f64 v[16:17], v[10:11], v[32:33]
	v_add_f64 v[20:21], v[20:21], v[18:19]
	v_fma_f64 v[16:17], v[8:9], v[30:31], -v[16:17]
	v_mul_f64 v[8:9], v[8:9], v[32:33]
	v_add_f64 v[22:23], v[12:13], v[16:17]
	v_fma_f64 v[8:9], v[10:11], v[30:31], v[8:9]
	v_add_f64 v[24:25], v[8:9], v[14:15]
	ds_read_b128 v[8:11], v52 offset:1536
	s_waitcnt lgkmcnt(0)
	v_mul_f64 v[12:13], v[6:7], v[10:11]
	v_mul_f64 v[14:15], v[4:5], v[10:11]
	v_fma_f64 v[12:13], v[4:5], v[8:9], -v[12:13]
	v_fma_f64 v[14:15], v[6:7], v[8:9], v[14:15]
	v_add_f64 v[16:17], v[34:35], v[12:13]
	v_add_f64 v[18:19], v[14:15], v[36:37]
	ds_read_b128 v[12:15], v52 offset:1792
	s_waitcnt lgkmcnt(0)
	v_mul_f64 v[30:31], v[6:7], v[14:15]
	v_fma_f64 v[30:31], v[4:5], v[12:13], -v[30:31]
	v_mul_f64 v[4:5], v[4:5], v[14:15]
	v_fma_f64 v[6:7], v[6:7], v[12:13], v[4:5]
	v_add_f64 v[4:5], v[38:39], v[30:31]
	ds_read_b128 v[30:33], v50 offset:8240
	s_waitcnt lgkmcnt(0)
	v_mul_f64 v[34:35], v[32:33], v[10:11]
	v_mul_f64 v[10:11], v[30:31], v[10:11]
	v_add_f64 v[6:7], v[6:7], v[40:41]
	v_fma_f64 v[34:35], v[30:31], v[8:9], -v[34:35]
	v_fma_f64 v[8:9], v[32:33], v[8:9], v[10:11]
	v_add_f64 v[34:35], v[0:1], v[34:35]
	v_add_f64 v[36:37], v[8:9], v[20:21]
	v_mul_f64 v[8:9], v[30:31], v[14:15]
	v_mul_f64 v[0:1], v[32:33], v[14:15]
	v_fma_f64 v[8:9], v[32:33], v[12:13], v[8:9]
	v_fma_f64 v[0:1], v[30:31], v[12:13], -v[0:1]
	v_add_f64 v[32:33], v[8:9], v[24:25]
	ds_read_b128 v[8:11], v50 offset:64
	ds_read_b128 v[12:15], v52 offset:2048
	v_add_f64 v[30:31], v[22:23], v[0:1]
	ds_read_b128 v[22:25], v52 offset:2304
	s_waitcnt lgkmcnt(1)
	v_mul_f64 v[0:1], v[10:11], v[14:15]
	v_mul_f64 v[20:21], v[8:9], v[14:15]
	v_fma_f64 v[0:1], v[8:9], v[12:13], -v[0:1]
	v_fma_f64 v[20:21], v[10:11], v[12:13], v[20:21]
	v_add_f64 v[0:1], v[16:17], v[0:1]
	s_waitcnt lgkmcnt(0)
	v_mul_f64 v[16:17], v[10:11], v[24:25]
	v_add_f64 v[20:21], v[20:21], v[18:19]
	v_fma_f64 v[16:17], v[8:9], v[22:23], -v[16:17]
	v_mul_f64 v[8:9], v[8:9], v[24:25]
	v_add_f64 v[40:41], v[4:5], v[16:17]
	v_fma_f64 v[8:9], v[10:11], v[22:23], v[8:9]
	v_add_f64 v[46:47], v[8:9], v[6:7]
	ds_read_b128 v[4:7], v50 offset:8256
	s_waitcnt lgkmcnt(0)
	v_mul_f64 v[8:9], v[6:7], v[14:15]
	v_mul_f64 v[10:11], v[4:5], v[14:15]
	v_fma_f64 v[8:9], v[4:5], v[12:13], -v[8:9]
	v_fma_f64 v[10:11], v[6:7], v[12:13], v[10:11]
	v_add_f64 v[16:17], v[34:35], v[8:9]
	v_mul_f64 v[8:9], v[6:7], v[24:25]
	v_add_f64 v[18:19], v[10:11], v[36:37]
	v_fma_f64 v[8:9], v[4:5], v[22:23], -v[8:9]
	v_mul_f64 v[4:5], v[4:5], v[24:25]
	v_add_f64 v[12:13], v[30:31], v[8:9]
	v_fma_f64 v[4:5], v[6:7], v[22:23], v[4:5]
	ds_read_b128 v[36:39], v50 offset:80
	ds_read_b128 v[8:11], v52 offset:2560
	s_waitcnt lgkmcnt(0)
	v_mul_f64 v[6:7], v[36:37], v[10:11]
	v_add_f64 v[14:15], v[4:5], v[32:33]
	v_mul_f64 v[4:5], v[38:39], v[10:11]
	v_fma_f64 v[6:7], v[38:39], v[8:9], v[6:7]
	v_fma_f64 v[4:5], v[36:37], v[8:9], -v[4:5]
	v_add_f64 v[32:33], v[6:7], v[20:21]
	v_add_f64 v[24:25], v[0:1], v[4:5]
	ds_read_b128 v[4:7], v52 offset:2816
	s_waitcnt lgkmcnt(0)
	v_mul_f64 v[0:1], v[38:39], v[6:7]
	v_mul_f64 v[20:21], v[36:37], v[6:7]
	v_fma_f64 v[0:1], v[36:37], v[4:5], -v[0:1]
	v_fma_f64 v[22:23], v[38:39], v[4:5], v[20:21]
	ds_read_b128 v[36:39], v50 offset:8272
	v_add_f64 v[20:21], v[40:41], v[0:1]
	s_waitcnt lgkmcnt(0)
	v_mul_f64 v[0:1], v[38:39], v[10:11]
	v_mul_f64 v[10:11], v[36:37], v[10:11]
	v_add_f64 v[22:23], v[22:23], v[46:47]
	v_fma_f64 v[0:1], v[36:37], v[8:9], -v[0:1]
	v_fma_f64 v[8:9], v[38:39], v[8:9], v[10:11]
	v_add_f64 v[30:31], v[16:17], v[0:1]
	v_mul_f64 v[0:1], v[38:39], v[6:7]
	v_mul_f64 v[6:7], v[36:37], v[6:7]
	v_add_f64 v[18:19], v[8:9], v[18:19]
	v_fma_f64 v[0:1], v[36:37], v[4:5], -v[0:1]
	v_fma_f64 v[4:5], v[38:39], v[4:5], v[6:7]
	v_add_f64 v[34:35], v[12:13], v[0:1]
	ds_read_b128 v[6:9], v50 offset:96
	ds_read_b128 v[10:13], v52 offset:3072
	v_add_f64 v[36:37], v[4:5], v[14:15]
	ds_read_b128 v[14:17], v52 offset:3328
	s_waitcnt lgkmcnt(1)
	v_mul_f64 v[0:1], v[8:9], v[12:13]
	v_mul_f64 v[4:5], v[6:7], v[12:13]
	v_fma_f64 v[0:1], v[6:7], v[10:11], -v[0:1]
	v_fma_f64 v[4:5], v[8:9], v[10:11], v[4:5]
	v_add_f64 v[0:1], v[24:25], v[0:1]
	s_waitcnt lgkmcnt(0)
	v_mul_f64 v[24:25], v[8:9], v[16:17]
	v_add_f64 v[4:5], v[4:5], v[32:33]
	v_fma_f64 v[24:25], v[6:7], v[14:15], -v[24:25]
	v_mul_f64 v[6:7], v[6:7], v[16:17]
	v_add_f64 v[38:39], v[20:21], v[24:25]
	v_fma_f64 v[6:7], v[8:9], v[14:15], v[6:7]
	v_add_f64 v[40:41], v[6:7], v[22:23]
	ds_read_b128 v[6:9], v50 offset:8288
	s_waitcnt lgkmcnt(0)
	v_mul_f64 v[20:21], v[8:9], v[12:13]
	v_mul_f64 v[12:13], v[6:7], v[12:13]
	v_fma_f64 v[20:21], v[6:7], v[10:11], -v[20:21]
	v_fma_f64 v[10:11], v[8:9], v[10:11], v[12:13]
	v_add_f64 v[20:21], v[30:31], v[20:21]
	v_add_f64 v[22:23], v[10:11], v[18:19]
	v_mul_f64 v[10:11], v[8:9], v[16:17]
	v_fma_f64 v[10:11], v[6:7], v[14:15], -v[10:11]
	v_mul_f64 v[6:7], v[6:7], v[16:17]
	v_add_f64 v[16:17], v[34:35], v[10:11]
	v_fma_f64 v[6:7], v[8:9], v[14:15], v[6:7]
	ds_read_b128 v[12:15], v50 offset:112
	ds_read_b128 v[8:11], v52 offset:3584
	s_waitcnt lgkmcnt(0)
	v_mul_f64 v[24:25], v[12:13], v[10:11]
	v_add_f64 v[18:19], v[6:7], v[36:37]
	v_mul_f64 v[6:7], v[14:15], v[10:11]
	v_fma_f64 v[30:31], v[14:15], v[8:9], v[24:25]
	v_fma_f64 v[6:7], v[12:13], v[8:9], -v[6:7]
	v_add_f64 v[32:33], v[30:31], v[4:5]
	v_add_f64 v[24:25], v[0:1], v[6:7]
	ds_read_b128 v[4:7], v52 offset:3840
	s_waitcnt lgkmcnt(0)
	v_mul_f64 v[0:1], v[14:15], v[6:7]
	v_fma_f64 v[0:1], v[12:13], v[4:5], -v[0:1]
	v_mul_f64 v[12:13], v[12:13], v[6:7]
	v_add_f64 v[56:57], v[38:39], v[0:1]
	v_fma_f64 v[12:13], v[14:15], v[4:5], v[12:13]
	v_add_f64 v[58:59], v[12:13], v[40:41]
	ds_read_b128 v[12:15], v50 offset:8304
	s_waitcnt lgkmcnt(0)
	v_mul_f64 v[0:1], v[14:15], v[10:11]
	v_mul_f64 v[10:11], v[12:13], v[10:11]
	v_fma_f64 v[0:1], v[12:13], v[8:9], -v[0:1]
	v_fma_f64 v[8:9], v[14:15], v[8:9], v[10:11]
	v_add_f64 v[20:21], v[20:21], v[0:1]
	v_mul_f64 v[0:1], v[14:15], v[6:7]
	v_mul_f64 v[6:7], v[12:13], v[6:7]
	v_add_f64 v[22:23], v[8:9], v[22:23]
	v_fma_f64 v[0:1], v[12:13], v[4:5], -v[0:1]
	v_fma_f64 v[4:5], v[14:15], v[4:5], v[6:7]
	ds_read_b128 v[6:9], v50 offset:128
	ds_read_b128 v[10:13], v52 offset:4096
	v_add_f64 v[30:31], v[16:17], v[0:1]
	s_waitcnt lgkmcnt(0)
	v_mul_f64 v[0:1], v[8:9], v[12:13]
	ds_read_b128 v[14:17], v52 offset:4352
	v_add_f64 v[18:19], v[4:5], v[18:19]
	v_mul_f64 v[4:5], v[6:7], v[12:13]
	v_fma_f64 v[0:1], v[6:7], v[10:11], -v[0:1]
	v_fma_f64 v[4:5], v[8:9], v[10:11], v[4:5]
	v_add_f64 v[0:1], v[24:25], v[0:1]
	s_waitcnt lgkmcnt(0)
	v_mul_f64 v[24:25], v[8:9], v[16:17]
	v_add_f64 v[4:5], v[4:5], v[32:33]
	v_fma_f64 v[24:25], v[6:7], v[14:15], -v[24:25]
	v_mul_f64 v[6:7], v[6:7], v[16:17]
	v_add_f64 v[34:35], v[56:57], v[24:25]
	v_fma_f64 v[6:7], v[8:9], v[14:15], v[6:7]
	v_add_f64 v[36:37], v[6:7], v[58:59]
	ds_read_b128 v[6:9], v50 offset:8320
	s_waitcnt lgkmcnt(0)
	v_mul_f64 v[24:25], v[8:9], v[12:13]
	v_mul_f64 v[12:13], v[6:7], v[12:13]
	v_fma_f64 v[24:25], v[6:7], v[10:11], -v[24:25]
	v_fma_f64 v[10:11], v[8:9], v[10:11], v[12:13]
	v_add_f64 v[20:21], v[20:21], v[24:25]
	v_add_f64 v[22:23], v[10:11], v[22:23]
	v_mul_f64 v[10:11], v[8:9], v[16:17]
	v_fma_f64 v[10:11], v[6:7], v[14:15], -v[10:11]
	v_mul_f64 v[6:7], v[6:7], v[16:17]
	v_add_f64 v[16:17], v[30:31], v[10:11]
	v_fma_f64 v[6:7], v[8:9], v[14:15], v[6:7]
	ds_read_b128 v[12:15], v50 offset:144
	ds_read_b128 v[8:11], v52 offset:4608
	s_waitcnt lgkmcnt(0)
	v_mul_f64 v[24:25], v[12:13], v[10:11]
	v_add_f64 v[18:19], v[6:7], v[18:19]
	v_mul_f64 v[6:7], v[14:15], v[10:11]
	v_fma_f64 v[30:31], v[14:15], v[8:9], v[24:25]
	v_fma_f64 v[6:7], v[12:13], v[8:9], -v[6:7]
	v_add_f64 v[32:33], v[30:31], v[4:5]
	v_add_f64 v[24:25], v[0:1], v[6:7]
	ds_read_b128 v[4:7], v52 offset:4864
	s_waitcnt lgkmcnt(0)
	v_mul_f64 v[0:1], v[14:15], v[6:7]
	v_fma_f64 v[0:1], v[12:13], v[4:5], -v[0:1]
	v_mul_f64 v[12:13], v[12:13], v[6:7]
	v_add_f64 v[56:57], v[34:35], v[0:1]
	v_fma_f64 v[12:13], v[14:15], v[4:5], v[12:13]
	v_add_f64 v[58:59], v[12:13], v[36:37]
	ds_read_b128 v[12:15], v50 offset:8336
	s_waitcnt lgkmcnt(0)
	v_mul_f64 v[0:1], v[14:15], v[10:11]
	v_mul_f64 v[10:11], v[12:13], v[10:11]
	v_fma_f64 v[0:1], v[12:13], v[8:9], -v[0:1]
	v_fma_f64 v[8:9], v[14:15], v[8:9], v[10:11]
	v_add_f64 v[20:21], v[20:21], v[0:1]
	v_mul_f64 v[0:1], v[14:15], v[6:7]
	v_mul_f64 v[6:7], v[12:13], v[6:7]
	v_add_f64 v[22:23], v[8:9], v[22:23]
	v_fma_f64 v[0:1], v[12:13], v[4:5], -v[0:1]
	v_fma_f64 v[4:5], v[14:15], v[4:5], v[6:7]
	ds_read_b128 v[6:9], v50 offset:160
	ds_read_b128 v[10:13], v52 offset:5120
	v_add_f64 v[30:31], v[16:17], v[0:1]
	s_waitcnt lgkmcnt(0)
	v_mul_f64 v[0:1], v[8:9], v[12:13]
	ds_read_b128 v[14:17], v52 offset:5376
	v_add_f64 v[18:19], v[4:5], v[18:19]
	v_mul_f64 v[4:5], v[6:7], v[12:13]
	v_fma_f64 v[0:1], v[6:7], v[10:11], -v[0:1]
	v_fma_f64 v[4:5], v[8:9], v[10:11], v[4:5]
	v_add_f64 v[0:1], v[24:25], v[0:1]
	s_waitcnt lgkmcnt(0)
	v_mul_f64 v[24:25], v[8:9], v[16:17]
	v_add_f64 v[4:5], v[4:5], v[32:33]
	v_fma_f64 v[24:25], v[6:7], v[14:15], -v[24:25]
	v_mul_f64 v[6:7], v[6:7], v[16:17]
	v_add_f64 v[32:33], v[56:57], v[24:25]
	v_fma_f64 v[6:7], v[8:9], v[14:15], v[6:7]
	v_add_f64 v[34:35], v[6:7], v[58:59]
	ds_read_b128 v[6:9], v50 offset:8352
	s_waitcnt lgkmcnt(0)
	v_mul_f64 v[24:25], v[8:9], v[12:13]
	v_mul_f64 v[12:13], v[6:7], v[12:13]
	v_fma_f64 v[24:25], v[6:7], v[10:11], -v[24:25]
	v_fma_f64 v[10:11], v[8:9], v[10:11], v[12:13]
	v_add_f64 v[20:21], v[20:21], v[24:25]
	v_add_f64 v[22:23], v[10:11], v[22:23]
	v_mul_f64 v[10:11], v[8:9], v[16:17]
	v_fma_f64 v[10:11], v[6:7], v[14:15], -v[10:11]
	v_mul_f64 v[6:7], v[6:7], v[16:17]
	v_add_f64 v[16:17], v[30:31], v[10:11]
	v_fma_f64 v[6:7], v[8:9], v[14:15], v[6:7]
	ds_read_b128 v[12:15], v50 offset:176
	ds_read_b128 v[8:11], v52 offset:5632
	s_waitcnt lgkmcnt(0)
	v_mul_f64 v[24:25], v[12:13], v[10:11]
	v_add_f64 v[18:19], v[6:7], v[18:19]
	v_mul_f64 v[6:7], v[14:15], v[10:11]
	v_fma_f64 v[24:25], v[14:15], v[8:9], v[24:25]
	v_fma_f64 v[6:7], v[12:13], v[8:9], -v[6:7]
	v_add_f64 v[24:25], v[24:25], v[4:5]
	v_add_f64 v[0:1], v[0:1], v[6:7]
	ds_read_b128 v[4:7], v52 offset:5888
	s_waitcnt lgkmcnt(0)
	v_mul_f64 v[30:31], v[14:15], v[6:7]
	v_fma_f64 v[30:31], v[12:13], v[4:5], -v[30:31]
	v_mul_f64 v[12:13], v[12:13], v[6:7]
	v_add_f64 v[56:57], v[32:33], v[30:31]
	v_fma_f64 v[12:13], v[14:15], v[4:5], v[12:13]
	v_add_f64 v[58:59], v[12:13], v[34:35]
	ds_read_b128 v[12:15], v50 offset:8368
	s_waitcnt lgkmcnt(0)
	v_mul_f64 v[30:31], v[14:15], v[10:11]
	v_mul_f64 v[10:11], v[12:13], v[10:11]
	v_fma_f64 v[30:31], v[12:13], v[8:9], -v[30:31]
	v_fma_f64 v[8:9], v[14:15], v[8:9], v[10:11]
	v_add_f64 v[20:21], v[20:21], v[30:31]
	v_add_f64 v[22:23], v[8:9], v[22:23]
	v_mul_f64 v[8:9], v[14:15], v[6:7]
	v_mul_f64 v[6:7], v[12:13], v[6:7]
	v_fma_f64 v[8:9], v[12:13], v[4:5], -v[8:9]
	v_fma_f64 v[4:5], v[14:15], v[4:5], v[6:7]
	v_add_f64 v[30:31], v[16:17], v[8:9]
	v_add_f64 v[32:33], v[4:5], v[18:19]
	ds_read_b128 v[4:7], v50 offset:192
	ds_read_b128 v[10:13], v52 offset:6144
	;; [unrolled: 1-line block ×3, first 2 shown]
	s_waitcnt lgkmcnt(1)
	v_mul_f64 v[8:9], v[6:7], v[12:13]
	v_mul_f64 v[14:15], v[4:5], v[12:13]
	v_fma_f64 v[8:9], v[4:5], v[10:11], -v[8:9]
	v_fma_f64 v[14:15], v[6:7], v[10:11], v[14:15]
	v_add_f64 v[0:1], v[0:1], v[8:9]
	v_add_f64 v[8:9], v[14:15], v[24:25]
	s_waitcnt lgkmcnt(0)
	v_mul_f64 v[14:15], v[6:7], v[18:19]
	v_fma_f64 v[14:15], v[4:5], v[16:17], -v[14:15]
	v_mul_f64 v[4:5], v[4:5], v[18:19]
	v_add_f64 v[34:35], v[56:57], v[14:15]
	v_fma_f64 v[4:5], v[6:7], v[16:17], v[4:5]
	v_add_f64 v[36:37], v[4:5], v[58:59]
	ds_read_b128 v[4:7], v50 offset:8384
	s_waitcnt lgkmcnt(0)
	v_mul_f64 v[14:15], v[6:7], v[12:13]
	v_mul_f64 v[12:13], v[4:5], v[12:13]
	v_fma_f64 v[14:15], v[4:5], v[10:11], -v[14:15]
	v_fma_f64 v[10:11], v[6:7], v[10:11], v[12:13]
	v_add_f64 v[12:13], v[20:21], v[14:15]
	v_add_f64 v[14:15], v[10:11], v[22:23]
	v_mul_f64 v[10:11], v[6:7], v[18:19]
	v_fma_f64 v[10:11], v[4:5], v[16:17], -v[10:11]
	v_mul_f64 v[4:5], v[4:5], v[18:19]
	v_fma_f64 v[4:5], v[6:7], v[16:17], v[4:5]
	v_add_f64 v[16:17], v[30:31], v[10:11]
	v_add_f64 v[18:19], v[4:5], v[32:33]
	ds_read_b128 v[20:23], v50 offset:208
	ds_read_b128 v[4:7], v52 offset:6656
	s_waitcnt lgkmcnt(0)
	v_mul_f64 v[10:11], v[22:23], v[6:7]
	v_mul_f64 v[24:25], v[20:21], v[6:7]
	v_fma_f64 v[10:11], v[20:21], v[4:5], -v[10:11]
	v_fma_f64 v[30:31], v[22:23], v[4:5], v[24:25]
	v_add_f64 v[24:25], v[0:1], v[10:11]
	v_add_f64 v[32:33], v[30:31], v[8:9]
	ds_read_b128 v[8:11], v52 offset:6912
	s_waitcnt lgkmcnt(0)
	v_mul_f64 v[0:1], v[22:23], v[10:11]
	v_fma_f64 v[0:1], v[20:21], v[8:9], -v[0:1]
	v_mul_f64 v[20:21], v[20:21], v[10:11]
	v_fma_f64 v[22:23], v[22:23], v[8:9], v[20:21]
	v_add_f64 v[20:21], v[34:35], v[0:1]
	v_add_f64 v[22:23], v[22:23], v[36:37]
	ds_read_b128 v[36:39], v50 offset:8400
	s_waitcnt lgkmcnt(0)
	v_mul_f64 v[0:1], v[38:39], v[6:7]
	v_mul_f64 v[6:7], v[36:37], v[6:7]
	v_fma_f64 v[0:1], v[36:37], v[4:5], -v[0:1]
	v_fma_f64 v[4:5], v[38:39], v[4:5], v[6:7]
	v_add_f64 v[34:35], v[12:13], v[0:1]
	v_add_f64 v[14:15], v[4:5], v[14:15]
	v_mul_f64 v[4:5], v[36:37], v[10:11]
	v_mul_f64 v[0:1], v[38:39], v[10:11]
	v_fma_f64 v[4:5], v[38:39], v[8:9], v[4:5]
	v_fma_f64 v[0:1], v[36:37], v[8:9], -v[0:1]
	ds_read_b128 v[6:9], v50 offset:224
	ds_read_b128 v[10:13], v52 offset:7168
	v_add_f64 v[38:39], v[4:5], v[18:19]
	s_waitcnt lgkmcnt(0)
	v_mul_f64 v[4:5], v[6:7], v[12:13]
	v_add_f64 v[36:37], v[16:17], v[0:1]
	v_mul_f64 v[0:1], v[8:9], v[12:13]
	v_fma_f64 v[4:5], v[8:9], v[10:11], v[4:5]
	v_fma_f64 v[0:1], v[6:7], v[10:11], -v[0:1]
	v_add_f64 v[4:5], v[4:5], v[32:33]
	ds_read_b128 v[30:33], v52 offset:7424
	v_add_f64 v[0:1], v[24:25], v[0:1]
	s_waitcnt lgkmcnt(0)
	v_mul_f64 v[16:17], v[8:9], v[32:33]
	v_fma_f64 v[16:17], v[6:7], v[30:31], -v[16:17]
	v_mul_f64 v[6:7], v[6:7], v[32:33]
	v_add_f64 v[40:41], v[20:21], v[16:17]
	v_fma_f64 v[6:7], v[8:9], v[30:31], v[6:7]
	v_add_f64 v[46:47], v[6:7], v[22:23]
	ds_read_b128 v[6:9], v50 offset:8416
	s_waitcnt lgkmcnt(0)
	v_mul_f64 v[16:17], v[8:9], v[12:13]
	v_mul_f64 v[12:13], v[6:7], v[12:13]
	v_fma_f64 v[16:17], v[6:7], v[10:11], -v[16:17]
	v_fma_f64 v[10:11], v[8:9], v[10:11], v[12:13]
	v_add_f64 v[16:17], v[34:35], v[16:17]
	v_add_f64 v[18:19], v[10:11], v[14:15]
	v_mul_f64 v[10:11], v[8:9], v[32:33]
	v_fma_f64 v[10:11], v[6:7], v[30:31], -v[10:11]
	v_mul_f64 v[6:7], v[6:7], v[32:33]
	v_add_f64 v[12:13], v[36:37], v[10:11]
	v_fma_f64 v[6:7], v[8:9], v[30:31], v[6:7]
	ds_read_b128 v[20:23], v50 offset:240
	ds_read_b128 v[8:11], v52 offset:7680
	s_waitcnt lgkmcnt(0)
	v_mul_f64 v[24:25], v[20:21], v[10:11]
	v_add_f64 v[14:15], v[6:7], v[38:39]
	v_mul_f64 v[6:7], v[22:23], v[10:11]
	ds_read_b128 v[36:39], v50 offset:8432
	v_fma_f64 v[30:31], v[22:23], v[8:9], v[24:25]
	v_fma_f64 v[6:7], v[20:21], v[8:9], -v[6:7]
	v_add_f64 v[32:33], v[30:31], v[4:5]
	v_add_f64 v[24:25], v[0:1], v[6:7]
	ds_read_b128 v[4:7], v52 offset:7936
	s_waitcnt lgkmcnt(0)
	v_mul_f64 v[0:1], v[22:23], v[6:7]
	v_fma_f64 v[0:1], v[20:21], v[4:5], -v[0:1]
	v_mul_f64 v[20:21], v[20:21], v[6:7]
	v_fma_f64 v[22:23], v[22:23], v[4:5], v[20:21]
	v_add_f64 v[20:21], v[40:41], v[0:1]
	v_mul_f64 v[0:1], v[38:39], v[10:11]
	v_mul_f64 v[10:11], v[36:37], v[10:11]
	v_add_f64 v[22:23], v[22:23], v[46:47]
	v_fma_f64 v[0:1], v[36:37], v[8:9], -v[0:1]
	v_fma_f64 v[8:9], v[38:39], v[8:9], v[10:11]
	v_add_f64 v[30:31], v[16:17], v[0:1]
	v_mul_f64 v[0:1], v[38:39], v[6:7]
	v_mul_f64 v[6:7], v[36:37], v[6:7]
	v_add_f64 v[18:19], v[8:9], v[18:19]
	v_fma_f64 v[0:1], v[36:37], v[4:5], -v[0:1]
	v_fma_f64 v[4:5], v[38:39], v[4:5], v[6:7]
	v_add_f64 v[34:35], v[12:13], v[0:1]
	ds_read_b128 v[6:9], v50 offset:256
	ds_read_b128 v[10:13], v52 offset:8192
	v_add_f64 v[36:37], v[4:5], v[14:15]
	ds_read_b128 v[14:17], v52 offset:8448
	s_waitcnt lgkmcnt(1)
	v_mul_f64 v[0:1], v[8:9], v[12:13]
	v_mul_f64 v[4:5], v[6:7], v[12:13]
	v_fma_f64 v[0:1], v[6:7], v[10:11], -v[0:1]
	v_fma_f64 v[4:5], v[8:9], v[10:11], v[4:5]
	v_add_f64 v[0:1], v[24:25], v[0:1]
	s_waitcnt lgkmcnt(0)
	v_mul_f64 v[24:25], v[8:9], v[16:17]
	v_add_f64 v[4:5], v[4:5], v[32:33]
	v_fma_f64 v[24:25], v[6:7], v[14:15], -v[24:25]
	v_mul_f64 v[6:7], v[6:7], v[16:17]
	v_add_f64 v[38:39], v[20:21], v[24:25]
	v_fma_f64 v[6:7], v[8:9], v[14:15], v[6:7]
	v_add_f64 v[40:41], v[6:7], v[22:23]
	ds_read_b128 v[6:9], v50 offset:8448
	s_waitcnt lgkmcnt(0)
	v_mul_f64 v[20:21], v[8:9], v[12:13]
	v_mul_f64 v[12:13], v[6:7], v[12:13]
	v_fma_f64 v[20:21], v[6:7], v[10:11], -v[20:21]
	v_fma_f64 v[10:11], v[8:9], v[10:11], v[12:13]
	v_add_f64 v[20:21], v[30:31], v[20:21]
	v_add_f64 v[22:23], v[10:11], v[18:19]
	v_mul_f64 v[10:11], v[8:9], v[16:17]
	v_fma_f64 v[10:11], v[6:7], v[14:15], -v[10:11]
	v_mul_f64 v[6:7], v[6:7], v[16:17]
	v_add_f64 v[16:17], v[34:35], v[10:11]
	v_fma_f64 v[6:7], v[8:9], v[14:15], v[6:7]
	ds_read_b128 v[12:15], v50 offset:272
	ds_read_b128 v[8:11], v52 offset:8704
	s_waitcnt lgkmcnt(0)
	v_mul_f64 v[24:25], v[12:13], v[10:11]
	v_add_f64 v[18:19], v[6:7], v[36:37]
	v_mul_f64 v[6:7], v[14:15], v[10:11]
	v_fma_f64 v[30:31], v[14:15], v[8:9], v[24:25]
	v_fma_f64 v[6:7], v[12:13], v[8:9], -v[6:7]
	v_add_f64 v[32:33], v[30:31], v[4:5]
	v_add_f64 v[24:25], v[0:1], v[6:7]
	ds_read_b128 v[4:7], v52 offset:8960
	s_waitcnt lgkmcnt(0)
	v_mul_f64 v[0:1], v[14:15], v[6:7]
	v_fma_f64 v[0:1], v[12:13], v[4:5], -v[0:1]
	v_mul_f64 v[12:13], v[12:13], v[6:7]
	v_add_f64 v[56:57], v[38:39], v[0:1]
	v_fma_f64 v[12:13], v[14:15], v[4:5], v[12:13]
	v_add_f64 v[58:59], v[12:13], v[40:41]
	ds_read_b128 v[12:15], v50 offset:8464
	s_waitcnt lgkmcnt(0)
	v_mul_f64 v[0:1], v[14:15], v[10:11]
	v_mul_f64 v[10:11], v[12:13], v[10:11]
	v_fma_f64 v[0:1], v[12:13], v[8:9], -v[0:1]
	v_fma_f64 v[8:9], v[14:15], v[8:9], v[10:11]
	v_add_f64 v[20:21], v[20:21], v[0:1]
	v_mul_f64 v[0:1], v[14:15], v[6:7]
	v_mul_f64 v[6:7], v[12:13], v[6:7]
	v_add_f64 v[22:23], v[8:9], v[22:23]
	v_fma_f64 v[0:1], v[12:13], v[4:5], -v[0:1]
	v_fma_f64 v[4:5], v[14:15], v[4:5], v[6:7]
	ds_read_b128 v[6:9], v50 offset:288
	ds_read_b128 v[10:13], v52 offset:9216
	v_add_f64 v[30:31], v[16:17], v[0:1]
	s_waitcnt lgkmcnt(0)
	v_mul_f64 v[0:1], v[8:9], v[12:13]
	ds_read_b128 v[14:17], v52 offset:9472
	v_add_f64 v[18:19], v[4:5], v[18:19]
	v_mul_f64 v[4:5], v[6:7], v[12:13]
	v_fma_f64 v[0:1], v[6:7], v[10:11], -v[0:1]
	v_fma_f64 v[4:5], v[8:9], v[10:11], v[4:5]
	v_add_f64 v[0:1], v[24:25], v[0:1]
	s_waitcnt lgkmcnt(0)
	v_mul_f64 v[24:25], v[8:9], v[16:17]
	v_add_f64 v[4:5], v[4:5], v[32:33]
	v_fma_f64 v[24:25], v[6:7], v[14:15], -v[24:25]
	v_mul_f64 v[6:7], v[6:7], v[16:17]
	v_add_f64 v[34:35], v[56:57], v[24:25]
	v_fma_f64 v[6:7], v[8:9], v[14:15], v[6:7]
	v_add_f64 v[36:37], v[6:7], v[58:59]
	ds_read_b128 v[6:9], v50 offset:8480
	s_waitcnt lgkmcnt(0)
	v_mul_f64 v[24:25], v[8:9], v[12:13]
	v_mul_f64 v[12:13], v[6:7], v[12:13]
	v_fma_f64 v[24:25], v[6:7], v[10:11], -v[24:25]
	v_fma_f64 v[10:11], v[8:9], v[10:11], v[12:13]
	v_add_f64 v[20:21], v[20:21], v[24:25]
	v_add_f64 v[22:23], v[10:11], v[22:23]
	v_mul_f64 v[10:11], v[8:9], v[16:17]
	v_fma_f64 v[10:11], v[6:7], v[14:15], -v[10:11]
	v_mul_f64 v[6:7], v[6:7], v[16:17]
	v_add_f64 v[16:17], v[30:31], v[10:11]
	v_fma_f64 v[6:7], v[8:9], v[14:15], v[6:7]
	ds_read_b128 v[12:15], v50 offset:304
	ds_read_b128 v[8:11], v52 offset:9728
	s_waitcnt lgkmcnt(0)
	v_mul_f64 v[24:25], v[12:13], v[10:11]
	v_add_f64 v[18:19], v[6:7], v[18:19]
	v_mul_f64 v[6:7], v[14:15], v[10:11]
	v_fma_f64 v[30:31], v[14:15], v[8:9], v[24:25]
	v_fma_f64 v[6:7], v[12:13], v[8:9], -v[6:7]
	v_add_f64 v[32:33], v[30:31], v[4:5]
	v_add_f64 v[24:25], v[0:1], v[6:7]
	ds_read_b128 v[4:7], v52 offset:9984
	s_waitcnt lgkmcnt(0)
	v_mul_f64 v[0:1], v[14:15], v[6:7]
	v_fma_f64 v[0:1], v[12:13], v[4:5], -v[0:1]
	v_mul_f64 v[12:13], v[12:13], v[6:7]
	v_add_f64 v[56:57], v[34:35], v[0:1]
	v_fma_f64 v[12:13], v[14:15], v[4:5], v[12:13]
	v_add_f64 v[58:59], v[12:13], v[36:37]
	ds_read_b128 v[12:15], v50 offset:8496
	s_waitcnt lgkmcnt(0)
	v_mul_f64 v[0:1], v[14:15], v[10:11]
	v_mul_f64 v[10:11], v[12:13], v[10:11]
	v_fma_f64 v[0:1], v[12:13], v[8:9], -v[0:1]
	v_fma_f64 v[8:9], v[14:15], v[8:9], v[10:11]
	v_add_f64 v[20:21], v[20:21], v[0:1]
	v_mul_f64 v[0:1], v[14:15], v[6:7]
	v_mul_f64 v[6:7], v[12:13], v[6:7]
	v_add_f64 v[22:23], v[8:9], v[22:23]
	v_fma_f64 v[0:1], v[12:13], v[4:5], -v[0:1]
	v_fma_f64 v[4:5], v[14:15], v[4:5], v[6:7]
	ds_read_b128 v[6:9], v50 offset:320
	ds_read_b128 v[10:13], v52 offset:10240
	v_add_f64 v[30:31], v[16:17], v[0:1]
	s_waitcnt lgkmcnt(0)
	v_mul_f64 v[0:1], v[8:9], v[12:13]
	ds_read_b128 v[14:17], v52 offset:10496
	v_add_f64 v[18:19], v[4:5], v[18:19]
	v_mul_f64 v[4:5], v[6:7], v[12:13]
	v_fma_f64 v[0:1], v[6:7], v[10:11], -v[0:1]
	v_fma_f64 v[4:5], v[8:9], v[10:11], v[4:5]
	v_add_f64 v[0:1], v[24:25], v[0:1]
	s_waitcnt lgkmcnt(0)
	v_mul_f64 v[24:25], v[8:9], v[16:17]
	v_add_f64 v[4:5], v[4:5], v[32:33]
	v_fma_f64 v[24:25], v[6:7], v[14:15], -v[24:25]
	v_mul_f64 v[6:7], v[6:7], v[16:17]
	v_add_f64 v[32:33], v[56:57], v[24:25]
	v_fma_f64 v[6:7], v[8:9], v[14:15], v[6:7]
	v_add_f64 v[34:35], v[6:7], v[58:59]
	ds_read_b128 v[6:9], v50 offset:8512
	s_waitcnt lgkmcnt(0)
	v_mul_f64 v[24:25], v[8:9], v[12:13]
	v_mul_f64 v[12:13], v[6:7], v[12:13]
	v_fma_f64 v[24:25], v[6:7], v[10:11], -v[24:25]
	v_fma_f64 v[10:11], v[8:9], v[10:11], v[12:13]
	v_add_f64 v[20:21], v[20:21], v[24:25]
	v_add_f64 v[22:23], v[10:11], v[22:23]
	v_mul_f64 v[10:11], v[8:9], v[16:17]
	v_fma_f64 v[10:11], v[6:7], v[14:15], -v[10:11]
	v_mul_f64 v[6:7], v[6:7], v[16:17]
	v_add_f64 v[16:17], v[30:31], v[10:11]
	v_fma_f64 v[6:7], v[8:9], v[14:15], v[6:7]
	ds_read_b128 v[12:15], v50 offset:336
	ds_read_b128 v[8:11], v52 offset:10752
	s_waitcnt lgkmcnt(0)
	v_mul_f64 v[24:25], v[12:13], v[10:11]
	v_add_f64 v[18:19], v[6:7], v[18:19]
	v_mul_f64 v[6:7], v[14:15], v[10:11]
	v_fma_f64 v[24:25], v[14:15], v[8:9], v[24:25]
	v_fma_f64 v[6:7], v[12:13], v[8:9], -v[6:7]
	v_add_f64 v[24:25], v[24:25], v[4:5]
	v_add_f64 v[0:1], v[0:1], v[6:7]
	ds_read_b128 v[4:7], v52 offset:11008
	s_waitcnt lgkmcnt(0)
	v_mul_f64 v[30:31], v[14:15], v[6:7]
	v_fma_f64 v[30:31], v[12:13], v[4:5], -v[30:31]
	v_mul_f64 v[12:13], v[12:13], v[6:7]
	v_add_f64 v[56:57], v[32:33], v[30:31]
	v_fma_f64 v[12:13], v[14:15], v[4:5], v[12:13]
	v_add_f64 v[58:59], v[12:13], v[34:35]
	ds_read_b128 v[12:15], v50 offset:8528
	s_waitcnt lgkmcnt(0)
	v_mul_f64 v[30:31], v[14:15], v[10:11]
	v_mul_f64 v[10:11], v[12:13], v[10:11]
	v_fma_f64 v[30:31], v[12:13], v[8:9], -v[30:31]
	v_fma_f64 v[8:9], v[14:15], v[8:9], v[10:11]
	v_add_f64 v[20:21], v[20:21], v[30:31]
	v_add_f64 v[22:23], v[8:9], v[22:23]
	v_mul_f64 v[8:9], v[14:15], v[6:7]
	v_mul_f64 v[6:7], v[12:13], v[6:7]
	v_fma_f64 v[8:9], v[12:13], v[4:5], -v[8:9]
	v_fma_f64 v[4:5], v[14:15], v[4:5], v[6:7]
	v_add_f64 v[30:31], v[16:17], v[8:9]
	v_add_f64 v[32:33], v[4:5], v[18:19]
	ds_read_b128 v[4:7], v50 offset:352
	ds_read_b128 v[10:13], v52 offset:11264
	;; [unrolled: 1-line block ×3, first 2 shown]
	s_waitcnt lgkmcnt(1)
	v_mul_f64 v[8:9], v[6:7], v[12:13]
	v_mul_f64 v[14:15], v[4:5], v[12:13]
	v_fma_f64 v[8:9], v[4:5], v[10:11], -v[8:9]
	v_fma_f64 v[14:15], v[6:7], v[10:11], v[14:15]
	v_add_f64 v[0:1], v[0:1], v[8:9]
	v_add_f64 v[8:9], v[14:15], v[24:25]
	s_waitcnt lgkmcnt(0)
	v_mul_f64 v[14:15], v[6:7], v[18:19]
	v_fma_f64 v[14:15], v[4:5], v[16:17], -v[14:15]
	v_mul_f64 v[4:5], v[4:5], v[18:19]
	v_add_f64 v[34:35], v[56:57], v[14:15]
	v_fma_f64 v[4:5], v[6:7], v[16:17], v[4:5]
	v_add_f64 v[36:37], v[4:5], v[58:59]
	ds_read_b128 v[4:7], v50 offset:8544
	s_waitcnt lgkmcnt(0)
	v_mul_f64 v[14:15], v[6:7], v[12:13]
	v_mul_f64 v[12:13], v[4:5], v[12:13]
	v_fma_f64 v[14:15], v[4:5], v[10:11], -v[14:15]
	v_fma_f64 v[10:11], v[6:7], v[10:11], v[12:13]
	v_add_f64 v[12:13], v[20:21], v[14:15]
	v_add_f64 v[14:15], v[10:11], v[22:23]
	v_mul_f64 v[10:11], v[6:7], v[18:19]
	v_fma_f64 v[10:11], v[4:5], v[16:17], -v[10:11]
	v_mul_f64 v[4:5], v[4:5], v[18:19]
	v_fma_f64 v[4:5], v[6:7], v[16:17], v[4:5]
	v_add_f64 v[16:17], v[30:31], v[10:11]
	v_add_f64 v[18:19], v[4:5], v[32:33]
	ds_read_b128 v[20:23], v50 offset:368
	ds_read_b128 v[4:7], v52 offset:11776
	s_waitcnt lgkmcnt(0)
	v_mul_f64 v[10:11], v[22:23], v[6:7]
	v_mul_f64 v[24:25], v[20:21], v[6:7]
	v_fma_f64 v[10:11], v[20:21], v[4:5], -v[10:11]
	v_fma_f64 v[30:31], v[22:23], v[4:5], v[24:25]
	v_add_f64 v[24:25], v[0:1], v[10:11]
	v_add_f64 v[32:33], v[30:31], v[8:9]
	ds_read_b128 v[8:11], v52 offset:12032
	s_waitcnt lgkmcnt(0)
	v_mul_f64 v[0:1], v[22:23], v[10:11]
	v_fma_f64 v[0:1], v[20:21], v[8:9], -v[0:1]
	v_mul_f64 v[20:21], v[20:21], v[10:11]
	v_fma_f64 v[22:23], v[22:23], v[8:9], v[20:21]
	v_add_f64 v[20:21], v[34:35], v[0:1]
	v_add_f64 v[22:23], v[22:23], v[36:37]
	ds_read_b128 v[36:39], v50 offset:8560
	s_waitcnt lgkmcnt(0)
	v_mul_f64 v[0:1], v[38:39], v[6:7]
	v_mul_f64 v[6:7], v[36:37], v[6:7]
	v_fma_f64 v[0:1], v[36:37], v[4:5], -v[0:1]
	v_fma_f64 v[4:5], v[38:39], v[4:5], v[6:7]
	v_add_f64 v[34:35], v[12:13], v[0:1]
	v_add_f64 v[14:15], v[4:5], v[14:15]
	v_mul_f64 v[4:5], v[36:37], v[10:11]
	v_mul_f64 v[0:1], v[38:39], v[10:11]
	v_fma_f64 v[4:5], v[38:39], v[8:9], v[4:5]
	v_fma_f64 v[0:1], v[36:37], v[8:9], -v[0:1]
	ds_read_b128 v[6:9], v50 offset:384
	ds_read_b128 v[10:13], v52 offset:12288
	v_add_f64 v[38:39], v[4:5], v[18:19]
	s_waitcnt lgkmcnt(0)
	v_mul_f64 v[4:5], v[6:7], v[12:13]
	v_add_f64 v[36:37], v[16:17], v[0:1]
	v_mul_f64 v[0:1], v[8:9], v[12:13]
	v_fma_f64 v[4:5], v[8:9], v[10:11], v[4:5]
	v_fma_f64 v[0:1], v[6:7], v[10:11], -v[0:1]
	v_add_f64 v[4:5], v[4:5], v[32:33]
	ds_read_b128 v[30:33], v52 offset:12544
	v_add_f64 v[0:1], v[24:25], v[0:1]
	s_waitcnt lgkmcnt(0)
	v_mul_f64 v[16:17], v[8:9], v[32:33]
	v_fma_f64 v[16:17], v[6:7], v[30:31], -v[16:17]
	v_mul_f64 v[6:7], v[6:7], v[32:33]
	v_add_f64 v[40:41], v[20:21], v[16:17]
	v_fma_f64 v[6:7], v[8:9], v[30:31], v[6:7]
	v_add_f64 v[46:47], v[6:7], v[22:23]
	ds_read_b128 v[6:9], v50 offset:8576
	s_waitcnt lgkmcnt(0)
	v_mul_f64 v[16:17], v[8:9], v[12:13]
	v_mul_f64 v[12:13], v[6:7], v[12:13]
	v_fma_f64 v[16:17], v[6:7], v[10:11], -v[16:17]
	v_fma_f64 v[10:11], v[8:9], v[10:11], v[12:13]
	v_add_f64 v[16:17], v[34:35], v[16:17]
	v_add_f64 v[18:19], v[10:11], v[14:15]
	v_mul_f64 v[10:11], v[8:9], v[32:33]
	v_fma_f64 v[10:11], v[6:7], v[30:31], -v[10:11]
	v_mul_f64 v[6:7], v[6:7], v[32:33]
	v_add_f64 v[12:13], v[36:37], v[10:11]
	v_fma_f64 v[6:7], v[8:9], v[30:31], v[6:7]
	ds_read_b128 v[20:23], v50 offset:400
	ds_read_b128 v[8:11], v52 offset:12800
	s_waitcnt lgkmcnt(0)
	v_mul_f64 v[24:25], v[20:21], v[10:11]
	v_add_f64 v[14:15], v[6:7], v[38:39]
	v_mul_f64 v[6:7], v[22:23], v[10:11]
	ds_read_b128 v[36:39], v50 offset:8592
	v_fma_f64 v[30:31], v[22:23], v[8:9], v[24:25]
	v_fma_f64 v[6:7], v[20:21], v[8:9], -v[6:7]
	v_add_f64 v[32:33], v[30:31], v[4:5]
	v_add_f64 v[24:25], v[0:1], v[6:7]
	ds_read_b128 v[4:7], v52 offset:13056
	s_waitcnt lgkmcnt(0)
	v_mul_f64 v[0:1], v[22:23], v[6:7]
	v_fma_f64 v[0:1], v[20:21], v[4:5], -v[0:1]
	v_mul_f64 v[20:21], v[20:21], v[6:7]
	v_fma_f64 v[22:23], v[22:23], v[4:5], v[20:21]
	v_add_f64 v[20:21], v[40:41], v[0:1]
	v_mul_f64 v[0:1], v[38:39], v[10:11]
	v_mul_f64 v[10:11], v[36:37], v[10:11]
	v_add_f64 v[22:23], v[22:23], v[46:47]
	v_fma_f64 v[0:1], v[36:37], v[8:9], -v[0:1]
	v_fma_f64 v[8:9], v[38:39], v[8:9], v[10:11]
	v_add_f64 v[30:31], v[16:17], v[0:1]
	v_mul_f64 v[0:1], v[38:39], v[6:7]
	v_mul_f64 v[6:7], v[36:37], v[6:7]
	v_add_f64 v[18:19], v[8:9], v[18:19]
	v_fma_f64 v[0:1], v[36:37], v[4:5], -v[0:1]
	v_fma_f64 v[4:5], v[38:39], v[4:5], v[6:7]
	v_add_f64 v[34:35], v[12:13], v[0:1]
	ds_read_b128 v[6:9], v50 offset:416
	ds_read_b128 v[10:13], v52 offset:13312
	v_add_f64 v[36:37], v[4:5], v[14:15]
	ds_read_b128 v[14:17], v52 offset:13568
	s_waitcnt lgkmcnt(1)
	v_mul_f64 v[0:1], v[8:9], v[12:13]
	v_mul_f64 v[4:5], v[6:7], v[12:13]
	v_fma_f64 v[0:1], v[6:7], v[10:11], -v[0:1]
	v_fma_f64 v[4:5], v[8:9], v[10:11], v[4:5]
	v_add_f64 v[0:1], v[24:25], v[0:1]
	s_waitcnt lgkmcnt(0)
	v_mul_f64 v[24:25], v[8:9], v[16:17]
	v_add_f64 v[4:5], v[4:5], v[32:33]
	v_fma_f64 v[24:25], v[6:7], v[14:15], -v[24:25]
	v_mul_f64 v[6:7], v[6:7], v[16:17]
	v_add_f64 v[38:39], v[20:21], v[24:25]
	v_fma_f64 v[6:7], v[8:9], v[14:15], v[6:7]
	v_add_f64 v[40:41], v[6:7], v[22:23]
	ds_read_b128 v[6:9], v50 offset:8608
	s_waitcnt lgkmcnt(0)
	v_mul_f64 v[20:21], v[8:9], v[12:13]
	v_mul_f64 v[12:13], v[6:7], v[12:13]
	v_fma_f64 v[20:21], v[6:7], v[10:11], -v[20:21]
	v_fma_f64 v[10:11], v[8:9], v[10:11], v[12:13]
	v_add_f64 v[20:21], v[30:31], v[20:21]
	v_add_f64 v[22:23], v[10:11], v[18:19]
	v_mul_f64 v[10:11], v[8:9], v[16:17]
	v_fma_f64 v[10:11], v[6:7], v[14:15], -v[10:11]
	v_mul_f64 v[6:7], v[6:7], v[16:17]
	v_add_f64 v[16:17], v[34:35], v[10:11]
	v_fma_f64 v[6:7], v[8:9], v[14:15], v[6:7]
	ds_read_b128 v[12:15], v50 offset:432
	ds_read_b128 v[8:11], v52 offset:13824
	s_waitcnt lgkmcnt(0)
	v_mul_f64 v[24:25], v[12:13], v[10:11]
	v_add_f64 v[18:19], v[6:7], v[36:37]
	v_mul_f64 v[6:7], v[14:15], v[10:11]
	v_fma_f64 v[30:31], v[14:15], v[8:9], v[24:25]
	v_fma_f64 v[6:7], v[12:13], v[8:9], -v[6:7]
	v_add_f64 v[32:33], v[30:31], v[4:5]
	v_add_f64 v[24:25], v[0:1], v[6:7]
	ds_read_b128 v[4:7], v52 offset:14080
	s_waitcnt lgkmcnt(0)
	v_mul_f64 v[0:1], v[14:15], v[6:7]
	v_fma_f64 v[0:1], v[12:13], v[4:5], -v[0:1]
	v_mul_f64 v[12:13], v[12:13], v[6:7]
	v_add_f64 v[56:57], v[38:39], v[0:1]
	v_fma_f64 v[12:13], v[14:15], v[4:5], v[12:13]
	v_add_f64 v[58:59], v[12:13], v[40:41]
	ds_read_b128 v[12:15], v50 offset:8624
	s_waitcnt lgkmcnt(0)
	v_mul_f64 v[0:1], v[14:15], v[10:11]
	v_mul_f64 v[10:11], v[12:13], v[10:11]
	v_fma_f64 v[0:1], v[12:13], v[8:9], -v[0:1]
	v_fma_f64 v[8:9], v[14:15], v[8:9], v[10:11]
	v_add_f64 v[20:21], v[20:21], v[0:1]
	v_mul_f64 v[0:1], v[14:15], v[6:7]
	v_mul_f64 v[6:7], v[12:13], v[6:7]
	v_add_f64 v[22:23], v[8:9], v[22:23]
	v_fma_f64 v[0:1], v[12:13], v[4:5], -v[0:1]
	v_fma_f64 v[4:5], v[14:15], v[4:5], v[6:7]
	ds_read_b128 v[6:9], v50 offset:448
	ds_read_b128 v[10:13], v52 offset:14336
	v_add_f64 v[30:31], v[16:17], v[0:1]
	s_waitcnt lgkmcnt(0)
	v_mul_f64 v[0:1], v[8:9], v[12:13]
	ds_read_b128 v[14:17], v52 offset:14592
	v_add_f64 v[18:19], v[4:5], v[18:19]
	v_mul_f64 v[4:5], v[6:7], v[12:13]
	v_fma_f64 v[0:1], v[6:7], v[10:11], -v[0:1]
	v_fma_f64 v[4:5], v[8:9], v[10:11], v[4:5]
	v_add_f64 v[0:1], v[24:25], v[0:1]
	s_waitcnt lgkmcnt(0)
	v_mul_f64 v[24:25], v[8:9], v[16:17]
	v_add_f64 v[4:5], v[4:5], v[32:33]
	v_fma_f64 v[24:25], v[6:7], v[14:15], -v[24:25]
	v_mul_f64 v[6:7], v[6:7], v[16:17]
	v_add_f64 v[34:35], v[56:57], v[24:25]
	v_fma_f64 v[6:7], v[8:9], v[14:15], v[6:7]
	v_add_f64 v[36:37], v[6:7], v[58:59]
	ds_read_b128 v[6:9], v50 offset:8640
	s_waitcnt lgkmcnt(0)
	v_mul_f64 v[24:25], v[8:9], v[12:13]
	v_mul_f64 v[12:13], v[6:7], v[12:13]
	v_fma_f64 v[24:25], v[6:7], v[10:11], -v[24:25]
	v_fma_f64 v[10:11], v[8:9], v[10:11], v[12:13]
	v_add_f64 v[20:21], v[20:21], v[24:25]
	v_add_f64 v[22:23], v[10:11], v[22:23]
	v_mul_f64 v[10:11], v[8:9], v[16:17]
	v_fma_f64 v[10:11], v[6:7], v[14:15], -v[10:11]
	v_mul_f64 v[6:7], v[6:7], v[16:17]
	v_add_f64 v[16:17], v[30:31], v[10:11]
	v_fma_f64 v[6:7], v[8:9], v[14:15], v[6:7]
	ds_read_b128 v[12:15], v50 offset:464
	ds_read_b128 v[8:11], v52 offset:14848
	s_waitcnt lgkmcnt(0)
	v_mul_f64 v[24:25], v[12:13], v[10:11]
	v_add_f64 v[18:19], v[6:7], v[18:19]
	v_mul_f64 v[6:7], v[14:15], v[10:11]
	v_fma_f64 v[30:31], v[14:15], v[8:9], v[24:25]
	v_fma_f64 v[6:7], v[12:13], v[8:9], -v[6:7]
	v_add_f64 v[32:33], v[30:31], v[4:5]
	v_add_f64 v[24:25], v[0:1], v[6:7]
	ds_read_b128 v[4:7], v52 offset:15104
	s_waitcnt lgkmcnt(0)
	v_mul_f64 v[0:1], v[14:15], v[6:7]
	v_fma_f64 v[0:1], v[12:13], v[4:5], -v[0:1]
	v_mul_f64 v[12:13], v[12:13], v[6:7]
	v_add_f64 v[56:57], v[34:35], v[0:1]
	v_fma_f64 v[12:13], v[14:15], v[4:5], v[12:13]
	v_add_f64 v[58:59], v[12:13], v[36:37]
	ds_read_b128 v[12:15], v50 offset:8656
	s_waitcnt lgkmcnt(0)
	v_mul_f64 v[0:1], v[14:15], v[10:11]
	v_mul_f64 v[10:11], v[12:13], v[10:11]
	v_fma_f64 v[0:1], v[12:13], v[8:9], -v[0:1]
	v_fma_f64 v[8:9], v[14:15], v[8:9], v[10:11]
	v_add_f64 v[20:21], v[20:21], v[0:1]
	v_mul_f64 v[0:1], v[14:15], v[6:7]
	v_mul_f64 v[6:7], v[12:13], v[6:7]
	v_add_f64 v[22:23], v[8:9], v[22:23]
	v_fma_f64 v[0:1], v[12:13], v[4:5], -v[0:1]
	v_fma_f64 v[4:5], v[14:15], v[4:5], v[6:7]
	ds_read_b128 v[6:9], v50 offset:480
	ds_read_b128 v[10:13], v52 offset:15360
	v_add_f64 v[30:31], v[16:17], v[0:1]
	s_waitcnt lgkmcnt(0)
	v_mul_f64 v[0:1], v[8:9], v[12:13]
	ds_read_b128 v[14:17], v52 offset:15616
	v_add_f64 v[18:19], v[4:5], v[18:19]
	v_mul_f64 v[4:5], v[6:7], v[12:13]
	v_fma_f64 v[0:1], v[6:7], v[10:11], -v[0:1]
	v_fma_f64 v[4:5], v[8:9], v[10:11], v[4:5]
	v_add_f64 v[0:1], v[24:25], v[0:1]
	s_waitcnt lgkmcnt(0)
	v_mul_f64 v[24:25], v[8:9], v[16:17]
	v_add_f64 v[4:5], v[4:5], v[32:33]
	v_fma_f64 v[24:25], v[6:7], v[14:15], -v[24:25]
	v_mul_f64 v[6:7], v[6:7], v[16:17]
	v_add_f64 v[24:25], v[56:57], v[24:25]
	v_fma_f64 v[6:7], v[8:9], v[14:15], v[6:7]
	v_add_f64 v[32:33], v[6:7], v[58:59]
	ds_read_b128 v[6:9], v50 offset:8672
	s_waitcnt lgkmcnt(0)
	v_mul_f64 v[34:35], v[8:9], v[12:13]
	v_mul_f64 v[12:13], v[6:7], v[12:13]
	v_fma_f64 v[34:35], v[6:7], v[10:11], -v[34:35]
	v_fma_f64 v[10:11], v[8:9], v[10:11], v[12:13]
	v_add_f64 v[60:61], v[20:21], v[34:35]
	v_add_f64 v[62:63], v[10:11], v[22:23]
	v_mul_f64 v[10:11], v[8:9], v[16:17]
	v_fma_f64 v[10:11], v[6:7], v[14:15], -v[10:11]
	v_mul_f64 v[6:7], v[6:7], v[16:17]
	v_add_f64 v[20:21], v[30:31], v[10:11]
	v_fma_f64 v[6:7], v[8:9], v[14:15], v[6:7]
	ds_read_b128 v[12:15], v50 offset:496
	ds_read_b128 v[8:11], v52 offset:15872
	s_waitcnt lgkmcnt(0)
	v_mul_f64 v[16:17], v[12:13], v[10:11]
	v_add_f64 v[22:23], v[6:7], v[18:19]
	v_mul_f64 v[6:7], v[14:15], v[10:11]
	v_fma_f64 v[16:17], v[14:15], v[8:9], v[16:17]
	v_fma_f64 v[6:7], v[12:13], v[8:9], -v[6:7]
	v_add_f64 v[58:59], v[16:17], v[4:5]
	v_add_f64 v[56:57], v[0:1], v[6:7]
	ds_read_b128 v[4:7], v52 offset:16128
	s_waitcnt lgkmcnt(0)
	v_mul_f64 v[0:1], v[14:15], v[6:7]
	v_fma_f64 v[0:1], v[12:13], v[4:5], -v[0:1]
	v_mul_f64 v[12:13], v[12:13], v[6:7]
	v_add_f64 v[16:17], v[24:25], v[0:1]
	v_fma_f64 v[12:13], v[14:15], v[4:5], v[12:13]
	v_add_f64 v[18:19], v[12:13], v[32:33]
	ds_read_b128 v[12:15], v50 offset:8688
	s_waitcnt lgkmcnt(0)
	s_barrier
	v_mul_f64 v[0:1], v[14:15], v[10:11]
	v_mul_f64 v[10:11], v[12:13], v[10:11]
	v_fma_f64 v[0:1], v[12:13], v[8:9], -v[0:1]
	v_fma_f64 v[8:9], v[14:15], v[8:9], v[10:11]
	v_add_f64 v[60:61], v[60:61], v[0:1]
	v_mul_f64 v[0:1], v[14:15], v[6:7]
	v_mul_f64 v[6:7], v[12:13], v[6:7]
	v_add_f64 v[62:63], v[8:9], v[62:63]
	v_fma_f64 v[0:1], v[12:13], v[4:5], -v[0:1]
	v_fma_f64 v[4:5], v[14:15], v[4:5], v[6:7]
	v_add_f64 v[14:15], v[20:21], v[0:1]
	v_add_f64 v[12:13], v[4:5], v[22:23]
	v_mov_b32_e32 v0, s43
	v_addc_co_u32_e64 v55, s[10:11], v55, v0, s[10:11]
	v_add_co_u32_e64 v42, s[10:11], s40, v42
	v_mov_b32_e32 v0, s41
	v_addc_co_u32_e64 v43, s[10:11], v43, v0, s[10:11]
	v_add_co_u32_e64 v44, s[10:11], s40, v44
	v_addc_co_u32_e64 v45, s[10:11], v45, v0, s[10:11]
	s_cbranch_scc1 .LBB126_56
.LBB126_7:                              ;   Parent Loop BB126_4 Depth=1
                                        ; =>  This Inner Loop Header: Depth=2
	v_mov_b32_e32 v0, s39
	v_add_co_u32_e64 v6, s[10:11], s38, v26
	v_addc_co_u32_e64 v7, s[10:11], v27, v0, s[10:11]
	buffer_load_dword v0, off, s[72:75], 0 offset:8 ; 4-byte Folded Reload
	buffer_load_dword v1, off, s[72:75], 0 offset:12 ; 4-byte Folded Reload
	buffer_load_dword v4, off, s[72:75], 0  ; 4-byte Folded Reload
	buffer_load_dword v5, off, s[72:75], 0 offset:4 ; 4-byte Folded Reload
	s_waitcnt vmcnt(2)
	v_cmp_eq_u64_e64 s[10:11], s[38:39], v[0:1]
	v_lshlrev_b64 v[0:1], 4, v[28:29]
	s_and_b64 s[60:61], s[34:35], s[10:11]
	v_add_co_u32_e64 v0, s[12:13], v42, v0
	v_addc_co_u32_e64 v1, s[12:13], v43, v1, s[12:13]
	s_waitcnt vmcnt(0)
	v_cmp_lt_i64_e64 s[10:11], v[6:7], v[4:5]
	v_cmp_le_i64_e64 s[12:13], s[50:51], v[6:7]
	s_or_b64 s[14:15], s[16:17], s[10:11]
	s_or_b64 s[14:15], s[12:13], s[14:15]
	s_nor_b64 s[14:15], s[14:15], s[60:61]
	s_and_saveexec_b64 s[18:19], s[14:15]
	s_xor_b64 s[14:15], exec, s[18:19]
	s_cbranch_execz .LBB126_9
; %bb.8:                                ;   in Loop: Header=BB126_7 Depth=2
	global_load_dwordx4 v[8:11], v[0:1], off offset:-256
	s_waitcnt vmcnt(0)
	ds_write2_b64 v51, v[8:9], v[10:11] offset1:1
.LBB126_9:                              ;   in Loop: Header=BB126_7 Depth=2
	s_or_saveexec_b64 s[14:15], s[14:15]
	s_xor_b64 s[58:59], s[60:61], -1
	s_xor_b64 exec, exec, s[14:15]
	s_cbranch_execz .LBB126_15
; %bb.10:                               ;   in Loop: Header=BB126_7 Depth=2
	s_and_saveexec_b64 s[18:19], s[58:59]
	s_xor_b64 s[18:19], exec, s[18:19]
; %bb.11:                               ;   in Loop: Header=BB126_7 Depth=2
	v_mov_b32_e32 v8, v2
	v_mov_b32_e32 v9, v2
	;; [unrolled: 1-line block ×4, first 2 shown]
	ds_write_b128 v51, v[8:11]
; %bb.12:                               ;   in Loop: Header=BB126_7 Depth=2
	s_andn2_saveexec_b64 s[18:19], s[18:19]
; %bb.13:                               ;   in Loop: Header=BB126_7 Depth=2
	v_mov_b32_e32 v4, v2
	v_mov_b32_e32 v5, v2
	ds_write_b128 v51, v[2:5]
; %bb.14:                               ;   in Loop: Header=BB126_7 Depth=2
	s_or_b64 exec, exec, s[18:19]
.LBB126_15:                             ;   in Loop: Header=BB126_7 Depth=2
	s_or_b64 exec, exec, s[14:15]
	buffer_load_dword v4, off, s[72:75], 0 offset:48 ; 4-byte Folded Reload
	buffer_load_dword v5, off, s[72:75], 0 offset:52 ; 4-byte Folded Reload
	buffer_load_dword v8, off, s[72:75], 0  ; 4-byte Folded Reload
	buffer_load_dword v9, off, s[72:75], 0 offset:4 ; 4-byte Folded Reload
	s_waitcnt vmcnt(2)
	v_cmp_eq_u64_e64 s[14:15], s[38:39], v[4:5]
	v_add_co_u32_e64 v4, s[18:19], 16, v6
	v_addc_co_u32_e64 v5, s[18:19], 0, v7, s[18:19]
	s_waitcnt vmcnt(0)
	v_cmp_lt_i64_e64 s[18:19], v[4:5], v[8:9]
	s_and_b64 s[20:21], s[34:35], s[14:15]
	v_cmp_le_i64_e64 s[14:15], s[50:51], v[4:5]
	s_or_b64 s[18:19], s[16:17], s[18:19]
	s_or_b64 s[18:19], s[14:15], s[18:19]
	s_nor_b64 s[18:19], s[18:19], s[20:21]
	s_and_saveexec_b64 s[62:63], s[18:19]
	s_xor_b64 s[62:63], exec, s[62:63]
	s_cbranch_execz .LBB126_17
; %bb.16:                               ;   in Loop: Header=BB126_7 Depth=2
	v_lshlrev_b64 v[4:5], 4, v[28:29]
	v_add_co_u32_e64 v4, s[18:19], v44, v4
	v_addc_co_u32_e64 v5, s[18:19], v45, v5, s[18:19]
	global_load_dwordx4 v[8:11], v[4:5], off
	v_add_u32_e32 v4, 0x100, v51
	s_waitcnt vmcnt(0)
	ds_write2_b64 v4, v[8:9], v[10:11] offset1:1
.LBB126_17:                             ;   in Loop: Header=BB126_7 Depth=2
	s_andn2_saveexec_b64 s[18:19], s[62:63]
	s_cbranch_execz .LBB126_23
; %bb.18:                               ;   in Loop: Header=BB126_7 Depth=2
	s_xor_b64 s[20:21], s[20:21], -1
	s_and_saveexec_b64 s[62:63], s[20:21]
	s_xor_b64 s[20:21], exec, s[62:63]
; %bb.19:                               ;   in Loop: Header=BB126_7 Depth=2
	v_mov_b32_e32 v8, v2
	v_mov_b32_e32 v9, v2
	;; [unrolled: 1-line block ×4, first 2 shown]
	ds_write_b128 v51, v[8:11] offset:256
; %bb.20:                               ;   in Loop: Header=BB126_7 Depth=2
	s_andn2_saveexec_b64 s[20:21], s[20:21]
; %bb.21:                               ;   in Loop: Header=BB126_7 Depth=2
	v_mov_b32_e32 v4, v2
	v_mov_b32_e32 v5, v2
	ds_write_b128 v51, v[2:5] offset:256
; %bb.22:                               ;   in Loop: Header=BB126_7 Depth=2
	s_or_b64 exec, exec, s[20:21]
.LBB126_23:                             ;   in Loop: Header=BB126_7 Depth=2
	s_or_b64 exec, exec, s[18:19]
	buffer_load_dword v4, off, s[72:75], 0 offset:40 ; 4-byte Folded Reload
	buffer_load_dword v5, off, s[72:75], 0 offset:44 ; 4-byte Folded Reload
	s_waitcnt vmcnt(0)
	v_cmp_eq_u64_e64 s[18:19], s[38:39], v[4:5]
	buffer_load_dword v4, off, s[72:75], 0 offset:32 ; 4-byte Folded Reload
	buffer_load_dword v5, off, s[72:75], 0 offset:36 ; 4-byte Folded Reload
	s_and_b64 s[18:19], s[34:35], s[18:19]
	s_waitcnt vmcnt(0)
	v_cmp_lt_i64_e64 s[20:21], v[6:7], v[4:5]
	s_or_b64 s[20:21], s[8:9], s[20:21]
	s_or_b64 s[20:21], s[20:21], s[18:19]
	s_nor_b64 s[12:13], s[12:13], s[20:21]
	s_and_saveexec_b64 s[20:21], s[12:13]
	s_xor_b64 s[12:13], exec, s[20:21]
	s_cbranch_execz .LBB126_25
; %bb.24:                               ;   in Loop: Header=BB126_7 Depth=2
	global_load_dwordx4 v[4:7], v[0:1], off
	v_add_u32_e32 v0, 0x2000, v51
	s_waitcnt vmcnt(0)
	ds_write2_b64 v0, v[4:5], v[6:7] offset1:1
.LBB126_25:                             ;   in Loop: Header=BB126_7 Depth=2
	s_andn2_saveexec_b64 s[12:13], s[12:13]
	s_cbranch_execz .LBB126_31
; %bb.26:                               ;   in Loop: Header=BB126_7 Depth=2
	s_xor_b64 s[18:19], s[18:19], -1
	s_and_saveexec_b64 s[20:21], s[18:19]
	s_xor_b64 s[18:19], exec, s[20:21]
; %bb.27:                               ;   in Loop: Header=BB126_7 Depth=2
	v_mov_b32_e32 v4, v2
	v_mov_b32_e32 v5, v2
	v_mov_b32_e32 v6, v2
	v_mov_b32_e32 v7, v2
	ds_write_b128 v51, v[4:7] offset:8192
; %bb.28:                               ;   in Loop: Header=BB126_7 Depth=2
	s_andn2_saveexec_b64 s[18:19], s[18:19]
; %bb.29:                               ;   in Loop: Header=BB126_7 Depth=2
	v_mov_b32_e32 v4, v2
	v_mov_b32_e32 v5, v2
	ds_write_b128 v51, v[2:5] offset:8192
; %bb.30:                               ;   in Loop: Header=BB126_7 Depth=2
	s_or_b64 exec, exec, s[18:19]
.LBB126_31:                             ;   in Loop: Header=BB126_7 Depth=2
	s_or_b64 exec, exec, s[12:13]
	s_or_b64 s[10:11], s[8:9], s[10:11]
	s_or_b64 s[10:11], s[14:15], s[10:11]
	s_nor_b64 s[10:11], s[10:11], s[60:61]
	s_and_saveexec_b64 s[12:13], s[10:11]
	s_xor_b64 s[12:13], exec, s[12:13]
	s_cbranch_execz .LBB126_33
; %bb.32:                               ;   in Loop: Header=BB126_7 Depth=2
	v_lshlrev_b64 v[0:1], 4, v[28:29]
	v_add_co_u32_e64 v0, s[10:11], v44, v0
	v_addc_co_u32_e64 v1, s[10:11], v45, v1, s[10:11]
	global_load_dwordx4 v[4:7], v[0:1], off offset:256
	v_add_u32_e32 v0, 0x2100, v51
	s_waitcnt vmcnt(0)
	ds_write2_b64 v0, v[4:5], v[6:7] offset1:1
.LBB126_33:                             ;   in Loop: Header=BB126_7 Depth=2
	s_andn2_saveexec_b64 s[10:11], s[12:13]
	s_cbranch_execz .LBB126_39
; %bb.34:                               ;   in Loop: Header=BB126_7 Depth=2
	s_and_saveexec_b64 s[12:13], s[58:59]
	s_xor_b64 s[12:13], exec, s[12:13]
; %bb.35:                               ;   in Loop: Header=BB126_7 Depth=2
	v_mov_b32_e32 v4, v2
	v_mov_b32_e32 v5, v2
	;; [unrolled: 1-line block ×4, first 2 shown]
	ds_write_b128 v51, v[4:7] offset:8448
; %bb.36:                               ;   in Loop: Header=BB126_7 Depth=2
	s_andn2_saveexec_b64 s[12:13], s[12:13]
; %bb.37:                               ;   in Loop: Header=BB126_7 Depth=2
	v_mov_b32_e32 v4, v2
	v_mov_b32_e32 v5, v2
	ds_write_b128 v51, v[2:5] offset:8448
; %bb.38:                               ;   in Loop: Header=BB126_7 Depth=2
	s_or_b64 exec, exec, s[12:13]
.LBB126_39:                             ;   in Loop: Header=BB126_7 Depth=2
	s_or_b64 exec, exec, s[10:11]
	buffer_load_dword v4, off, s[72:75], 0 offset:16 ; 4-byte Folded Reload
	buffer_load_dword v5, off, s[72:75], 0 offset:20 ; 4-byte Folded Reload
	v_mov_b32_e32 v1, s39
	v_add_co_u32_e64 v0, s[10:11], s38, v28
	v_addc_co_u32_e64 v1, s[10:11], v29, v1, s[10:11]
	v_cmp_le_i64_e64 s[10:11], s[50:51], v[0:1]
	s_waitcnt vmcnt(1)
	v_add_co_u32_e64 v4, s[12:13], v4, v54
	s_waitcnt vmcnt(0)
	v_addc_co_u32_e64 v5, s[12:13], v5, v55, s[12:13]
	s_nor_b64 s[12:13], s[10:11], vcc
	s_and_saveexec_b64 s[14:15], s[12:13]
	s_xor_b64 s[12:13], exec, s[14:15]
	s_cbranch_execz .LBB126_41
; %bb.40:                               ;   in Loop: Header=BB126_7 Depth=2
	global_load_dwordx4 v[6:9], v[4:5], off offset:-256
	s_waitcnt vmcnt(0)
	ds_write2_b64 v53, v[6:7], v[8:9] offset1:1
.LBB126_41:                             ;   in Loop: Header=BB126_7 Depth=2
	s_andn2_saveexec_b64 s[12:13], s[12:13]
; %bb.42:                               ;   in Loop: Header=BB126_7 Depth=2
	v_mov_b32_e32 v6, v2
	v_mov_b32_e32 v7, v2
	;; [unrolled: 1-line block ×4, first 2 shown]
	ds_write_b128 v53, v[6:9]
; %bb.43:                               ;   in Loop: Header=BB126_7 Depth=2
	s_or_b64 exec, exec, s[12:13]
	s_nor_b64 s[10:11], s[10:11], s[0:1]
	s_and_saveexec_b64 s[12:13], s[10:11]
	s_xor_b64 s[10:11], exec, s[12:13]
	s_cbranch_execz .LBB126_45
; %bb.44:                               ;   in Loop: Header=BB126_7 Depth=2
	global_load_dwordx4 v[4:7], v[4:5], off
	v_add_u32_e32 v8, 0x100, v53
	s_waitcnt vmcnt(0)
	ds_write2_b64 v8, v[4:5], v[6:7] offset1:1
.LBB126_45:                             ;   in Loop: Header=BB126_7 Depth=2
	s_andn2_saveexec_b64 s[10:11], s[10:11]
; %bb.46:                               ;   in Loop: Header=BB126_7 Depth=2
	v_mov_b32_e32 v4, v2
	v_mov_b32_e32 v5, v2
	;; [unrolled: 1-line block ×4, first 2 shown]
	ds_write_b128 v53, v[4:7] offset:256
; %bb.47:                               ;   in Loop: Header=BB126_7 Depth=2
	s_or_b64 exec, exec, s[10:11]
	v_cmp_le_i64_e64 s[10:11], s[54:55], v[0:1]
	buffer_load_dword v0, off, s[72:75], 0 offset:24 ; 4-byte Folded Reload
	buffer_load_dword v1, off, s[72:75], 0 offset:28 ; 4-byte Folded Reload
	s_waitcnt vmcnt(1)
	v_add_co_u32_e64 v0, s[12:13], v0, v54
	s_waitcnt vmcnt(0)
	v_addc_co_u32_e64 v1, s[12:13], v1, v55, s[12:13]
	s_nor_b64 s[12:13], s[10:11], vcc
	s_and_saveexec_b64 s[14:15], s[12:13]
	s_xor_b64 s[12:13], exec, s[14:15]
	s_cbranch_execz .LBB126_49
; %bb.48:                               ;   in Loop: Header=BB126_7 Depth=2
	global_load_dwordx4 v[4:7], v[0:1], off
	v_add_u32_e32 v8, 0x2000, v53
	s_waitcnt vmcnt(0)
	ds_write2_b64 v8, v[4:5], v[6:7] offset1:1
.LBB126_49:                             ;   in Loop: Header=BB126_7 Depth=2
	s_andn2_saveexec_b64 s[12:13], s[12:13]
; %bb.50:                               ;   in Loop: Header=BB126_7 Depth=2
	v_mov_b32_e32 v4, v2
	v_mov_b32_e32 v5, v2
	;; [unrolled: 1-line block ×4, first 2 shown]
	ds_write_b128 v53, v[4:7] offset:8192
; %bb.51:                               ;   in Loop: Header=BB126_7 Depth=2
	s_or_b64 exec, exec, s[12:13]
	s_nor_b64 s[10:11], s[10:11], s[0:1]
	s_and_saveexec_b64 s[12:13], s[10:11]
	s_xor_b64 s[10:11], exec, s[12:13]
	s_cbranch_execz .LBB126_53
; %bb.52:                               ;   in Loop: Header=BB126_7 Depth=2
	global_load_dwordx4 v[4:7], v[0:1], off offset:256
	v_add_u32_e32 v0, 0x2100, v53
	s_waitcnt vmcnt(0)
	ds_write2_b64 v0, v[4:5], v[6:7] offset1:1
.LBB126_53:                             ;   in Loop: Header=BB126_7 Depth=2
	s_andn2_saveexec_b64 s[10:11], s[10:11]
	s_cbranch_execz .LBB126_6
; %bb.54:                               ;   in Loop: Header=BB126_7 Depth=2
	v_mov_b32_e32 v4, v2
	v_mov_b32_e32 v5, v2
	;; [unrolled: 1-line block ×4, first 2 shown]
	ds_write_b128 v53, v[4:7] offset:8448
	s_branch .LBB126_6
.LBB126_55:                             ;   in Loop: Header=BB126_4 Depth=1
	v_mov_b32_e32 v56, 0
	v_mov_b32_e32 v58, 0
	;; [unrolled: 1-line block ×16, first 2 shown]
.LBB126_56:                             ;   in Loop: Header=BB126_4 Depth=1
	buffer_load_dword v6, off, s[72:75], 0  ; 4-byte Folded Reload
	buffer_load_dword v7, off, s[72:75], 0 offset:4 ; 4-byte Folded Reload
	s_waitcnt vmcnt(1)
	v_mul_lo_u32 v4, s53, v6
	s_waitcnt vmcnt(0)
	v_mul_lo_u32 v5, s52, v7
	v_mad_u64_u32 v[0:1], s[8:9], s52, v6, 0
	v_cmp_gt_i32_e64 s[8:9], s50, v6
	v_add3_u32 v1, v1, v5, v4
	v_lshlrev_b64 v[0:1], 4, v[0:1]
	v_mov_b32_e32 v4, s66
	v_add_co_u32_e64 v0, s[10:11], s65, v0
	v_addc_co_u32_e64 v1, s[10:11], v4, v1, s[10:11]
	s_and_b64 s[10:11], s[2:3], s[8:9]
	s_and_saveexec_b64 s[12:13], s[10:11]
	s_cbranch_execz .LBB126_58
; %bb.57:                               ;   in Loop: Header=BB126_4 Depth=1
	buffer_load_dword v4, off, s[72:75], 0 offset:68 ; 4-byte Folded Reload
	buffer_load_dword v5, off, s[72:75], 0 offset:72 ; 4-byte Folded Reload
	v_mul_f64 v[10:11], s[46:47], v[58:59]
	v_mul_f64 v[20:21], s[44:45], v[58:59]
	v_fma_f64 v[10:11], s[44:45], v[56:57], -v[10:11]
	v_fma_f64 v[20:21], s[46:47], v[56:57], v[20:21]
	s_waitcnt vmcnt(1)
	v_add_co_u32_e64 v8, s[10:11], v0, v4
	s_waitcnt vmcnt(0)
	v_addc_co_u32_e64 v9, s[10:11], v1, v5, s[10:11]
	global_load_dwordx4 v[4:7], v[8:9], off
	s_waitcnt vmcnt(0)
	v_add_f64 v[4:5], v[4:5], v[10:11]
	v_add_f64 v[6:7], v[20:21], v[6:7]
	global_store_dwordx4 v[8:9], v[4:7], off
.LBB126_58:                             ;   in Loop: Header=BB126_4 Depth=1
	s_or_b64 exec, exec, s[12:13]
	s_and_b64 s[8:9], s[4:5], s[8:9]
	s_and_saveexec_b64 s[10:11], s[8:9]
	s_cbranch_execz .LBB126_60
; %bb.59:                               ;   in Loop: Header=BB126_4 Depth=1
	buffer_load_dword v4, off, s[72:75], 0 offset:60 ; 4-byte Folded Reload
	buffer_load_dword v5, off, s[72:75], 0 offset:64 ; 4-byte Folded Reload
	v_mul_f64 v[8:9], s[46:47], v[18:19]
	v_mul_f64 v[10:11], s[44:45], v[18:19]
	v_fma_f64 v[8:9], s[44:45], v[16:17], -v[8:9]
	v_fma_f64 v[10:11], s[46:47], v[16:17], v[10:11]
	s_waitcnt vmcnt(0)
	v_lshlrev_b64 v[4:5], 4, v[4:5]
	v_add_co_u32_e64 v0, s[8:9], v0, v4
	v_addc_co_u32_e64 v1, s[8:9], v1, v5, s[8:9]
	global_load_dwordx4 v[4:7], v[0:1], off
	s_waitcnt vmcnt(0)
	v_add_f64 v[4:5], v[4:5], v[8:9]
	v_add_f64 v[6:7], v[10:11], v[6:7]
	global_store_dwordx4 v[0:1], v[4:7], off
.LBB126_60:                             ;   in Loop: Header=BB126_4 Depth=1
	s_or_b64 exec, exec, s[10:11]
	buffer_load_dword v0, off, s[72:75], 0  ; 4-byte Folded Reload
	buffer_load_dword v1, off, s[72:75], 0 offset:4 ; 4-byte Folded Reload
	s_waitcnt vmcnt(1)
	v_add_u32_e32 v4, 16, v0
	v_ashrrev_i32_e32 v0, 31, v4
	v_mul_lo_u32 v5, s52, v0
	v_mul_lo_u32 v6, s53, v4
	s_waitcnt vmcnt(0)
	v_mad_u64_u32 v[0:1], s[8:9], s52, v4, 0
	v_cmp_gt_i32_e64 s[8:9], s50, v4
	v_mov_b32_e32 v4, s66
	v_add3_u32 v1, v1, v5, v6
	v_lshlrev_b64 v[0:1], 4, v[0:1]
	v_add_co_u32_e64 v0, s[10:11], s65, v0
	v_addc_co_u32_e64 v1, s[10:11], v4, v1, s[10:11]
	s_and_b64 s[10:11], s[2:3], s[8:9]
	s_and_saveexec_b64 s[12:13], s[10:11]
	s_cbranch_execz .LBB126_62
; %bb.61:                               ;   in Loop: Header=BB126_4 Depth=1
	buffer_load_dword v4, off, s[72:75], 0 offset:68 ; 4-byte Folded Reload
	buffer_load_dword v5, off, s[72:75], 0 offset:72 ; 4-byte Folded Reload
	v_mul_f64 v[10:11], s[46:47], v[62:63]
	v_mul_f64 v[16:17], s[44:45], v[62:63]
	v_fma_f64 v[10:11], s[44:45], v[60:61], -v[10:11]
	v_fma_f64 v[16:17], s[46:47], v[60:61], v[16:17]
	s_waitcnt vmcnt(1)
	v_add_co_u32_e64 v8, s[10:11], v0, v4
	s_waitcnt vmcnt(0)
	v_addc_co_u32_e64 v9, s[10:11], v1, v5, s[10:11]
	global_load_dwordx4 v[4:7], v[8:9], off
	s_waitcnt vmcnt(0)
	v_add_f64 v[4:5], v[4:5], v[10:11]
	v_add_f64 v[6:7], v[16:17], v[6:7]
	global_store_dwordx4 v[8:9], v[4:7], off
.LBB126_62:                             ;   in Loop: Header=BB126_4 Depth=1
	s_or_b64 exec, exec, s[12:13]
	s_and_b64 s[8:9], s[4:5], s[8:9]
	s_and_saveexec_b64 s[10:11], s[8:9]
	s_cbranch_execz .LBB126_3
; %bb.63:                               ;   in Loop: Header=BB126_4 Depth=1
	buffer_load_dword v4, off, s[72:75], 0 offset:60 ; 4-byte Folded Reload
	buffer_load_dword v5, off, s[72:75], 0 offset:64 ; 4-byte Folded Reload
	v_mul_f64 v[8:9], s[46:47], v[12:13]
	v_mul_f64 v[10:11], s[44:45], v[12:13]
	v_fma_f64 v[8:9], s[44:45], v[14:15], -v[8:9]
	v_fma_f64 v[10:11], s[46:47], v[14:15], v[10:11]
	s_waitcnt vmcnt(0)
	v_lshlrev_b64 v[4:5], 4, v[4:5]
	v_add_co_u32_e64 v0, s[8:9], v0, v4
	v_addc_co_u32_e64 v1, s[8:9], v1, v5, s[8:9]
	global_load_dwordx4 v[4:7], v[0:1], off
	s_waitcnt vmcnt(0)
	v_add_f64 v[4:5], v[4:5], v[8:9]
	v_add_f64 v[6:7], v[10:11], v[6:7]
	global_store_dwordx4 v[0:1], v[4:7], off
	s_branch .LBB126_3
.LBB126_64:
	s_endpgm
	.section	.rodata,"a",@progbits
	.p2align	6, 0x0
	.amdhsa_kernel _ZL30rocblas_trmm_outofplace_kernelI19rocblas_complex_numIdELi32ELi2ELb0ELb1ELb1ELb0EPKS1_S2_S1_Ev17rocblas_diagonal_iiT6_lPT7_lllS7_lllPT8_llli
		.amdhsa_group_segment_fixed_size 32768
		.amdhsa_private_segment_fixed_size 88
		.amdhsa_kernarg_size 392
		.amdhsa_user_sgpr_count 6
		.amdhsa_user_sgpr_private_segment_buffer 1
		.amdhsa_user_sgpr_dispatch_ptr 0
		.amdhsa_user_sgpr_queue_ptr 0
		.amdhsa_user_sgpr_kernarg_segment_ptr 1
		.amdhsa_user_sgpr_dispatch_id 0
		.amdhsa_user_sgpr_flat_scratch_init 0
		.amdhsa_user_sgpr_private_segment_size 0
		.amdhsa_uses_dynamic_stack 0
		.amdhsa_system_sgpr_private_segment_wavefront_offset 1
		.amdhsa_system_sgpr_workgroup_id_x 1
		.amdhsa_system_sgpr_workgroup_id_y 1
		.amdhsa_system_sgpr_workgroup_id_z 1
		.amdhsa_system_sgpr_workgroup_info 0
		.amdhsa_system_vgpr_workitem_id 1
		.amdhsa_next_free_vgpr 64
		.amdhsa_next_free_sgpr 76
		.amdhsa_reserve_vcc 1
		.amdhsa_reserve_flat_scratch 0
		.amdhsa_float_round_mode_32 0
		.amdhsa_float_round_mode_16_64 0
		.amdhsa_float_denorm_mode_32 3
		.amdhsa_float_denorm_mode_16_64 3
		.amdhsa_dx10_clamp 1
		.amdhsa_ieee_mode 1
		.amdhsa_fp16_overflow 0
		.amdhsa_exception_fp_ieee_invalid_op 0
		.amdhsa_exception_fp_denorm_src 0
		.amdhsa_exception_fp_ieee_div_zero 0
		.amdhsa_exception_fp_ieee_overflow 0
		.amdhsa_exception_fp_ieee_underflow 0
		.amdhsa_exception_fp_ieee_inexact 0
		.amdhsa_exception_int_div_zero 0
	.end_amdhsa_kernel
	.section	.text._ZL30rocblas_trmm_outofplace_kernelI19rocblas_complex_numIdELi32ELi2ELb0ELb1ELb1ELb0EPKS1_S2_S1_Ev17rocblas_diagonal_iiT6_lPT7_lllS7_lllPT8_llli,"axG",@progbits,_ZL30rocblas_trmm_outofplace_kernelI19rocblas_complex_numIdELi32ELi2ELb0ELb1ELb1ELb0EPKS1_S2_S1_Ev17rocblas_diagonal_iiT6_lPT7_lllS7_lllPT8_llli,comdat
.Lfunc_end126:
	.size	_ZL30rocblas_trmm_outofplace_kernelI19rocblas_complex_numIdELi32ELi2ELb0ELb1ELb1ELb0EPKS1_S2_S1_Ev17rocblas_diagonal_iiT6_lPT7_lllS7_lllPT8_llli, .Lfunc_end126-_ZL30rocblas_trmm_outofplace_kernelI19rocblas_complex_numIdELi32ELi2ELb0ELb1ELb1ELb0EPKS1_S2_S1_Ev17rocblas_diagonal_iiT6_lPT7_lllS7_lllPT8_llli
                                        ; -- End function
	.set _ZL30rocblas_trmm_outofplace_kernelI19rocblas_complex_numIdELi32ELi2ELb0ELb1ELb1ELb0EPKS1_S2_S1_Ev17rocblas_diagonal_iiT6_lPT7_lllS7_lllPT8_llli.num_vgpr, 64
	.set _ZL30rocblas_trmm_outofplace_kernelI19rocblas_complex_numIdELi32ELi2ELb0ELb1ELb1ELb0EPKS1_S2_S1_Ev17rocblas_diagonal_iiT6_lPT7_lllS7_lllPT8_llli.num_agpr, 0
	.set _ZL30rocblas_trmm_outofplace_kernelI19rocblas_complex_numIdELi32ELi2ELb0ELb1ELb1ELb0EPKS1_S2_S1_Ev17rocblas_diagonal_iiT6_lPT7_lllS7_lllPT8_llli.numbered_sgpr, 76
	.set _ZL30rocblas_trmm_outofplace_kernelI19rocblas_complex_numIdELi32ELi2ELb0ELb1ELb1ELb0EPKS1_S2_S1_Ev17rocblas_diagonal_iiT6_lPT7_lllS7_lllPT8_llli.num_named_barrier, 0
	.set _ZL30rocblas_trmm_outofplace_kernelI19rocblas_complex_numIdELi32ELi2ELb0ELb1ELb1ELb0EPKS1_S2_S1_Ev17rocblas_diagonal_iiT6_lPT7_lllS7_lllPT8_llli.private_seg_size, 88
	.set _ZL30rocblas_trmm_outofplace_kernelI19rocblas_complex_numIdELi32ELi2ELb0ELb1ELb1ELb0EPKS1_S2_S1_Ev17rocblas_diagonal_iiT6_lPT7_lllS7_lllPT8_llli.uses_vcc, 1
	.set _ZL30rocblas_trmm_outofplace_kernelI19rocblas_complex_numIdELi32ELi2ELb0ELb1ELb1ELb0EPKS1_S2_S1_Ev17rocblas_diagonal_iiT6_lPT7_lllS7_lllPT8_llli.uses_flat_scratch, 0
	.set _ZL30rocblas_trmm_outofplace_kernelI19rocblas_complex_numIdELi32ELi2ELb0ELb1ELb1ELb0EPKS1_S2_S1_Ev17rocblas_diagonal_iiT6_lPT7_lllS7_lllPT8_llli.has_dyn_sized_stack, 0
	.set _ZL30rocblas_trmm_outofplace_kernelI19rocblas_complex_numIdELi32ELi2ELb0ELb1ELb1ELb0EPKS1_S2_S1_Ev17rocblas_diagonal_iiT6_lPT7_lllS7_lllPT8_llli.has_recursion, 0
	.set _ZL30rocblas_trmm_outofplace_kernelI19rocblas_complex_numIdELi32ELi2ELb0ELb1ELb1ELb0EPKS1_S2_S1_Ev17rocblas_diagonal_iiT6_lPT7_lllS7_lllPT8_llli.has_indirect_call, 0
	.section	.AMDGPU.csdata,"",@progbits
; Kernel info:
; codeLenInByte = 10756
; TotalNumSgprs: 80
; NumVgprs: 64
; ScratchSize: 88
; MemoryBound: 0
; FloatMode: 240
; IeeeMode: 1
; LDSByteSize: 32768 bytes/workgroup (compile time only)
; SGPRBlocks: 9
; VGPRBlocks: 15
; NumSGPRsForWavesPerEU: 80
; NumVGPRsForWavesPerEU: 64
; Occupancy: 4
; WaveLimiterHint : 0
; COMPUTE_PGM_RSRC2:SCRATCH_EN: 1
; COMPUTE_PGM_RSRC2:USER_SGPR: 6
; COMPUTE_PGM_RSRC2:TRAP_HANDLER: 0
; COMPUTE_PGM_RSRC2:TGID_X_EN: 1
; COMPUTE_PGM_RSRC2:TGID_Y_EN: 1
; COMPUTE_PGM_RSRC2:TGID_Z_EN: 1
; COMPUTE_PGM_RSRC2:TIDIG_COMP_CNT: 1
	.section	.text._ZL30rocblas_trmm_outofplace_kernelI19rocblas_complex_numIdELi32ELi2ELb0ELb1ELb1ELb0ES1_KS1_S1_Ev17rocblas_diagonal_iiT6_lPT7_lllS6_lllPT8_llli,"axG",@progbits,_ZL30rocblas_trmm_outofplace_kernelI19rocblas_complex_numIdELi32ELi2ELb0ELb1ELb1ELb0ES1_KS1_S1_Ev17rocblas_diagonal_iiT6_lPT7_lllS6_lllPT8_llli,comdat
	.globl	_ZL30rocblas_trmm_outofplace_kernelI19rocblas_complex_numIdELi32ELi2ELb0ELb1ELb1ELb0ES1_KS1_S1_Ev17rocblas_diagonal_iiT6_lPT7_lllS6_lllPT8_llli ; -- Begin function _ZL30rocblas_trmm_outofplace_kernelI19rocblas_complex_numIdELi32ELi2ELb0ELb1ELb1ELb0ES1_KS1_S1_Ev17rocblas_diagonal_iiT6_lPT7_lllS6_lllPT8_llli
	.p2align	8
	.type	_ZL30rocblas_trmm_outofplace_kernelI19rocblas_complex_numIdELi32ELi2ELb0ELb1ELb1ELb0ES1_KS1_S1_Ev17rocblas_diagonal_iiT6_lPT7_lllS6_lllPT8_llli,@function
_ZL30rocblas_trmm_outofplace_kernelI19rocblas_complex_numIdELi32ELi2ELb0ELb1ELb1ELb0ES1_KS1_S1_Ev17rocblas_diagonal_iiT6_lPT7_lllS6_lllPT8_llli: ; @_ZL30rocblas_trmm_outofplace_kernelI19rocblas_complex_numIdELi32ELi2ELb0ELb1ELb1ELb0ES1_KS1_S1_Ev17rocblas_diagonal_iiT6_lPT7_lllS6_lllPT8_llli
; %bb.0:
	s_load_dwordx4 s[28:31], s[4:5], 0x10
	s_mov_b64 s[74:75], s[2:3]
	s_mov_b64 s[72:73], s[0:1]
	s_add_u32 s72, s72, s9
	s_addc_u32 s73, s73, 0
	s_waitcnt lgkmcnt(0)
	v_cmp_eq_f64_e64 s[0:1], s[28:29], 0
	v_cmp_eq_f64_e64 s[2:3], s[30:31], 0
	buffer_store_dword v1, off, s[72:75], 0 offset:56 ; 4-byte Folded Spill
	s_and_b64 s[0:1], s[0:1], s[2:3]
	s_and_b64 vcc, exec, s[0:1]
	s_cbranch_vccnz .LBB127_64
; %bb.1:
	s_load_dwordx4 s[52:55], s[4:5], 0x0
	s_waitcnt lgkmcnt(0)
	s_add_i32 s0, s54, -1
	s_ashr_i32 s1, s0, 31
	s_lshr_b32 s1, s1, 27
	s_add_i32 s0, s0, s1
	s_ashr_i32 s33, s0, 5
	s_cmp_gt_i32 s7, s33
	s_cbranch_scc1 .LBB127_64
; %bb.2:
	s_load_dwordx8 s[20:27], s[4:5], 0x68
	s_load_dwordx16 s[36:51], s[4:5], 0x28
	buffer_load_dword v6, off, s[72:75], 0 offset:56 ; 4-byte Folded Reload
	v_lshl_add_u32 v1, s6, 5, v0
	s_load_dword s6, s[4:5], 0x94
	s_waitcnt lgkmcnt(0)
	s_mul_i32 s1, s27, s8
	s_mul_hi_u32 s2, s26, s8
	s_mul_i32 s0, s26, s8
	s_add_i32 s1, s2, s1
	s_lshl_b64 s[0:1], s[0:1], 4
	s_add_u32 s2, s20, s0
	s_addc_u32 s3, s21, s1
	s_lshl_b64 s[0:1], s[22:23], 4
	s_add_u32 s64, s2, s0
	s_addc_u32 s65, s3, s1
	s_cmpk_eq_i32 s52, 0x84
	s_cselect_b64 s[22:23], -1, 0
	s_ashr_i32 s55, s54, 31
	s_ashr_i32 s0, s53, 31
	s_lshl_b64 s[26:27], s[40:41], 9
	s_lshl_b64 s[34:35], s[48:49], 9
	v_ashrrev_i32_e32 v2, 31, v1
	v_mov_b32_e32 v4, s0
	v_sub_co_u32_e32 v3, vcc, s53, v1
	s_add_u32 s56, s54, -16
	v_subb_co_u32_e32 v4, vcc, v4, v2, vcc
	s_addc_u32 s57, s55, -1
	s_lshl_b32 s9, s7, 5
	s_lshl_b32 s67, s6, 5
	v_cmp_gt_i64_e32 vcc, 1, v[3:4]
	v_cmp_gt_i64_e64 s[0:1], 17, v[3:4]
	v_add_u32_e32 v3, 16, v1
	v_add_u32_e32 v26, s9, v0
	s_add_u32 s52, s44, 0x100
	s_mul_hi_u32 s10, s50, s8
	v_cmp_gt_i32_e64 s[2:3], s53, v1
	v_cmp_gt_i32_e64 s[4:5], s53, v3
	s_addc_u32 s53, s45, 0
	s_lshl_b64 s[58:59], s[48:49], 4
	s_lshl_b64 s[12:13], s[46:47], 4
	v_ashrrev_i32_e32 v4, 31, v3
	v_lshlrev_b64 v[1:2], 4, v[1:2]
	buffer_store_dword v3, off, s[72:75], 0 offset:60 ; 4-byte Folded Spill
	s_nop 0
	buffer_store_dword v4, off, s[72:75], 0 offset:64 ; 4-byte Folded Spill
	v_lshlrev_b32_e32 v5, 4, v0
	v_or_b32_e32 v52, 0x4000, v5
	s_movk_i32 s66, 0x100
	s_waitcnt vmcnt(2)
	v_add_u32_e32 v28, s9, v6
	s_mul_i32 s9, s51, s8
	s_add_i32 s11, s10, s9
	s_mul_i32 s10, s50, s8
	s_lshl_b64 s[10:11], s[10:11], 4
	s_add_u32 s9, s10, s12
	s_addc_u32 s10, s11, s13
	v_mov_b32_e32 v0, s10
	v_add_co_u32_e64 v3, s[10:11], s9, v1
	buffer_store_dword v1, off, s[72:75], 0 offset:68 ; 4-byte Folded Spill
	s_nop 0
	buffer_store_dword v2, off, s[72:75], 0 offset:72 ; 4-byte Folded Spill
	s_mul_i32 s9, s43, s8
	v_lshlrev_b32_e32 v50, 9, v6
	v_add_u32_e32 v51, v50, v5
	v_add_u32_e32 v53, v52, v50
	v_addc_co_u32_e64 v4, s[10:11], v0, v2, s[10:11]
	s_mul_hi_u32 s10, s42, s8
	s_add_i32 s9, s10, s9
	s_mul_i32 s8, s42, s8
	s_lshl_b64 s[8:9], s[8:9], 4
	s_lshl_b64 s[10:11], s[38:39], 4
	s_add_u32 s8, s8, s10
	s_addc_u32 s9, s9, s11
	s_add_u32 s36, s36, s8
	s_addc_u32 s37, s37, s9
	buffer_store_dword v3, off, s[72:75], 0 offset:76 ; 4-byte Folded Spill
	s_nop 0
	buffer_store_dword v4, off, s[72:75], 0 offset:80 ; 4-byte Folded Spill
	s_add_u32 s38, s36, 0x100
	s_addc_u32 s39, s37, 0
	s_lshl_b64 s[42:43], s[40:41], 4
	v_mov_b32_e32 v2, 0
	v_mov_b32_e32 v3, 0x3ff00000
	s_branch .LBB127_4
.LBB127_3:                              ;   in Loop: Header=BB127_4 Depth=1
	s_or_b64 exec, exec, s[10:11]
	s_add_i32 s7, s6, s7
	v_add_u32_e32 v26, s67, v26
	s_cmp_le_i32 s7, s33
	v_add_u32_e32 v28, s67, v28
	s_cbranch_scc0 .LBB127_64
.LBB127_4:                              ; =>This Loop Header: Depth=1
                                        ;     Child Loop BB127_7 Depth 2
	buffer_load_dword v0, off, s[72:75], 0 offset:56 ; 4-byte Folded Reload
	s_lshl_b32 s8, s7, 5
	s_sub_i32 s68, s54, s8
	v_ashrrev_i32_e32 v27, 31, v26
	v_ashrrev_i32_e32 v29, 31, v28
	s_cmp_lt_i32 s68, 1
	s_waitcnt vmcnt(0)
	v_add_u32_e32 v13, s8, v0
	v_ashrrev_i32_e32 v14, 31, v13
	buffer_store_dword v13, off, s[72:75], 0 ; 4-byte Folded Spill
	s_nop 0
	buffer_store_dword v14, off, s[72:75], 0 offset:4 ; 4-byte Folded Spill
	s_cbranch_scc1 .LBB127_55
; %bb.5:                                ;   in Loop: Header=BB127_4 Depth=1
	v_mov_b32_e32 v0, s52
	v_sub_co_u32_e64 v15, s[8:9], v28, v26
	v_mov_b32_e32 v1, s53
	v_subb_co_u32_e64 v16, s[8:9], v29, v27, s[8:9]
	v_mad_u64_u32 v[17:18], s[8:9], s58, v28, v[0:1]
	v_mov_b32_e32 v0, s38
	v_mov_b32_e32 v1, s39
	v_mad_u64_u32 v[42:43], s[8:9], s42, v26, v[0:1]
	v_lshlrev_b64 v[0:1], 4, v[26:27]
	v_lshlrev_b64 v[11:12], 4, v[28:29]
	v_add_co_u32_e64 v8, s[8:9], s66, v0
	v_addc_co_u32_e64 v0, s[8:9], 0, v1, s[8:9]
	v_mul_lo_u32 v9, s40, v0
	v_mov_b32_e32 v0, s36
	v_mov_b32_e32 v1, s37
	v_mad_u64_u32 v[44:45], s[8:9], s40, v8, v[0:1]
	v_mul_lo_u32 v10, s41, v8
	v_add_co_u32_e64 v8, s[8:9], s66, v11
	v_addc_co_u32_e64 v0, s[8:9], 0, v12, s[8:9]
	v_mul_lo_u32 v11, s48, v0
	v_mov_b32_e32 v0, s44
	v_mov_b32_e32 v1, s45
	v_mul_lo_u32 v4, s58, v29
	v_mul_lo_u32 v5, s59, v28
	;; [unrolled: 1-line block ×3, first 2 shown]
	v_mad_u64_u32 v[0:1], s[8:9], s48, v8, v[0:1]
	v_add3_u32 v18, v5, v18, v4
	buffer_store_dword v17, off, s[72:75], 0 offset:16 ; 4-byte Folded Spill
	s_nop 0
	buffer_store_dword v18, off, s[72:75], 0 offset:20 ; 4-byte Folded Spill
	v_add3_u32 v1, v12, v1, v11
	buffer_store_dword v0, off, s[72:75], 0 offset:24 ; 4-byte Folded Spill
	s_nop 0
	buffer_store_dword v1, off, s[72:75], 0 offset:28 ; 4-byte Folded Spill
	v_add_co_u32_e64 v0, s[8:9], 16, v13
	v_addc_co_u32_e64 v1, s[8:9], 0, v14, s[8:9]
	buffer_store_dword v0, off, s[72:75], 0 offset:32 ; 4-byte Folded Spill
	s_nop 0
	buffer_store_dword v1, off, s[72:75], 0 offset:36 ; 4-byte Folded Spill
	v_mul_lo_u32 v6, s42, v27
	v_mul_lo_u32 v7, s43, v26
	v_cmp_le_i32_e64 s[16:17], s54, v13
	v_mov_b32_e32 v12, 0
	v_mov_b32_e32 v62, 0
	;; [unrolled: 1-line block ×6, first 2 shown]
	v_add3_u32 v43, v7, v43, v6
	v_add3_u32 v45, v10, v45, v9
	v_mov_b32_e32 v13, 0
	s_mov_b64 s[46:47], 0
	v_mov_b32_e32 v63, 0
	v_mov_b32_e32 v61, 0
	;; [unrolled: 1-line block ×5, first 2 shown]
	v_cmp_le_i64_e64 s[8:9], s[54:55], v[0:1]
	v_add_co_u32_e64 v0, s[10:11], 16, v15
	v_addc_co_u32_e64 v1, s[10:11], 0, v16, s[10:11]
	buffer_store_dword v0, off, s[72:75], 0 offset:40 ; 4-byte Folded Spill
	s_nop 0
	buffer_store_dword v1, off, s[72:75], 0 offset:44 ; 4-byte Folded Spill
	v_add_co_u32_e64 v0, s[10:11], -16, v15
	buffer_store_dword v15, off, s[72:75], 0 offset:8 ; 4-byte Folded Spill
	s_nop 0
	buffer_store_dword v16, off, s[72:75], 0 offset:12 ; 4-byte Folded Spill
	v_mov_b32_e32 v14, 0
	v_mov_b32_e32 v15, 0
	v_addc_co_u32_e64 v1, s[10:11], -1, v16, s[10:11]
	buffer_store_dword v0, off, s[72:75], 0 offset:48 ; 4-byte Folded Spill
	s_nop 0
	buffer_store_dword v1, off, s[72:75], 0 offset:52 ; 4-byte Folded Spill
	buffer_load_dword v54, off, s[72:75], 0 offset:76 ; 4-byte Folded Reload
	buffer_load_dword v55, off, s[72:75], 0 offset:80 ; 4-byte Folded Reload
	v_mov_b32_e32 v16, 0
	v_mov_b32_e32 v17, 0
	s_branch .LBB127_7
.LBB127_6:                              ;   in Loop: Header=BB127_7 Depth=2
	s_or_b64 exec, exec, s[10:11]
	s_waitcnt lgkmcnt(0)
	s_barrier
	ds_read_b128 v[30:33], v50
	ds_read_b128 v[20:23], v50 offset:16
	ds_read_b128 v[8:11], v50 offset:32
	ds_read_b128 v[4:7], v50 offset:48
	ds_read_b128 v[36:39], v52
	v_add_co_u32_e64 v54, s[10:11], s34, v54
	s_add_u32 s46, s46, 32
	s_addc_u32 s47, s47, 0
	s_waitcnt lgkmcnt(0)
	v_mul_f64 v[0:1], v[32:33], v[38:39]
	v_mul_f64 v[24:25], v[30:31], v[38:39]
	s_cmp_ge_i32 s46, s68
	v_fma_f64 v[0:1], v[30:31], v[36:37], -v[0:1]
	v_fma_f64 v[24:25], v[32:33], v[36:37], v[24:25]
	v_add_f64 v[48:49], v[56:57], v[0:1]
	v_add_f64 v[40:41], v[24:25], v[58:59]
	ds_read_b128 v[56:59], v52 offset:256
	s_waitcnt lgkmcnt(0)
	v_mul_f64 v[0:1], v[32:33], v[58:59]
	v_mul_f64 v[24:25], v[30:31], v[58:59]
	v_fma_f64 v[0:1], v[30:31], v[56:57], -v[0:1]
	v_fma_f64 v[24:25], v[32:33], v[56:57], v[24:25]
	v_add_f64 v[46:47], v[16:17], v[0:1]
	v_add_f64 v[34:35], v[24:25], v[18:19]
	ds_read_b128 v[16:19], v50 offset:8192
	s_waitcnt lgkmcnt(0)
	v_mul_f64 v[0:1], v[18:19], v[38:39]
	v_mul_f64 v[24:25], v[16:17], v[38:39]
	v_fma_f64 v[0:1], v[16:17], v[36:37], -v[0:1]
	v_fma_f64 v[24:25], v[18:19], v[36:37], v[24:25]
	v_add_f64 v[30:31], v[60:61], v[0:1]
	v_add_f64 v[0:1], v[24:25], v[62:63]
	v_mul_f64 v[24:25], v[18:19], v[58:59]
	v_fma_f64 v[24:25], v[16:17], v[56:57], -v[24:25]
	v_mul_f64 v[16:17], v[16:17], v[58:59]
	v_add_f64 v[32:33], v[14:15], v[24:25]
	v_fma_f64 v[16:17], v[18:19], v[56:57], v[16:17]
	v_add_f64 v[24:25], v[16:17], v[12:13]
	ds_read_b128 v[16:19], v52 offset:512
	s_waitcnt lgkmcnt(0)
	v_mul_f64 v[12:13], v[22:23], v[18:19]
	v_mul_f64 v[14:15], v[20:21], v[18:19]
	v_fma_f64 v[12:13], v[20:21], v[16:17], -v[12:13]
	v_fma_f64 v[14:15], v[22:23], v[16:17], v[14:15]
	v_add_f64 v[60:61], v[48:49], v[12:13]
	v_add_f64 v[62:63], v[14:15], v[40:41]
	ds_read_b128 v[12:15], v52 offset:768
	s_waitcnt lgkmcnt(0)
	v_mul_f64 v[36:37], v[22:23], v[14:15]
	v_fma_f64 v[36:37], v[20:21], v[12:13], -v[36:37]
	v_mul_f64 v[20:21], v[20:21], v[14:15]
	v_add_f64 v[56:57], v[46:47], v[36:37]
	v_fma_f64 v[20:21], v[22:23], v[12:13], v[20:21]
	v_add_f64 v[58:59], v[20:21], v[34:35]
	ds_read_b128 v[20:23], v50 offset:8208
	s_waitcnt lgkmcnt(0)
	v_mul_f64 v[34:35], v[22:23], v[18:19]
	v_mul_f64 v[18:19], v[20:21], v[18:19]
	v_fma_f64 v[34:35], v[20:21], v[16:17], -v[34:35]
	v_fma_f64 v[18:19], v[22:23], v[16:17], v[18:19]
	v_add_f64 v[16:17], v[30:31], v[34:35]
	v_add_f64 v[18:19], v[18:19], v[0:1]
	v_mul_f64 v[0:1], v[22:23], v[14:15]
	v_mul_f64 v[14:15], v[20:21], v[14:15]
	v_fma_f64 v[0:1], v[20:21], v[12:13], -v[0:1]
	v_fma_f64 v[14:15], v[22:23], v[12:13], v[14:15]
	ds_read_b128 v[20:23], v52 offset:1024
	v_add_f64 v[12:13], v[32:33], v[0:1]
	ds_read_b128 v[30:33], v52 offset:1280
	s_waitcnt lgkmcnt(1)
	v_mul_f64 v[0:1], v[10:11], v[22:23]
	v_add_f64 v[14:15], v[14:15], v[24:25]
	v_mul_f64 v[24:25], v[8:9], v[22:23]
	v_fma_f64 v[0:1], v[8:9], v[20:21], -v[0:1]
	v_fma_f64 v[24:25], v[10:11], v[20:21], v[24:25]
	v_add_f64 v[34:35], v[60:61], v[0:1]
	s_waitcnt lgkmcnt(0)
	v_mul_f64 v[0:1], v[10:11], v[32:33]
	v_add_f64 v[36:37], v[24:25], v[62:63]
	v_fma_f64 v[0:1], v[8:9], v[30:31], -v[0:1]
	v_mul_f64 v[8:9], v[8:9], v[32:33]
	v_add_f64 v[38:39], v[56:57], v[0:1]
	v_fma_f64 v[8:9], v[10:11], v[30:31], v[8:9]
	v_add_f64 v[40:41], v[8:9], v[58:59]
	ds_read_b128 v[8:11], v50 offset:8224
	s_waitcnt lgkmcnt(0)
	v_mul_f64 v[0:1], v[10:11], v[22:23]
	v_mul_f64 v[22:23], v[8:9], v[22:23]
	v_fma_f64 v[0:1], v[8:9], v[20:21], -v[0:1]
	v_fma_f64 v[20:21], v[10:11], v[20:21], v[22:23]
	v_add_f64 v[0:1], v[16:17], v[0:1]
	v_mul_f64 v[16:17], v[10:11], v[32:33]
	v_add_f64 v[20:21], v[20:21], v[18:19]
	v_fma_f64 v[16:17], v[8:9], v[30:31], -v[16:17]
	v_mul_f64 v[8:9], v[8:9], v[32:33]
	v_add_f64 v[22:23], v[12:13], v[16:17]
	v_fma_f64 v[8:9], v[10:11], v[30:31], v[8:9]
	v_add_f64 v[24:25], v[8:9], v[14:15]
	ds_read_b128 v[8:11], v52 offset:1536
	s_waitcnt lgkmcnt(0)
	v_mul_f64 v[12:13], v[6:7], v[10:11]
	v_mul_f64 v[14:15], v[4:5], v[10:11]
	v_fma_f64 v[12:13], v[4:5], v[8:9], -v[12:13]
	v_fma_f64 v[14:15], v[6:7], v[8:9], v[14:15]
	v_add_f64 v[16:17], v[34:35], v[12:13]
	v_add_f64 v[18:19], v[14:15], v[36:37]
	ds_read_b128 v[12:15], v52 offset:1792
	s_waitcnt lgkmcnt(0)
	v_mul_f64 v[30:31], v[6:7], v[14:15]
	v_fma_f64 v[30:31], v[4:5], v[12:13], -v[30:31]
	v_mul_f64 v[4:5], v[4:5], v[14:15]
	v_fma_f64 v[6:7], v[6:7], v[12:13], v[4:5]
	v_add_f64 v[4:5], v[38:39], v[30:31]
	ds_read_b128 v[30:33], v50 offset:8240
	s_waitcnt lgkmcnt(0)
	v_mul_f64 v[34:35], v[32:33], v[10:11]
	v_mul_f64 v[10:11], v[30:31], v[10:11]
	v_add_f64 v[6:7], v[6:7], v[40:41]
	v_fma_f64 v[34:35], v[30:31], v[8:9], -v[34:35]
	v_fma_f64 v[8:9], v[32:33], v[8:9], v[10:11]
	v_add_f64 v[34:35], v[0:1], v[34:35]
	v_add_f64 v[36:37], v[8:9], v[20:21]
	v_mul_f64 v[8:9], v[30:31], v[14:15]
	v_mul_f64 v[0:1], v[32:33], v[14:15]
	v_fma_f64 v[8:9], v[32:33], v[12:13], v[8:9]
	v_fma_f64 v[0:1], v[30:31], v[12:13], -v[0:1]
	v_add_f64 v[32:33], v[8:9], v[24:25]
	ds_read_b128 v[8:11], v50 offset:64
	ds_read_b128 v[12:15], v52 offset:2048
	v_add_f64 v[30:31], v[22:23], v[0:1]
	ds_read_b128 v[22:25], v52 offset:2304
	s_waitcnt lgkmcnt(1)
	v_mul_f64 v[0:1], v[10:11], v[14:15]
	v_mul_f64 v[20:21], v[8:9], v[14:15]
	v_fma_f64 v[0:1], v[8:9], v[12:13], -v[0:1]
	v_fma_f64 v[20:21], v[10:11], v[12:13], v[20:21]
	v_add_f64 v[0:1], v[16:17], v[0:1]
	s_waitcnt lgkmcnt(0)
	v_mul_f64 v[16:17], v[10:11], v[24:25]
	v_add_f64 v[20:21], v[20:21], v[18:19]
	v_fma_f64 v[16:17], v[8:9], v[22:23], -v[16:17]
	v_mul_f64 v[8:9], v[8:9], v[24:25]
	v_add_f64 v[40:41], v[4:5], v[16:17]
	v_fma_f64 v[8:9], v[10:11], v[22:23], v[8:9]
	v_add_f64 v[46:47], v[8:9], v[6:7]
	ds_read_b128 v[4:7], v50 offset:8256
	s_waitcnt lgkmcnt(0)
	v_mul_f64 v[8:9], v[6:7], v[14:15]
	v_mul_f64 v[10:11], v[4:5], v[14:15]
	v_fma_f64 v[8:9], v[4:5], v[12:13], -v[8:9]
	v_fma_f64 v[10:11], v[6:7], v[12:13], v[10:11]
	v_add_f64 v[16:17], v[34:35], v[8:9]
	v_mul_f64 v[8:9], v[6:7], v[24:25]
	v_add_f64 v[18:19], v[10:11], v[36:37]
	v_fma_f64 v[8:9], v[4:5], v[22:23], -v[8:9]
	v_mul_f64 v[4:5], v[4:5], v[24:25]
	v_add_f64 v[12:13], v[30:31], v[8:9]
	v_fma_f64 v[4:5], v[6:7], v[22:23], v[4:5]
	ds_read_b128 v[36:39], v50 offset:80
	ds_read_b128 v[8:11], v52 offset:2560
	s_waitcnt lgkmcnt(0)
	v_mul_f64 v[6:7], v[36:37], v[10:11]
	v_add_f64 v[14:15], v[4:5], v[32:33]
	v_mul_f64 v[4:5], v[38:39], v[10:11]
	v_fma_f64 v[6:7], v[38:39], v[8:9], v[6:7]
	v_fma_f64 v[4:5], v[36:37], v[8:9], -v[4:5]
	v_add_f64 v[32:33], v[6:7], v[20:21]
	v_add_f64 v[24:25], v[0:1], v[4:5]
	ds_read_b128 v[4:7], v52 offset:2816
	s_waitcnt lgkmcnt(0)
	v_mul_f64 v[0:1], v[38:39], v[6:7]
	v_mul_f64 v[20:21], v[36:37], v[6:7]
	v_fma_f64 v[0:1], v[36:37], v[4:5], -v[0:1]
	v_fma_f64 v[22:23], v[38:39], v[4:5], v[20:21]
	ds_read_b128 v[36:39], v50 offset:8272
	v_add_f64 v[20:21], v[40:41], v[0:1]
	s_waitcnt lgkmcnt(0)
	v_mul_f64 v[0:1], v[38:39], v[10:11]
	v_mul_f64 v[10:11], v[36:37], v[10:11]
	v_add_f64 v[22:23], v[22:23], v[46:47]
	v_fma_f64 v[0:1], v[36:37], v[8:9], -v[0:1]
	v_fma_f64 v[8:9], v[38:39], v[8:9], v[10:11]
	v_add_f64 v[30:31], v[16:17], v[0:1]
	v_mul_f64 v[0:1], v[38:39], v[6:7]
	v_mul_f64 v[6:7], v[36:37], v[6:7]
	v_add_f64 v[18:19], v[8:9], v[18:19]
	v_fma_f64 v[0:1], v[36:37], v[4:5], -v[0:1]
	v_fma_f64 v[4:5], v[38:39], v[4:5], v[6:7]
	v_add_f64 v[34:35], v[12:13], v[0:1]
	ds_read_b128 v[6:9], v50 offset:96
	ds_read_b128 v[10:13], v52 offset:3072
	v_add_f64 v[36:37], v[4:5], v[14:15]
	ds_read_b128 v[14:17], v52 offset:3328
	s_waitcnt lgkmcnt(1)
	v_mul_f64 v[0:1], v[8:9], v[12:13]
	v_mul_f64 v[4:5], v[6:7], v[12:13]
	v_fma_f64 v[0:1], v[6:7], v[10:11], -v[0:1]
	v_fma_f64 v[4:5], v[8:9], v[10:11], v[4:5]
	v_add_f64 v[0:1], v[24:25], v[0:1]
	s_waitcnt lgkmcnt(0)
	v_mul_f64 v[24:25], v[8:9], v[16:17]
	v_add_f64 v[4:5], v[4:5], v[32:33]
	v_fma_f64 v[24:25], v[6:7], v[14:15], -v[24:25]
	v_mul_f64 v[6:7], v[6:7], v[16:17]
	v_add_f64 v[38:39], v[20:21], v[24:25]
	v_fma_f64 v[6:7], v[8:9], v[14:15], v[6:7]
	v_add_f64 v[40:41], v[6:7], v[22:23]
	ds_read_b128 v[6:9], v50 offset:8288
	s_waitcnt lgkmcnt(0)
	v_mul_f64 v[20:21], v[8:9], v[12:13]
	v_mul_f64 v[12:13], v[6:7], v[12:13]
	v_fma_f64 v[20:21], v[6:7], v[10:11], -v[20:21]
	v_fma_f64 v[10:11], v[8:9], v[10:11], v[12:13]
	v_add_f64 v[20:21], v[30:31], v[20:21]
	v_add_f64 v[22:23], v[10:11], v[18:19]
	v_mul_f64 v[10:11], v[8:9], v[16:17]
	v_fma_f64 v[10:11], v[6:7], v[14:15], -v[10:11]
	v_mul_f64 v[6:7], v[6:7], v[16:17]
	v_add_f64 v[16:17], v[34:35], v[10:11]
	v_fma_f64 v[6:7], v[8:9], v[14:15], v[6:7]
	ds_read_b128 v[12:15], v50 offset:112
	ds_read_b128 v[8:11], v52 offset:3584
	s_waitcnt lgkmcnt(0)
	v_mul_f64 v[24:25], v[12:13], v[10:11]
	v_add_f64 v[18:19], v[6:7], v[36:37]
	v_mul_f64 v[6:7], v[14:15], v[10:11]
	v_fma_f64 v[30:31], v[14:15], v[8:9], v[24:25]
	v_fma_f64 v[6:7], v[12:13], v[8:9], -v[6:7]
	v_add_f64 v[32:33], v[30:31], v[4:5]
	v_add_f64 v[24:25], v[0:1], v[6:7]
	ds_read_b128 v[4:7], v52 offset:3840
	s_waitcnt lgkmcnt(0)
	v_mul_f64 v[0:1], v[14:15], v[6:7]
	v_fma_f64 v[0:1], v[12:13], v[4:5], -v[0:1]
	v_mul_f64 v[12:13], v[12:13], v[6:7]
	v_add_f64 v[56:57], v[38:39], v[0:1]
	v_fma_f64 v[12:13], v[14:15], v[4:5], v[12:13]
	v_add_f64 v[58:59], v[12:13], v[40:41]
	ds_read_b128 v[12:15], v50 offset:8304
	s_waitcnt lgkmcnt(0)
	v_mul_f64 v[0:1], v[14:15], v[10:11]
	v_mul_f64 v[10:11], v[12:13], v[10:11]
	v_fma_f64 v[0:1], v[12:13], v[8:9], -v[0:1]
	v_fma_f64 v[8:9], v[14:15], v[8:9], v[10:11]
	v_add_f64 v[20:21], v[20:21], v[0:1]
	v_mul_f64 v[0:1], v[14:15], v[6:7]
	v_mul_f64 v[6:7], v[12:13], v[6:7]
	v_add_f64 v[22:23], v[8:9], v[22:23]
	v_fma_f64 v[0:1], v[12:13], v[4:5], -v[0:1]
	v_fma_f64 v[4:5], v[14:15], v[4:5], v[6:7]
	ds_read_b128 v[6:9], v50 offset:128
	ds_read_b128 v[10:13], v52 offset:4096
	v_add_f64 v[30:31], v[16:17], v[0:1]
	s_waitcnt lgkmcnt(0)
	v_mul_f64 v[0:1], v[8:9], v[12:13]
	ds_read_b128 v[14:17], v52 offset:4352
	v_add_f64 v[18:19], v[4:5], v[18:19]
	v_mul_f64 v[4:5], v[6:7], v[12:13]
	v_fma_f64 v[0:1], v[6:7], v[10:11], -v[0:1]
	v_fma_f64 v[4:5], v[8:9], v[10:11], v[4:5]
	v_add_f64 v[0:1], v[24:25], v[0:1]
	s_waitcnt lgkmcnt(0)
	v_mul_f64 v[24:25], v[8:9], v[16:17]
	v_add_f64 v[4:5], v[4:5], v[32:33]
	v_fma_f64 v[24:25], v[6:7], v[14:15], -v[24:25]
	v_mul_f64 v[6:7], v[6:7], v[16:17]
	v_add_f64 v[34:35], v[56:57], v[24:25]
	v_fma_f64 v[6:7], v[8:9], v[14:15], v[6:7]
	v_add_f64 v[36:37], v[6:7], v[58:59]
	ds_read_b128 v[6:9], v50 offset:8320
	s_waitcnt lgkmcnt(0)
	v_mul_f64 v[24:25], v[8:9], v[12:13]
	v_mul_f64 v[12:13], v[6:7], v[12:13]
	v_fma_f64 v[24:25], v[6:7], v[10:11], -v[24:25]
	v_fma_f64 v[10:11], v[8:9], v[10:11], v[12:13]
	v_add_f64 v[20:21], v[20:21], v[24:25]
	v_add_f64 v[22:23], v[10:11], v[22:23]
	v_mul_f64 v[10:11], v[8:9], v[16:17]
	v_fma_f64 v[10:11], v[6:7], v[14:15], -v[10:11]
	v_mul_f64 v[6:7], v[6:7], v[16:17]
	v_add_f64 v[16:17], v[30:31], v[10:11]
	v_fma_f64 v[6:7], v[8:9], v[14:15], v[6:7]
	ds_read_b128 v[12:15], v50 offset:144
	ds_read_b128 v[8:11], v52 offset:4608
	s_waitcnt lgkmcnt(0)
	v_mul_f64 v[24:25], v[12:13], v[10:11]
	v_add_f64 v[18:19], v[6:7], v[18:19]
	v_mul_f64 v[6:7], v[14:15], v[10:11]
	v_fma_f64 v[30:31], v[14:15], v[8:9], v[24:25]
	v_fma_f64 v[6:7], v[12:13], v[8:9], -v[6:7]
	v_add_f64 v[32:33], v[30:31], v[4:5]
	v_add_f64 v[24:25], v[0:1], v[6:7]
	ds_read_b128 v[4:7], v52 offset:4864
	s_waitcnt lgkmcnt(0)
	v_mul_f64 v[0:1], v[14:15], v[6:7]
	v_fma_f64 v[0:1], v[12:13], v[4:5], -v[0:1]
	v_mul_f64 v[12:13], v[12:13], v[6:7]
	v_add_f64 v[56:57], v[34:35], v[0:1]
	v_fma_f64 v[12:13], v[14:15], v[4:5], v[12:13]
	v_add_f64 v[58:59], v[12:13], v[36:37]
	ds_read_b128 v[12:15], v50 offset:8336
	s_waitcnt lgkmcnt(0)
	v_mul_f64 v[0:1], v[14:15], v[10:11]
	v_mul_f64 v[10:11], v[12:13], v[10:11]
	v_fma_f64 v[0:1], v[12:13], v[8:9], -v[0:1]
	v_fma_f64 v[8:9], v[14:15], v[8:9], v[10:11]
	v_add_f64 v[20:21], v[20:21], v[0:1]
	v_mul_f64 v[0:1], v[14:15], v[6:7]
	v_mul_f64 v[6:7], v[12:13], v[6:7]
	v_add_f64 v[22:23], v[8:9], v[22:23]
	v_fma_f64 v[0:1], v[12:13], v[4:5], -v[0:1]
	v_fma_f64 v[4:5], v[14:15], v[4:5], v[6:7]
	ds_read_b128 v[6:9], v50 offset:160
	ds_read_b128 v[10:13], v52 offset:5120
	v_add_f64 v[30:31], v[16:17], v[0:1]
	s_waitcnt lgkmcnt(0)
	v_mul_f64 v[0:1], v[8:9], v[12:13]
	ds_read_b128 v[14:17], v52 offset:5376
	v_add_f64 v[18:19], v[4:5], v[18:19]
	v_mul_f64 v[4:5], v[6:7], v[12:13]
	v_fma_f64 v[0:1], v[6:7], v[10:11], -v[0:1]
	v_fma_f64 v[4:5], v[8:9], v[10:11], v[4:5]
	v_add_f64 v[0:1], v[24:25], v[0:1]
	s_waitcnt lgkmcnt(0)
	v_mul_f64 v[24:25], v[8:9], v[16:17]
	v_add_f64 v[4:5], v[4:5], v[32:33]
	v_fma_f64 v[24:25], v[6:7], v[14:15], -v[24:25]
	v_mul_f64 v[6:7], v[6:7], v[16:17]
	v_add_f64 v[32:33], v[56:57], v[24:25]
	v_fma_f64 v[6:7], v[8:9], v[14:15], v[6:7]
	v_add_f64 v[34:35], v[6:7], v[58:59]
	ds_read_b128 v[6:9], v50 offset:8352
	s_waitcnt lgkmcnt(0)
	v_mul_f64 v[24:25], v[8:9], v[12:13]
	v_mul_f64 v[12:13], v[6:7], v[12:13]
	v_fma_f64 v[24:25], v[6:7], v[10:11], -v[24:25]
	v_fma_f64 v[10:11], v[8:9], v[10:11], v[12:13]
	v_add_f64 v[20:21], v[20:21], v[24:25]
	v_add_f64 v[22:23], v[10:11], v[22:23]
	v_mul_f64 v[10:11], v[8:9], v[16:17]
	v_fma_f64 v[10:11], v[6:7], v[14:15], -v[10:11]
	v_mul_f64 v[6:7], v[6:7], v[16:17]
	v_add_f64 v[16:17], v[30:31], v[10:11]
	v_fma_f64 v[6:7], v[8:9], v[14:15], v[6:7]
	ds_read_b128 v[12:15], v50 offset:176
	ds_read_b128 v[8:11], v52 offset:5632
	s_waitcnt lgkmcnt(0)
	v_mul_f64 v[24:25], v[12:13], v[10:11]
	v_add_f64 v[18:19], v[6:7], v[18:19]
	v_mul_f64 v[6:7], v[14:15], v[10:11]
	v_fma_f64 v[24:25], v[14:15], v[8:9], v[24:25]
	v_fma_f64 v[6:7], v[12:13], v[8:9], -v[6:7]
	v_add_f64 v[24:25], v[24:25], v[4:5]
	v_add_f64 v[0:1], v[0:1], v[6:7]
	ds_read_b128 v[4:7], v52 offset:5888
	s_waitcnt lgkmcnt(0)
	v_mul_f64 v[30:31], v[14:15], v[6:7]
	v_fma_f64 v[30:31], v[12:13], v[4:5], -v[30:31]
	v_mul_f64 v[12:13], v[12:13], v[6:7]
	v_add_f64 v[56:57], v[32:33], v[30:31]
	v_fma_f64 v[12:13], v[14:15], v[4:5], v[12:13]
	v_add_f64 v[58:59], v[12:13], v[34:35]
	ds_read_b128 v[12:15], v50 offset:8368
	s_waitcnt lgkmcnt(0)
	v_mul_f64 v[30:31], v[14:15], v[10:11]
	v_mul_f64 v[10:11], v[12:13], v[10:11]
	v_fma_f64 v[30:31], v[12:13], v[8:9], -v[30:31]
	v_fma_f64 v[8:9], v[14:15], v[8:9], v[10:11]
	v_add_f64 v[20:21], v[20:21], v[30:31]
	v_add_f64 v[22:23], v[8:9], v[22:23]
	v_mul_f64 v[8:9], v[14:15], v[6:7]
	v_mul_f64 v[6:7], v[12:13], v[6:7]
	v_fma_f64 v[8:9], v[12:13], v[4:5], -v[8:9]
	v_fma_f64 v[4:5], v[14:15], v[4:5], v[6:7]
	v_add_f64 v[30:31], v[16:17], v[8:9]
	v_add_f64 v[32:33], v[4:5], v[18:19]
	ds_read_b128 v[4:7], v50 offset:192
	ds_read_b128 v[10:13], v52 offset:6144
	;; [unrolled: 1-line block ×3, first 2 shown]
	s_waitcnt lgkmcnt(1)
	v_mul_f64 v[8:9], v[6:7], v[12:13]
	v_mul_f64 v[14:15], v[4:5], v[12:13]
	v_fma_f64 v[8:9], v[4:5], v[10:11], -v[8:9]
	v_fma_f64 v[14:15], v[6:7], v[10:11], v[14:15]
	v_add_f64 v[0:1], v[0:1], v[8:9]
	v_add_f64 v[8:9], v[14:15], v[24:25]
	s_waitcnt lgkmcnt(0)
	v_mul_f64 v[14:15], v[6:7], v[18:19]
	v_fma_f64 v[14:15], v[4:5], v[16:17], -v[14:15]
	v_mul_f64 v[4:5], v[4:5], v[18:19]
	v_add_f64 v[34:35], v[56:57], v[14:15]
	v_fma_f64 v[4:5], v[6:7], v[16:17], v[4:5]
	v_add_f64 v[36:37], v[4:5], v[58:59]
	ds_read_b128 v[4:7], v50 offset:8384
	s_waitcnt lgkmcnt(0)
	v_mul_f64 v[14:15], v[6:7], v[12:13]
	v_mul_f64 v[12:13], v[4:5], v[12:13]
	v_fma_f64 v[14:15], v[4:5], v[10:11], -v[14:15]
	v_fma_f64 v[10:11], v[6:7], v[10:11], v[12:13]
	v_add_f64 v[12:13], v[20:21], v[14:15]
	v_add_f64 v[14:15], v[10:11], v[22:23]
	v_mul_f64 v[10:11], v[6:7], v[18:19]
	v_fma_f64 v[10:11], v[4:5], v[16:17], -v[10:11]
	v_mul_f64 v[4:5], v[4:5], v[18:19]
	v_fma_f64 v[4:5], v[6:7], v[16:17], v[4:5]
	v_add_f64 v[16:17], v[30:31], v[10:11]
	v_add_f64 v[18:19], v[4:5], v[32:33]
	ds_read_b128 v[20:23], v50 offset:208
	ds_read_b128 v[4:7], v52 offset:6656
	s_waitcnt lgkmcnt(0)
	v_mul_f64 v[10:11], v[22:23], v[6:7]
	v_mul_f64 v[24:25], v[20:21], v[6:7]
	v_fma_f64 v[10:11], v[20:21], v[4:5], -v[10:11]
	v_fma_f64 v[30:31], v[22:23], v[4:5], v[24:25]
	v_add_f64 v[24:25], v[0:1], v[10:11]
	v_add_f64 v[32:33], v[30:31], v[8:9]
	ds_read_b128 v[8:11], v52 offset:6912
	s_waitcnt lgkmcnt(0)
	v_mul_f64 v[0:1], v[22:23], v[10:11]
	v_fma_f64 v[0:1], v[20:21], v[8:9], -v[0:1]
	v_mul_f64 v[20:21], v[20:21], v[10:11]
	v_fma_f64 v[22:23], v[22:23], v[8:9], v[20:21]
	v_add_f64 v[20:21], v[34:35], v[0:1]
	v_add_f64 v[22:23], v[22:23], v[36:37]
	ds_read_b128 v[36:39], v50 offset:8400
	s_waitcnt lgkmcnt(0)
	v_mul_f64 v[0:1], v[38:39], v[6:7]
	v_mul_f64 v[6:7], v[36:37], v[6:7]
	v_fma_f64 v[0:1], v[36:37], v[4:5], -v[0:1]
	v_fma_f64 v[4:5], v[38:39], v[4:5], v[6:7]
	v_add_f64 v[34:35], v[12:13], v[0:1]
	v_add_f64 v[14:15], v[4:5], v[14:15]
	v_mul_f64 v[4:5], v[36:37], v[10:11]
	v_mul_f64 v[0:1], v[38:39], v[10:11]
	v_fma_f64 v[4:5], v[38:39], v[8:9], v[4:5]
	v_fma_f64 v[0:1], v[36:37], v[8:9], -v[0:1]
	ds_read_b128 v[6:9], v50 offset:224
	ds_read_b128 v[10:13], v52 offset:7168
	v_add_f64 v[38:39], v[4:5], v[18:19]
	s_waitcnt lgkmcnt(0)
	v_mul_f64 v[4:5], v[6:7], v[12:13]
	v_add_f64 v[36:37], v[16:17], v[0:1]
	v_mul_f64 v[0:1], v[8:9], v[12:13]
	v_fma_f64 v[4:5], v[8:9], v[10:11], v[4:5]
	v_fma_f64 v[0:1], v[6:7], v[10:11], -v[0:1]
	v_add_f64 v[4:5], v[4:5], v[32:33]
	ds_read_b128 v[30:33], v52 offset:7424
	v_add_f64 v[0:1], v[24:25], v[0:1]
	s_waitcnt lgkmcnt(0)
	v_mul_f64 v[16:17], v[8:9], v[32:33]
	v_fma_f64 v[16:17], v[6:7], v[30:31], -v[16:17]
	v_mul_f64 v[6:7], v[6:7], v[32:33]
	v_add_f64 v[40:41], v[20:21], v[16:17]
	v_fma_f64 v[6:7], v[8:9], v[30:31], v[6:7]
	v_add_f64 v[46:47], v[6:7], v[22:23]
	ds_read_b128 v[6:9], v50 offset:8416
	s_waitcnt lgkmcnt(0)
	v_mul_f64 v[16:17], v[8:9], v[12:13]
	v_mul_f64 v[12:13], v[6:7], v[12:13]
	v_fma_f64 v[16:17], v[6:7], v[10:11], -v[16:17]
	v_fma_f64 v[10:11], v[8:9], v[10:11], v[12:13]
	v_add_f64 v[16:17], v[34:35], v[16:17]
	v_add_f64 v[18:19], v[10:11], v[14:15]
	v_mul_f64 v[10:11], v[8:9], v[32:33]
	v_fma_f64 v[10:11], v[6:7], v[30:31], -v[10:11]
	v_mul_f64 v[6:7], v[6:7], v[32:33]
	v_add_f64 v[12:13], v[36:37], v[10:11]
	v_fma_f64 v[6:7], v[8:9], v[30:31], v[6:7]
	ds_read_b128 v[20:23], v50 offset:240
	ds_read_b128 v[8:11], v52 offset:7680
	s_waitcnt lgkmcnt(0)
	v_mul_f64 v[24:25], v[20:21], v[10:11]
	v_add_f64 v[14:15], v[6:7], v[38:39]
	v_mul_f64 v[6:7], v[22:23], v[10:11]
	ds_read_b128 v[36:39], v50 offset:8432
	v_fma_f64 v[30:31], v[22:23], v[8:9], v[24:25]
	v_fma_f64 v[6:7], v[20:21], v[8:9], -v[6:7]
	v_add_f64 v[32:33], v[30:31], v[4:5]
	v_add_f64 v[24:25], v[0:1], v[6:7]
	ds_read_b128 v[4:7], v52 offset:7936
	s_waitcnt lgkmcnt(0)
	v_mul_f64 v[0:1], v[22:23], v[6:7]
	v_fma_f64 v[0:1], v[20:21], v[4:5], -v[0:1]
	v_mul_f64 v[20:21], v[20:21], v[6:7]
	v_fma_f64 v[22:23], v[22:23], v[4:5], v[20:21]
	v_add_f64 v[20:21], v[40:41], v[0:1]
	v_mul_f64 v[0:1], v[38:39], v[10:11]
	v_mul_f64 v[10:11], v[36:37], v[10:11]
	v_add_f64 v[22:23], v[22:23], v[46:47]
	v_fma_f64 v[0:1], v[36:37], v[8:9], -v[0:1]
	v_fma_f64 v[8:9], v[38:39], v[8:9], v[10:11]
	v_add_f64 v[30:31], v[16:17], v[0:1]
	v_mul_f64 v[0:1], v[38:39], v[6:7]
	v_mul_f64 v[6:7], v[36:37], v[6:7]
	v_add_f64 v[18:19], v[8:9], v[18:19]
	v_fma_f64 v[0:1], v[36:37], v[4:5], -v[0:1]
	v_fma_f64 v[4:5], v[38:39], v[4:5], v[6:7]
	v_add_f64 v[34:35], v[12:13], v[0:1]
	ds_read_b128 v[6:9], v50 offset:256
	ds_read_b128 v[10:13], v52 offset:8192
	v_add_f64 v[36:37], v[4:5], v[14:15]
	ds_read_b128 v[14:17], v52 offset:8448
	s_waitcnt lgkmcnt(1)
	v_mul_f64 v[0:1], v[8:9], v[12:13]
	v_mul_f64 v[4:5], v[6:7], v[12:13]
	v_fma_f64 v[0:1], v[6:7], v[10:11], -v[0:1]
	v_fma_f64 v[4:5], v[8:9], v[10:11], v[4:5]
	v_add_f64 v[0:1], v[24:25], v[0:1]
	s_waitcnt lgkmcnt(0)
	v_mul_f64 v[24:25], v[8:9], v[16:17]
	v_add_f64 v[4:5], v[4:5], v[32:33]
	v_fma_f64 v[24:25], v[6:7], v[14:15], -v[24:25]
	v_mul_f64 v[6:7], v[6:7], v[16:17]
	v_add_f64 v[38:39], v[20:21], v[24:25]
	v_fma_f64 v[6:7], v[8:9], v[14:15], v[6:7]
	v_add_f64 v[40:41], v[6:7], v[22:23]
	ds_read_b128 v[6:9], v50 offset:8448
	s_waitcnt lgkmcnt(0)
	v_mul_f64 v[20:21], v[8:9], v[12:13]
	v_mul_f64 v[12:13], v[6:7], v[12:13]
	v_fma_f64 v[20:21], v[6:7], v[10:11], -v[20:21]
	v_fma_f64 v[10:11], v[8:9], v[10:11], v[12:13]
	v_add_f64 v[20:21], v[30:31], v[20:21]
	v_add_f64 v[22:23], v[10:11], v[18:19]
	v_mul_f64 v[10:11], v[8:9], v[16:17]
	v_fma_f64 v[10:11], v[6:7], v[14:15], -v[10:11]
	v_mul_f64 v[6:7], v[6:7], v[16:17]
	v_add_f64 v[16:17], v[34:35], v[10:11]
	v_fma_f64 v[6:7], v[8:9], v[14:15], v[6:7]
	ds_read_b128 v[12:15], v50 offset:272
	ds_read_b128 v[8:11], v52 offset:8704
	s_waitcnt lgkmcnt(0)
	v_mul_f64 v[24:25], v[12:13], v[10:11]
	v_add_f64 v[18:19], v[6:7], v[36:37]
	v_mul_f64 v[6:7], v[14:15], v[10:11]
	v_fma_f64 v[30:31], v[14:15], v[8:9], v[24:25]
	v_fma_f64 v[6:7], v[12:13], v[8:9], -v[6:7]
	v_add_f64 v[32:33], v[30:31], v[4:5]
	v_add_f64 v[24:25], v[0:1], v[6:7]
	ds_read_b128 v[4:7], v52 offset:8960
	s_waitcnt lgkmcnt(0)
	v_mul_f64 v[0:1], v[14:15], v[6:7]
	v_fma_f64 v[0:1], v[12:13], v[4:5], -v[0:1]
	v_mul_f64 v[12:13], v[12:13], v[6:7]
	v_add_f64 v[56:57], v[38:39], v[0:1]
	v_fma_f64 v[12:13], v[14:15], v[4:5], v[12:13]
	v_add_f64 v[58:59], v[12:13], v[40:41]
	ds_read_b128 v[12:15], v50 offset:8464
	s_waitcnt lgkmcnt(0)
	v_mul_f64 v[0:1], v[14:15], v[10:11]
	v_mul_f64 v[10:11], v[12:13], v[10:11]
	v_fma_f64 v[0:1], v[12:13], v[8:9], -v[0:1]
	v_fma_f64 v[8:9], v[14:15], v[8:9], v[10:11]
	v_add_f64 v[20:21], v[20:21], v[0:1]
	v_mul_f64 v[0:1], v[14:15], v[6:7]
	v_mul_f64 v[6:7], v[12:13], v[6:7]
	v_add_f64 v[22:23], v[8:9], v[22:23]
	v_fma_f64 v[0:1], v[12:13], v[4:5], -v[0:1]
	v_fma_f64 v[4:5], v[14:15], v[4:5], v[6:7]
	ds_read_b128 v[6:9], v50 offset:288
	ds_read_b128 v[10:13], v52 offset:9216
	v_add_f64 v[30:31], v[16:17], v[0:1]
	s_waitcnt lgkmcnt(0)
	v_mul_f64 v[0:1], v[8:9], v[12:13]
	ds_read_b128 v[14:17], v52 offset:9472
	v_add_f64 v[18:19], v[4:5], v[18:19]
	v_mul_f64 v[4:5], v[6:7], v[12:13]
	v_fma_f64 v[0:1], v[6:7], v[10:11], -v[0:1]
	v_fma_f64 v[4:5], v[8:9], v[10:11], v[4:5]
	v_add_f64 v[0:1], v[24:25], v[0:1]
	s_waitcnt lgkmcnt(0)
	v_mul_f64 v[24:25], v[8:9], v[16:17]
	v_add_f64 v[4:5], v[4:5], v[32:33]
	v_fma_f64 v[24:25], v[6:7], v[14:15], -v[24:25]
	v_mul_f64 v[6:7], v[6:7], v[16:17]
	v_add_f64 v[34:35], v[56:57], v[24:25]
	v_fma_f64 v[6:7], v[8:9], v[14:15], v[6:7]
	v_add_f64 v[36:37], v[6:7], v[58:59]
	ds_read_b128 v[6:9], v50 offset:8480
	s_waitcnt lgkmcnt(0)
	v_mul_f64 v[24:25], v[8:9], v[12:13]
	v_mul_f64 v[12:13], v[6:7], v[12:13]
	v_fma_f64 v[24:25], v[6:7], v[10:11], -v[24:25]
	v_fma_f64 v[10:11], v[8:9], v[10:11], v[12:13]
	v_add_f64 v[20:21], v[20:21], v[24:25]
	v_add_f64 v[22:23], v[10:11], v[22:23]
	v_mul_f64 v[10:11], v[8:9], v[16:17]
	v_fma_f64 v[10:11], v[6:7], v[14:15], -v[10:11]
	v_mul_f64 v[6:7], v[6:7], v[16:17]
	v_add_f64 v[16:17], v[30:31], v[10:11]
	v_fma_f64 v[6:7], v[8:9], v[14:15], v[6:7]
	ds_read_b128 v[12:15], v50 offset:304
	ds_read_b128 v[8:11], v52 offset:9728
	s_waitcnt lgkmcnt(0)
	v_mul_f64 v[24:25], v[12:13], v[10:11]
	v_add_f64 v[18:19], v[6:7], v[18:19]
	v_mul_f64 v[6:7], v[14:15], v[10:11]
	v_fma_f64 v[30:31], v[14:15], v[8:9], v[24:25]
	v_fma_f64 v[6:7], v[12:13], v[8:9], -v[6:7]
	v_add_f64 v[32:33], v[30:31], v[4:5]
	v_add_f64 v[24:25], v[0:1], v[6:7]
	ds_read_b128 v[4:7], v52 offset:9984
	s_waitcnt lgkmcnt(0)
	v_mul_f64 v[0:1], v[14:15], v[6:7]
	v_fma_f64 v[0:1], v[12:13], v[4:5], -v[0:1]
	v_mul_f64 v[12:13], v[12:13], v[6:7]
	v_add_f64 v[56:57], v[34:35], v[0:1]
	v_fma_f64 v[12:13], v[14:15], v[4:5], v[12:13]
	v_add_f64 v[58:59], v[12:13], v[36:37]
	ds_read_b128 v[12:15], v50 offset:8496
	s_waitcnt lgkmcnt(0)
	v_mul_f64 v[0:1], v[14:15], v[10:11]
	v_mul_f64 v[10:11], v[12:13], v[10:11]
	v_fma_f64 v[0:1], v[12:13], v[8:9], -v[0:1]
	v_fma_f64 v[8:9], v[14:15], v[8:9], v[10:11]
	v_add_f64 v[20:21], v[20:21], v[0:1]
	v_mul_f64 v[0:1], v[14:15], v[6:7]
	v_mul_f64 v[6:7], v[12:13], v[6:7]
	v_add_f64 v[22:23], v[8:9], v[22:23]
	v_fma_f64 v[0:1], v[12:13], v[4:5], -v[0:1]
	v_fma_f64 v[4:5], v[14:15], v[4:5], v[6:7]
	ds_read_b128 v[6:9], v50 offset:320
	ds_read_b128 v[10:13], v52 offset:10240
	v_add_f64 v[30:31], v[16:17], v[0:1]
	s_waitcnt lgkmcnt(0)
	v_mul_f64 v[0:1], v[8:9], v[12:13]
	ds_read_b128 v[14:17], v52 offset:10496
	v_add_f64 v[18:19], v[4:5], v[18:19]
	v_mul_f64 v[4:5], v[6:7], v[12:13]
	v_fma_f64 v[0:1], v[6:7], v[10:11], -v[0:1]
	v_fma_f64 v[4:5], v[8:9], v[10:11], v[4:5]
	v_add_f64 v[0:1], v[24:25], v[0:1]
	s_waitcnt lgkmcnt(0)
	v_mul_f64 v[24:25], v[8:9], v[16:17]
	v_add_f64 v[4:5], v[4:5], v[32:33]
	v_fma_f64 v[24:25], v[6:7], v[14:15], -v[24:25]
	v_mul_f64 v[6:7], v[6:7], v[16:17]
	v_add_f64 v[32:33], v[56:57], v[24:25]
	v_fma_f64 v[6:7], v[8:9], v[14:15], v[6:7]
	v_add_f64 v[34:35], v[6:7], v[58:59]
	ds_read_b128 v[6:9], v50 offset:8512
	s_waitcnt lgkmcnt(0)
	v_mul_f64 v[24:25], v[8:9], v[12:13]
	v_mul_f64 v[12:13], v[6:7], v[12:13]
	v_fma_f64 v[24:25], v[6:7], v[10:11], -v[24:25]
	v_fma_f64 v[10:11], v[8:9], v[10:11], v[12:13]
	v_add_f64 v[20:21], v[20:21], v[24:25]
	v_add_f64 v[22:23], v[10:11], v[22:23]
	v_mul_f64 v[10:11], v[8:9], v[16:17]
	v_fma_f64 v[10:11], v[6:7], v[14:15], -v[10:11]
	v_mul_f64 v[6:7], v[6:7], v[16:17]
	v_add_f64 v[16:17], v[30:31], v[10:11]
	v_fma_f64 v[6:7], v[8:9], v[14:15], v[6:7]
	ds_read_b128 v[12:15], v50 offset:336
	ds_read_b128 v[8:11], v52 offset:10752
	s_waitcnt lgkmcnt(0)
	v_mul_f64 v[24:25], v[12:13], v[10:11]
	v_add_f64 v[18:19], v[6:7], v[18:19]
	v_mul_f64 v[6:7], v[14:15], v[10:11]
	v_fma_f64 v[24:25], v[14:15], v[8:9], v[24:25]
	v_fma_f64 v[6:7], v[12:13], v[8:9], -v[6:7]
	v_add_f64 v[24:25], v[24:25], v[4:5]
	v_add_f64 v[0:1], v[0:1], v[6:7]
	ds_read_b128 v[4:7], v52 offset:11008
	s_waitcnt lgkmcnt(0)
	v_mul_f64 v[30:31], v[14:15], v[6:7]
	v_fma_f64 v[30:31], v[12:13], v[4:5], -v[30:31]
	v_mul_f64 v[12:13], v[12:13], v[6:7]
	v_add_f64 v[56:57], v[32:33], v[30:31]
	v_fma_f64 v[12:13], v[14:15], v[4:5], v[12:13]
	v_add_f64 v[58:59], v[12:13], v[34:35]
	ds_read_b128 v[12:15], v50 offset:8528
	s_waitcnt lgkmcnt(0)
	v_mul_f64 v[30:31], v[14:15], v[10:11]
	v_mul_f64 v[10:11], v[12:13], v[10:11]
	v_fma_f64 v[30:31], v[12:13], v[8:9], -v[30:31]
	v_fma_f64 v[8:9], v[14:15], v[8:9], v[10:11]
	v_add_f64 v[20:21], v[20:21], v[30:31]
	v_add_f64 v[22:23], v[8:9], v[22:23]
	v_mul_f64 v[8:9], v[14:15], v[6:7]
	v_mul_f64 v[6:7], v[12:13], v[6:7]
	v_fma_f64 v[8:9], v[12:13], v[4:5], -v[8:9]
	v_fma_f64 v[4:5], v[14:15], v[4:5], v[6:7]
	v_add_f64 v[30:31], v[16:17], v[8:9]
	v_add_f64 v[32:33], v[4:5], v[18:19]
	ds_read_b128 v[4:7], v50 offset:352
	ds_read_b128 v[10:13], v52 offset:11264
	;; [unrolled: 1-line block ×3, first 2 shown]
	s_waitcnt lgkmcnt(1)
	v_mul_f64 v[8:9], v[6:7], v[12:13]
	v_mul_f64 v[14:15], v[4:5], v[12:13]
	v_fma_f64 v[8:9], v[4:5], v[10:11], -v[8:9]
	v_fma_f64 v[14:15], v[6:7], v[10:11], v[14:15]
	v_add_f64 v[0:1], v[0:1], v[8:9]
	v_add_f64 v[8:9], v[14:15], v[24:25]
	s_waitcnt lgkmcnt(0)
	v_mul_f64 v[14:15], v[6:7], v[18:19]
	v_fma_f64 v[14:15], v[4:5], v[16:17], -v[14:15]
	v_mul_f64 v[4:5], v[4:5], v[18:19]
	v_add_f64 v[34:35], v[56:57], v[14:15]
	v_fma_f64 v[4:5], v[6:7], v[16:17], v[4:5]
	v_add_f64 v[36:37], v[4:5], v[58:59]
	ds_read_b128 v[4:7], v50 offset:8544
	s_waitcnt lgkmcnt(0)
	v_mul_f64 v[14:15], v[6:7], v[12:13]
	v_mul_f64 v[12:13], v[4:5], v[12:13]
	v_fma_f64 v[14:15], v[4:5], v[10:11], -v[14:15]
	v_fma_f64 v[10:11], v[6:7], v[10:11], v[12:13]
	v_add_f64 v[12:13], v[20:21], v[14:15]
	v_add_f64 v[14:15], v[10:11], v[22:23]
	v_mul_f64 v[10:11], v[6:7], v[18:19]
	v_fma_f64 v[10:11], v[4:5], v[16:17], -v[10:11]
	v_mul_f64 v[4:5], v[4:5], v[18:19]
	v_fma_f64 v[4:5], v[6:7], v[16:17], v[4:5]
	v_add_f64 v[16:17], v[30:31], v[10:11]
	v_add_f64 v[18:19], v[4:5], v[32:33]
	ds_read_b128 v[20:23], v50 offset:368
	ds_read_b128 v[4:7], v52 offset:11776
	s_waitcnt lgkmcnt(0)
	v_mul_f64 v[10:11], v[22:23], v[6:7]
	v_mul_f64 v[24:25], v[20:21], v[6:7]
	v_fma_f64 v[10:11], v[20:21], v[4:5], -v[10:11]
	v_fma_f64 v[30:31], v[22:23], v[4:5], v[24:25]
	v_add_f64 v[24:25], v[0:1], v[10:11]
	v_add_f64 v[32:33], v[30:31], v[8:9]
	ds_read_b128 v[8:11], v52 offset:12032
	s_waitcnt lgkmcnt(0)
	v_mul_f64 v[0:1], v[22:23], v[10:11]
	v_fma_f64 v[0:1], v[20:21], v[8:9], -v[0:1]
	v_mul_f64 v[20:21], v[20:21], v[10:11]
	v_fma_f64 v[22:23], v[22:23], v[8:9], v[20:21]
	v_add_f64 v[20:21], v[34:35], v[0:1]
	v_add_f64 v[22:23], v[22:23], v[36:37]
	ds_read_b128 v[36:39], v50 offset:8560
	s_waitcnt lgkmcnt(0)
	v_mul_f64 v[0:1], v[38:39], v[6:7]
	v_mul_f64 v[6:7], v[36:37], v[6:7]
	v_fma_f64 v[0:1], v[36:37], v[4:5], -v[0:1]
	v_fma_f64 v[4:5], v[38:39], v[4:5], v[6:7]
	v_add_f64 v[34:35], v[12:13], v[0:1]
	v_add_f64 v[14:15], v[4:5], v[14:15]
	v_mul_f64 v[4:5], v[36:37], v[10:11]
	v_mul_f64 v[0:1], v[38:39], v[10:11]
	v_fma_f64 v[4:5], v[38:39], v[8:9], v[4:5]
	v_fma_f64 v[0:1], v[36:37], v[8:9], -v[0:1]
	ds_read_b128 v[6:9], v50 offset:384
	ds_read_b128 v[10:13], v52 offset:12288
	v_add_f64 v[38:39], v[4:5], v[18:19]
	s_waitcnt lgkmcnt(0)
	v_mul_f64 v[4:5], v[6:7], v[12:13]
	v_add_f64 v[36:37], v[16:17], v[0:1]
	v_mul_f64 v[0:1], v[8:9], v[12:13]
	v_fma_f64 v[4:5], v[8:9], v[10:11], v[4:5]
	v_fma_f64 v[0:1], v[6:7], v[10:11], -v[0:1]
	v_add_f64 v[4:5], v[4:5], v[32:33]
	ds_read_b128 v[30:33], v52 offset:12544
	v_add_f64 v[0:1], v[24:25], v[0:1]
	s_waitcnt lgkmcnt(0)
	v_mul_f64 v[16:17], v[8:9], v[32:33]
	v_fma_f64 v[16:17], v[6:7], v[30:31], -v[16:17]
	v_mul_f64 v[6:7], v[6:7], v[32:33]
	v_add_f64 v[40:41], v[20:21], v[16:17]
	v_fma_f64 v[6:7], v[8:9], v[30:31], v[6:7]
	v_add_f64 v[46:47], v[6:7], v[22:23]
	ds_read_b128 v[6:9], v50 offset:8576
	s_waitcnt lgkmcnt(0)
	v_mul_f64 v[16:17], v[8:9], v[12:13]
	v_mul_f64 v[12:13], v[6:7], v[12:13]
	v_fma_f64 v[16:17], v[6:7], v[10:11], -v[16:17]
	v_fma_f64 v[10:11], v[8:9], v[10:11], v[12:13]
	v_add_f64 v[16:17], v[34:35], v[16:17]
	v_add_f64 v[18:19], v[10:11], v[14:15]
	v_mul_f64 v[10:11], v[8:9], v[32:33]
	v_fma_f64 v[10:11], v[6:7], v[30:31], -v[10:11]
	v_mul_f64 v[6:7], v[6:7], v[32:33]
	v_add_f64 v[12:13], v[36:37], v[10:11]
	v_fma_f64 v[6:7], v[8:9], v[30:31], v[6:7]
	ds_read_b128 v[20:23], v50 offset:400
	ds_read_b128 v[8:11], v52 offset:12800
	s_waitcnt lgkmcnt(0)
	v_mul_f64 v[24:25], v[20:21], v[10:11]
	v_add_f64 v[14:15], v[6:7], v[38:39]
	v_mul_f64 v[6:7], v[22:23], v[10:11]
	ds_read_b128 v[36:39], v50 offset:8592
	v_fma_f64 v[30:31], v[22:23], v[8:9], v[24:25]
	v_fma_f64 v[6:7], v[20:21], v[8:9], -v[6:7]
	v_add_f64 v[32:33], v[30:31], v[4:5]
	v_add_f64 v[24:25], v[0:1], v[6:7]
	ds_read_b128 v[4:7], v52 offset:13056
	s_waitcnt lgkmcnt(0)
	v_mul_f64 v[0:1], v[22:23], v[6:7]
	v_fma_f64 v[0:1], v[20:21], v[4:5], -v[0:1]
	v_mul_f64 v[20:21], v[20:21], v[6:7]
	v_fma_f64 v[22:23], v[22:23], v[4:5], v[20:21]
	v_add_f64 v[20:21], v[40:41], v[0:1]
	v_mul_f64 v[0:1], v[38:39], v[10:11]
	v_mul_f64 v[10:11], v[36:37], v[10:11]
	v_add_f64 v[22:23], v[22:23], v[46:47]
	v_fma_f64 v[0:1], v[36:37], v[8:9], -v[0:1]
	v_fma_f64 v[8:9], v[38:39], v[8:9], v[10:11]
	v_add_f64 v[30:31], v[16:17], v[0:1]
	v_mul_f64 v[0:1], v[38:39], v[6:7]
	v_mul_f64 v[6:7], v[36:37], v[6:7]
	v_add_f64 v[18:19], v[8:9], v[18:19]
	v_fma_f64 v[0:1], v[36:37], v[4:5], -v[0:1]
	v_fma_f64 v[4:5], v[38:39], v[4:5], v[6:7]
	v_add_f64 v[34:35], v[12:13], v[0:1]
	ds_read_b128 v[6:9], v50 offset:416
	ds_read_b128 v[10:13], v52 offset:13312
	v_add_f64 v[36:37], v[4:5], v[14:15]
	ds_read_b128 v[14:17], v52 offset:13568
	s_waitcnt lgkmcnt(1)
	v_mul_f64 v[0:1], v[8:9], v[12:13]
	v_mul_f64 v[4:5], v[6:7], v[12:13]
	v_fma_f64 v[0:1], v[6:7], v[10:11], -v[0:1]
	v_fma_f64 v[4:5], v[8:9], v[10:11], v[4:5]
	v_add_f64 v[0:1], v[24:25], v[0:1]
	s_waitcnt lgkmcnt(0)
	v_mul_f64 v[24:25], v[8:9], v[16:17]
	v_add_f64 v[4:5], v[4:5], v[32:33]
	v_fma_f64 v[24:25], v[6:7], v[14:15], -v[24:25]
	v_mul_f64 v[6:7], v[6:7], v[16:17]
	v_add_f64 v[38:39], v[20:21], v[24:25]
	v_fma_f64 v[6:7], v[8:9], v[14:15], v[6:7]
	v_add_f64 v[40:41], v[6:7], v[22:23]
	ds_read_b128 v[6:9], v50 offset:8608
	s_waitcnt lgkmcnt(0)
	v_mul_f64 v[20:21], v[8:9], v[12:13]
	v_mul_f64 v[12:13], v[6:7], v[12:13]
	v_fma_f64 v[20:21], v[6:7], v[10:11], -v[20:21]
	v_fma_f64 v[10:11], v[8:9], v[10:11], v[12:13]
	v_add_f64 v[20:21], v[30:31], v[20:21]
	v_add_f64 v[22:23], v[10:11], v[18:19]
	v_mul_f64 v[10:11], v[8:9], v[16:17]
	v_fma_f64 v[10:11], v[6:7], v[14:15], -v[10:11]
	v_mul_f64 v[6:7], v[6:7], v[16:17]
	v_add_f64 v[16:17], v[34:35], v[10:11]
	v_fma_f64 v[6:7], v[8:9], v[14:15], v[6:7]
	ds_read_b128 v[12:15], v50 offset:432
	ds_read_b128 v[8:11], v52 offset:13824
	s_waitcnt lgkmcnt(0)
	v_mul_f64 v[24:25], v[12:13], v[10:11]
	v_add_f64 v[18:19], v[6:7], v[36:37]
	v_mul_f64 v[6:7], v[14:15], v[10:11]
	v_fma_f64 v[30:31], v[14:15], v[8:9], v[24:25]
	v_fma_f64 v[6:7], v[12:13], v[8:9], -v[6:7]
	v_add_f64 v[32:33], v[30:31], v[4:5]
	v_add_f64 v[24:25], v[0:1], v[6:7]
	ds_read_b128 v[4:7], v52 offset:14080
	s_waitcnt lgkmcnt(0)
	v_mul_f64 v[0:1], v[14:15], v[6:7]
	v_fma_f64 v[0:1], v[12:13], v[4:5], -v[0:1]
	v_mul_f64 v[12:13], v[12:13], v[6:7]
	v_add_f64 v[56:57], v[38:39], v[0:1]
	v_fma_f64 v[12:13], v[14:15], v[4:5], v[12:13]
	v_add_f64 v[58:59], v[12:13], v[40:41]
	ds_read_b128 v[12:15], v50 offset:8624
	s_waitcnt lgkmcnt(0)
	v_mul_f64 v[0:1], v[14:15], v[10:11]
	v_mul_f64 v[10:11], v[12:13], v[10:11]
	v_fma_f64 v[0:1], v[12:13], v[8:9], -v[0:1]
	v_fma_f64 v[8:9], v[14:15], v[8:9], v[10:11]
	v_add_f64 v[20:21], v[20:21], v[0:1]
	v_mul_f64 v[0:1], v[14:15], v[6:7]
	v_mul_f64 v[6:7], v[12:13], v[6:7]
	v_add_f64 v[22:23], v[8:9], v[22:23]
	v_fma_f64 v[0:1], v[12:13], v[4:5], -v[0:1]
	v_fma_f64 v[4:5], v[14:15], v[4:5], v[6:7]
	ds_read_b128 v[6:9], v50 offset:448
	ds_read_b128 v[10:13], v52 offset:14336
	v_add_f64 v[30:31], v[16:17], v[0:1]
	s_waitcnt lgkmcnt(0)
	v_mul_f64 v[0:1], v[8:9], v[12:13]
	ds_read_b128 v[14:17], v52 offset:14592
	v_add_f64 v[18:19], v[4:5], v[18:19]
	v_mul_f64 v[4:5], v[6:7], v[12:13]
	v_fma_f64 v[0:1], v[6:7], v[10:11], -v[0:1]
	v_fma_f64 v[4:5], v[8:9], v[10:11], v[4:5]
	v_add_f64 v[0:1], v[24:25], v[0:1]
	s_waitcnt lgkmcnt(0)
	v_mul_f64 v[24:25], v[8:9], v[16:17]
	v_add_f64 v[4:5], v[4:5], v[32:33]
	v_fma_f64 v[24:25], v[6:7], v[14:15], -v[24:25]
	v_mul_f64 v[6:7], v[6:7], v[16:17]
	v_add_f64 v[34:35], v[56:57], v[24:25]
	v_fma_f64 v[6:7], v[8:9], v[14:15], v[6:7]
	v_add_f64 v[36:37], v[6:7], v[58:59]
	ds_read_b128 v[6:9], v50 offset:8640
	s_waitcnt lgkmcnt(0)
	v_mul_f64 v[24:25], v[8:9], v[12:13]
	v_mul_f64 v[12:13], v[6:7], v[12:13]
	v_fma_f64 v[24:25], v[6:7], v[10:11], -v[24:25]
	v_fma_f64 v[10:11], v[8:9], v[10:11], v[12:13]
	v_add_f64 v[20:21], v[20:21], v[24:25]
	v_add_f64 v[22:23], v[10:11], v[22:23]
	v_mul_f64 v[10:11], v[8:9], v[16:17]
	v_fma_f64 v[10:11], v[6:7], v[14:15], -v[10:11]
	v_mul_f64 v[6:7], v[6:7], v[16:17]
	v_add_f64 v[16:17], v[30:31], v[10:11]
	v_fma_f64 v[6:7], v[8:9], v[14:15], v[6:7]
	ds_read_b128 v[12:15], v50 offset:464
	ds_read_b128 v[8:11], v52 offset:14848
	s_waitcnt lgkmcnt(0)
	v_mul_f64 v[24:25], v[12:13], v[10:11]
	v_add_f64 v[18:19], v[6:7], v[18:19]
	v_mul_f64 v[6:7], v[14:15], v[10:11]
	v_fma_f64 v[30:31], v[14:15], v[8:9], v[24:25]
	v_fma_f64 v[6:7], v[12:13], v[8:9], -v[6:7]
	v_add_f64 v[32:33], v[30:31], v[4:5]
	v_add_f64 v[24:25], v[0:1], v[6:7]
	ds_read_b128 v[4:7], v52 offset:15104
	s_waitcnt lgkmcnt(0)
	v_mul_f64 v[0:1], v[14:15], v[6:7]
	v_fma_f64 v[0:1], v[12:13], v[4:5], -v[0:1]
	v_mul_f64 v[12:13], v[12:13], v[6:7]
	v_add_f64 v[56:57], v[34:35], v[0:1]
	v_fma_f64 v[12:13], v[14:15], v[4:5], v[12:13]
	v_add_f64 v[58:59], v[12:13], v[36:37]
	ds_read_b128 v[12:15], v50 offset:8656
	s_waitcnt lgkmcnt(0)
	v_mul_f64 v[0:1], v[14:15], v[10:11]
	v_mul_f64 v[10:11], v[12:13], v[10:11]
	v_fma_f64 v[0:1], v[12:13], v[8:9], -v[0:1]
	v_fma_f64 v[8:9], v[14:15], v[8:9], v[10:11]
	v_add_f64 v[20:21], v[20:21], v[0:1]
	v_mul_f64 v[0:1], v[14:15], v[6:7]
	v_mul_f64 v[6:7], v[12:13], v[6:7]
	v_add_f64 v[22:23], v[8:9], v[22:23]
	v_fma_f64 v[0:1], v[12:13], v[4:5], -v[0:1]
	v_fma_f64 v[4:5], v[14:15], v[4:5], v[6:7]
	ds_read_b128 v[6:9], v50 offset:480
	ds_read_b128 v[10:13], v52 offset:15360
	v_add_f64 v[30:31], v[16:17], v[0:1]
	s_waitcnt lgkmcnt(0)
	v_mul_f64 v[0:1], v[8:9], v[12:13]
	ds_read_b128 v[14:17], v52 offset:15616
	v_add_f64 v[18:19], v[4:5], v[18:19]
	v_mul_f64 v[4:5], v[6:7], v[12:13]
	v_fma_f64 v[0:1], v[6:7], v[10:11], -v[0:1]
	v_fma_f64 v[4:5], v[8:9], v[10:11], v[4:5]
	v_add_f64 v[0:1], v[24:25], v[0:1]
	s_waitcnt lgkmcnt(0)
	v_mul_f64 v[24:25], v[8:9], v[16:17]
	v_add_f64 v[4:5], v[4:5], v[32:33]
	v_fma_f64 v[24:25], v[6:7], v[14:15], -v[24:25]
	v_mul_f64 v[6:7], v[6:7], v[16:17]
	v_add_f64 v[24:25], v[56:57], v[24:25]
	v_fma_f64 v[6:7], v[8:9], v[14:15], v[6:7]
	v_add_f64 v[32:33], v[6:7], v[58:59]
	ds_read_b128 v[6:9], v50 offset:8672
	s_waitcnt lgkmcnt(0)
	v_mul_f64 v[34:35], v[8:9], v[12:13]
	v_mul_f64 v[12:13], v[6:7], v[12:13]
	v_fma_f64 v[34:35], v[6:7], v[10:11], -v[34:35]
	v_fma_f64 v[10:11], v[8:9], v[10:11], v[12:13]
	v_add_f64 v[60:61], v[20:21], v[34:35]
	v_add_f64 v[62:63], v[10:11], v[22:23]
	v_mul_f64 v[10:11], v[8:9], v[16:17]
	v_fma_f64 v[10:11], v[6:7], v[14:15], -v[10:11]
	v_mul_f64 v[6:7], v[6:7], v[16:17]
	v_add_f64 v[20:21], v[30:31], v[10:11]
	v_fma_f64 v[6:7], v[8:9], v[14:15], v[6:7]
	ds_read_b128 v[12:15], v50 offset:496
	ds_read_b128 v[8:11], v52 offset:15872
	s_waitcnt lgkmcnt(0)
	v_mul_f64 v[16:17], v[12:13], v[10:11]
	v_add_f64 v[22:23], v[6:7], v[18:19]
	v_mul_f64 v[6:7], v[14:15], v[10:11]
	v_fma_f64 v[16:17], v[14:15], v[8:9], v[16:17]
	v_fma_f64 v[6:7], v[12:13], v[8:9], -v[6:7]
	v_add_f64 v[58:59], v[16:17], v[4:5]
	v_add_f64 v[56:57], v[0:1], v[6:7]
	ds_read_b128 v[4:7], v52 offset:16128
	s_waitcnt lgkmcnt(0)
	v_mul_f64 v[0:1], v[14:15], v[6:7]
	v_fma_f64 v[0:1], v[12:13], v[4:5], -v[0:1]
	v_mul_f64 v[12:13], v[12:13], v[6:7]
	v_add_f64 v[16:17], v[24:25], v[0:1]
	v_fma_f64 v[12:13], v[14:15], v[4:5], v[12:13]
	v_add_f64 v[18:19], v[12:13], v[32:33]
	ds_read_b128 v[12:15], v50 offset:8688
	s_waitcnt lgkmcnt(0)
	s_barrier
	v_mul_f64 v[0:1], v[14:15], v[10:11]
	v_mul_f64 v[10:11], v[12:13], v[10:11]
	v_fma_f64 v[0:1], v[12:13], v[8:9], -v[0:1]
	v_fma_f64 v[8:9], v[14:15], v[8:9], v[10:11]
	v_add_f64 v[60:61], v[60:61], v[0:1]
	v_mul_f64 v[0:1], v[14:15], v[6:7]
	v_mul_f64 v[6:7], v[12:13], v[6:7]
	v_add_f64 v[62:63], v[8:9], v[62:63]
	v_fma_f64 v[0:1], v[12:13], v[4:5], -v[0:1]
	v_fma_f64 v[4:5], v[14:15], v[4:5], v[6:7]
	v_add_f64 v[14:15], v[20:21], v[0:1]
	v_add_f64 v[12:13], v[4:5], v[22:23]
	v_mov_b32_e32 v0, s35
	v_addc_co_u32_e64 v55, s[10:11], v55, v0, s[10:11]
	v_add_co_u32_e64 v42, s[10:11], s26, v42
	v_mov_b32_e32 v0, s27
	v_addc_co_u32_e64 v43, s[10:11], v43, v0, s[10:11]
	v_add_co_u32_e64 v44, s[10:11], s26, v44
	v_addc_co_u32_e64 v45, s[10:11], v45, v0, s[10:11]
	s_cbranch_scc1 .LBB127_56
.LBB127_7:                              ;   Parent Loop BB127_4 Depth=1
                                        ; =>  This Inner Loop Header: Depth=2
	v_mov_b32_e32 v0, s47
	v_add_co_u32_e64 v6, s[10:11], s46, v26
	v_addc_co_u32_e64 v7, s[10:11], v27, v0, s[10:11]
	buffer_load_dword v0, off, s[72:75], 0 offset:8 ; 4-byte Folded Reload
	buffer_load_dword v1, off, s[72:75], 0 offset:12 ; 4-byte Folded Reload
	buffer_load_dword v4, off, s[72:75], 0  ; 4-byte Folded Reload
	buffer_load_dword v5, off, s[72:75], 0 offset:4 ; 4-byte Folded Reload
	s_waitcnt vmcnt(2)
	v_cmp_eq_u64_e64 s[10:11], s[46:47], v[0:1]
	v_lshlrev_b64 v[0:1], 4, v[28:29]
	s_and_b64 s[60:61], s[22:23], s[10:11]
	v_add_co_u32_e64 v0, s[12:13], v42, v0
	v_addc_co_u32_e64 v1, s[12:13], v43, v1, s[12:13]
	s_waitcnt vmcnt(0)
	v_cmp_lt_i64_e64 s[10:11], v[6:7], v[4:5]
	v_cmp_le_i64_e64 s[12:13], s[54:55], v[6:7]
	s_or_b64 s[14:15], s[16:17], s[10:11]
	s_or_b64 s[14:15], s[12:13], s[14:15]
	s_nor_b64 s[14:15], s[14:15], s[60:61]
	s_and_saveexec_b64 s[18:19], s[14:15]
	s_xor_b64 s[14:15], exec, s[18:19]
	s_cbranch_execz .LBB127_9
; %bb.8:                                ;   in Loop: Header=BB127_7 Depth=2
	global_load_dwordx4 v[8:11], v[0:1], off offset:-256
	s_waitcnt vmcnt(0)
	ds_write2_b64 v51, v[8:9], v[10:11] offset1:1
.LBB127_9:                              ;   in Loop: Header=BB127_7 Depth=2
	s_or_saveexec_b64 s[14:15], s[14:15]
	s_xor_b64 s[50:51], s[60:61], -1
	s_xor_b64 exec, exec, s[14:15]
	s_cbranch_execz .LBB127_15
; %bb.10:                               ;   in Loop: Header=BB127_7 Depth=2
	s_and_saveexec_b64 s[18:19], s[50:51]
	s_xor_b64 s[18:19], exec, s[18:19]
; %bb.11:                               ;   in Loop: Header=BB127_7 Depth=2
	v_mov_b32_e32 v8, v2
	v_mov_b32_e32 v9, v2
	;; [unrolled: 1-line block ×4, first 2 shown]
	ds_write_b128 v51, v[8:11]
; %bb.12:                               ;   in Loop: Header=BB127_7 Depth=2
	s_andn2_saveexec_b64 s[18:19], s[18:19]
; %bb.13:                               ;   in Loop: Header=BB127_7 Depth=2
	v_mov_b32_e32 v4, v2
	v_mov_b32_e32 v5, v2
	ds_write_b128 v51, v[2:5]
; %bb.14:                               ;   in Loop: Header=BB127_7 Depth=2
	s_or_b64 exec, exec, s[18:19]
.LBB127_15:                             ;   in Loop: Header=BB127_7 Depth=2
	s_or_b64 exec, exec, s[14:15]
	buffer_load_dword v4, off, s[72:75], 0 offset:48 ; 4-byte Folded Reload
	buffer_load_dword v5, off, s[72:75], 0 offset:52 ; 4-byte Folded Reload
	buffer_load_dword v8, off, s[72:75], 0  ; 4-byte Folded Reload
	buffer_load_dword v9, off, s[72:75], 0 offset:4 ; 4-byte Folded Reload
	s_waitcnt vmcnt(2)
	v_cmp_eq_u64_e64 s[14:15], s[46:47], v[4:5]
	v_add_co_u32_e64 v4, s[18:19], 16, v6
	v_addc_co_u32_e64 v5, s[18:19], 0, v7, s[18:19]
	s_waitcnt vmcnt(0)
	v_cmp_lt_i64_e64 s[18:19], v[4:5], v[8:9]
	s_and_b64 s[20:21], s[22:23], s[14:15]
	v_cmp_le_i64_e64 s[14:15], s[54:55], v[4:5]
	s_or_b64 s[18:19], s[16:17], s[18:19]
	s_or_b64 s[18:19], s[14:15], s[18:19]
	s_nor_b64 s[18:19], s[18:19], s[20:21]
	s_and_saveexec_b64 s[62:63], s[18:19]
	s_xor_b64 s[62:63], exec, s[62:63]
	s_cbranch_execz .LBB127_17
; %bb.16:                               ;   in Loop: Header=BB127_7 Depth=2
	v_lshlrev_b64 v[4:5], 4, v[28:29]
	v_add_co_u32_e64 v4, s[18:19], v44, v4
	v_addc_co_u32_e64 v5, s[18:19], v45, v5, s[18:19]
	global_load_dwordx4 v[8:11], v[4:5], off
	v_add_u32_e32 v4, 0x100, v51
	s_waitcnt vmcnt(0)
	ds_write2_b64 v4, v[8:9], v[10:11] offset1:1
.LBB127_17:                             ;   in Loop: Header=BB127_7 Depth=2
	s_andn2_saveexec_b64 s[18:19], s[62:63]
	s_cbranch_execz .LBB127_23
; %bb.18:                               ;   in Loop: Header=BB127_7 Depth=2
	s_xor_b64 s[20:21], s[20:21], -1
	s_and_saveexec_b64 s[62:63], s[20:21]
	s_xor_b64 s[20:21], exec, s[62:63]
; %bb.19:                               ;   in Loop: Header=BB127_7 Depth=2
	v_mov_b32_e32 v8, v2
	v_mov_b32_e32 v9, v2
	;; [unrolled: 1-line block ×4, first 2 shown]
	ds_write_b128 v51, v[8:11] offset:256
; %bb.20:                               ;   in Loop: Header=BB127_7 Depth=2
	s_andn2_saveexec_b64 s[20:21], s[20:21]
; %bb.21:                               ;   in Loop: Header=BB127_7 Depth=2
	v_mov_b32_e32 v4, v2
	v_mov_b32_e32 v5, v2
	ds_write_b128 v51, v[2:5] offset:256
; %bb.22:                               ;   in Loop: Header=BB127_7 Depth=2
	s_or_b64 exec, exec, s[20:21]
.LBB127_23:                             ;   in Loop: Header=BB127_7 Depth=2
	s_or_b64 exec, exec, s[18:19]
	buffer_load_dword v4, off, s[72:75], 0 offset:40 ; 4-byte Folded Reload
	buffer_load_dword v5, off, s[72:75], 0 offset:44 ; 4-byte Folded Reload
	s_waitcnt vmcnt(0)
	v_cmp_eq_u64_e64 s[18:19], s[46:47], v[4:5]
	buffer_load_dword v4, off, s[72:75], 0 offset:32 ; 4-byte Folded Reload
	buffer_load_dword v5, off, s[72:75], 0 offset:36 ; 4-byte Folded Reload
	s_and_b64 s[18:19], s[22:23], s[18:19]
	s_waitcnt vmcnt(0)
	v_cmp_lt_i64_e64 s[20:21], v[6:7], v[4:5]
	s_or_b64 s[20:21], s[8:9], s[20:21]
	s_or_b64 s[20:21], s[20:21], s[18:19]
	s_nor_b64 s[12:13], s[12:13], s[20:21]
	s_and_saveexec_b64 s[20:21], s[12:13]
	s_xor_b64 s[12:13], exec, s[20:21]
	s_cbranch_execz .LBB127_25
; %bb.24:                               ;   in Loop: Header=BB127_7 Depth=2
	global_load_dwordx4 v[4:7], v[0:1], off
	v_add_u32_e32 v0, 0x2000, v51
	s_waitcnt vmcnt(0)
	ds_write2_b64 v0, v[4:5], v[6:7] offset1:1
.LBB127_25:                             ;   in Loop: Header=BB127_7 Depth=2
	s_andn2_saveexec_b64 s[12:13], s[12:13]
	s_cbranch_execz .LBB127_31
; %bb.26:                               ;   in Loop: Header=BB127_7 Depth=2
	s_xor_b64 s[18:19], s[18:19], -1
	s_and_saveexec_b64 s[20:21], s[18:19]
	s_xor_b64 s[18:19], exec, s[20:21]
; %bb.27:                               ;   in Loop: Header=BB127_7 Depth=2
	v_mov_b32_e32 v4, v2
	v_mov_b32_e32 v5, v2
	;; [unrolled: 1-line block ×4, first 2 shown]
	ds_write_b128 v51, v[4:7] offset:8192
; %bb.28:                               ;   in Loop: Header=BB127_7 Depth=2
	s_andn2_saveexec_b64 s[18:19], s[18:19]
; %bb.29:                               ;   in Loop: Header=BB127_7 Depth=2
	v_mov_b32_e32 v4, v2
	v_mov_b32_e32 v5, v2
	ds_write_b128 v51, v[2:5] offset:8192
; %bb.30:                               ;   in Loop: Header=BB127_7 Depth=2
	s_or_b64 exec, exec, s[18:19]
.LBB127_31:                             ;   in Loop: Header=BB127_7 Depth=2
	s_or_b64 exec, exec, s[12:13]
	s_or_b64 s[10:11], s[8:9], s[10:11]
	s_or_b64 s[10:11], s[14:15], s[10:11]
	s_nor_b64 s[10:11], s[10:11], s[60:61]
	s_and_saveexec_b64 s[12:13], s[10:11]
	s_xor_b64 s[12:13], exec, s[12:13]
	s_cbranch_execz .LBB127_33
; %bb.32:                               ;   in Loop: Header=BB127_7 Depth=2
	v_lshlrev_b64 v[0:1], 4, v[28:29]
	v_add_co_u32_e64 v0, s[10:11], v44, v0
	v_addc_co_u32_e64 v1, s[10:11], v45, v1, s[10:11]
	global_load_dwordx4 v[4:7], v[0:1], off offset:256
	v_add_u32_e32 v0, 0x2100, v51
	s_waitcnt vmcnt(0)
	ds_write2_b64 v0, v[4:5], v[6:7] offset1:1
.LBB127_33:                             ;   in Loop: Header=BB127_7 Depth=2
	s_andn2_saveexec_b64 s[10:11], s[12:13]
	s_cbranch_execz .LBB127_39
; %bb.34:                               ;   in Loop: Header=BB127_7 Depth=2
	s_and_saveexec_b64 s[12:13], s[50:51]
	s_xor_b64 s[12:13], exec, s[12:13]
; %bb.35:                               ;   in Loop: Header=BB127_7 Depth=2
	v_mov_b32_e32 v4, v2
	v_mov_b32_e32 v5, v2
	;; [unrolled: 1-line block ×4, first 2 shown]
	ds_write_b128 v51, v[4:7] offset:8448
; %bb.36:                               ;   in Loop: Header=BB127_7 Depth=2
	s_andn2_saveexec_b64 s[12:13], s[12:13]
; %bb.37:                               ;   in Loop: Header=BB127_7 Depth=2
	v_mov_b32_e32 v4, v2
	v_mov_b32_e32 v5, v2
	ds_write_b128 v51, v[2:5] offset:8448
; %bb.38:                               ;   in Loop: Header=BB127_7 Depth=2
	s_or_b64 exec, exec, s[12:13]
.LBB127_39:                             ;   in Loop: Header=BB127_7 Depth=2
	s_or_b64 exec, exec, s[10:11]
	buffer_load_dword v4, off, s[72:75], 0 offset:16 ; 4-byte Folded Reload
	buffer_load_dword v5, off, s[72:75], 0 offset:20 ; 4-byte Folded Reload
	v_mov_b32_e32 v1, s47
	v_add_co_u32_e64 v0, s[10:11], s46, v28
	v_addc_co_u32_e64 v1, s[10:11], v29, v1, s[10:11]
	v_cmp_le_i64_e64 s[10:11], s[54:55], v[0:1]
	s_waitcnt vmcnt(1)
	v_add_co_u32_e64 v4, s[12:13], v4, v54
	s_waitcnt vmcnt(0)
	v_addc_co_u32_e64 v5, s[12:13], v5, v55, s[12:13]
	s_nor_b64 s[12:13], s[10:11], vcc
	s_and_saveexec_b64 s[14:15], s[12:13]
	s_xor_b64 s[12:13], exec, s[14:15]
	s_cbranch_execz .LBB127_41
; %bb.40:                               ;   in Loop: Header=BB127_7 Depth=2
	global_load_dwordx4 v[6:9], v[4:5], off offset:-256
	s_waitcnt vmcnt(0)
	ds_write2_b64 v53, v[6:7], v[8:9] offset1:1
.LBB127_41:                             ;   in Loop: Header=BB127_7 Depth=2
	s_andn2_saveexec_b64 s[12:13], s[12:13]
; %bb.42:                               ;   in Loop: Header=BB127_7 Depth=2
	v_mov_b32_e32 v6, v2
	v_mov_b32_e32 v7, v2
	;; [unrolled: 1-line block ×4, first 2 shown]
	ds_write_b128 v53, v[6:9]
; %bb.43:                               ;   in Loop: Header=BB127_7 Depth=2
	s_or_b64 exec, exec, s[12:13]
	s_nor_b64 s[10:11], s[10:11], s[0:1]
	s_and_saveexec_b64 s[12:13], s[10:11]
	s_xor_b64 s[10:11], exec, s[12:13]
	s_cbranch_execz .LBB127_45
; %bb.44:                               ;   in Loop: Header=BB127_7 Depth=2
	global_load_dwordx4 v[4:7], v[4:5], off
	v_add_u32_e32 v8, 0x100, v53
	s_waitcnt vmcnt(0)
	ds_write2_b64 v8, v[4:5], v[6:7] offset1:1
.LBB127_45:                             ;   in Loop: Header=BB127_7 Depth=2
	s_andn2_saveexec_b64 s[10:11], s[10:11]
; %bb.46:                               ;   in Loop: Header=BB127_7 Depth=2
	v_mov_b32_e32 v4, v2
	v_mov_b32_e32 v5, v2
	;; [unrolled: 1-line block ×4, first 2 shown]
	ds_write_b128 v53, v[4:7] offset:256
; %bb.47:                               ;   in Loop: Header=BB127_7 Depth=2
	s_or_b64 exec, exec, s[10:11]
	v_cmp_le_i64_e64 s[10:11], s[56:57], v[0:1]
	buffer_load_dword v0, off, s[72:75], 0 offset:24 ; 4-byte Folded Reload
	buffer_load_dword v1, off, s[72:75], 0 offset:28 ; 4-byte Folded Reload
	s_waitcnt vmcnt(1)
	v_add_co_u32_e64 v0, s[12:13], v0, v54
	s_waitcnt vmcnt(0)
	v_addc_co_u32_e64 v1, s[12:13], v1, v55, s[12:13]
	s_nor_b64 s[12:13], s[10:11], vcc
	s_and_saveexec_b64 s[14:15], s[12:13]
	s_xor_b64 s[12:13], exec, s[14:15]
	s_cbranch_execz .LBB127_49
; %bb.48:                               ;   in Loop: Header=BB127_7 Depth=2
	global_load_dwordx4 v[4:7], v[0:1], off
	v_add_u32_e32 v8, 0x2000, v53
	s_waitcnt vmcnt(0)
	ds_write2_b64 v8, v[4:5], v[6:7] offset1:1
.LBB127_49:                             ;   in Loop: Header=BB127_7 Depth=2
	s_andn2_saveexec_b64 s[12:13], s[12:13]
; %bb.50:                               ;   in Loop: Header=BB127_7 Depth=2
	v_mov_b32_e32 v4, v2
	v_mov_b32_e32 v5, v2
	;; [unrolled: 1-line block ×4, first 2 shown]
	ds_write_b128 v53, v[4:7] offset:8192
; %bb.51:                               ;   in Loop: Header=BB127_7 Depth=2
	s_or_b64 exec, exec, s[12:13]
	s_nor_b64 s[10:11], s[10:11], s[0:1]
	s_and_saveexec_b64 s[12:13], s[10:11]
	s_xor_b64 s[10:11], exec, s[12:13]
	s_cbranch_execz .LBB127_53
; %bb.52:                               ;   in Loop: Header=BB127_7 Depth=2
	global_load_dwordx4 v[4:7], v[0:1], off offset:256
	v_add_u32_e32 v0, 0x2100, v53
	s_waitcnt vmcnt(0)
	ds_write2_b64 v0, v[4:5], v[6:7] offset1:1
.LBB127_53:                             ;   in Loop: Header=BB127_7 Depth=2
	s_andn2_saveexec_b64 s[10:11], s[10:11]
	s_cbranch_execz .LBB127_6
; %bb.54:                               ;   in Loop: Header=BB127_7 Depth=2
	v_mov_b32_e32 v4, v2
	v_mov_b32_e32 v5, v2
	;; [unrolled: 1-line block ×4, first 2 shown]
	ds_write_b128 v53, v[4:7] offset:8448
	s_branch .LBB127_6
.LBB127_55:                             ;   in Loop: Header=BB127_4 Depth=1
	v_mov_b32_e32 v56, 0
	v_mov_b32_e32 v58, 0
	;; [unrolled: 1-line block ×16, first 2 shown]
.LBB127_56:                             ;   in Loop: Header=BB127_4 Depth=1
	buffer_load_dword v6, off, s[72:75], 0  ; 4-byte Folded Reload
	buffer_load_dword v7, off, s[72:75], 0 offset:4 ; 4-byte Folded Reload
	s_waitcnt vmcnt(1)
	v_mul_lo_u32 v4, s25, v6
	s_waitcnt vmcnt(0)
	v_mul_lo_u32 v5, s24, v7
	v_mad_u64_u32 v[0:1], s[8:9], s24, v6, 0
	v_cmp_gt_i32_e64 s[8:9], s54, v6
	v_add3_u32 v1, v1, v5, v4
	v_lshlrev_b64 v[0:1], 4, v[0:1]
	v_mov_b32_e32 v4, s65
	v_add_co_u32_e64 v0, s[10:11], s64, v0
	v_addc_co_u32_e64 v1, s[10:11], v4, v1, s[10:11]
	s_and_b64 s[10:11], s[2:3], s[8:9]
	s_and_saveexec_b64 s[12:13], s[10:11]
	s_cbranch_execz .LBB127_58
; %bb.57:                               ;   in Loop: Header=BB127_4 Depth=1
	buffer_load_dword v4, off, s[72:75], 0 offset:68 ; 4-byte Folded Reload
	buffer_load_dword v5, off, s[72:75], 0 offset:72 ; 4-byte Folded Reload
	v_mul_f64 v[10:11], s[30:31], v[58:59]
	v_mul_f64 v[20:21], s[28:29], v[58:59]
	v_fma_f64 v[10:11], s[28:29], v[56:57], -v[10:11]
	v_fma_f64 v[20:21], s[30:31], v[56:57], v[20:21]
	s_waitcnt vmcnt(1)
	v_add_co_u32_e64 v8, s[10:11], v0, v4
	s_waitcnt vmcnt(0)
	v_addc_co_u32_e64 v9, s[10:11], v1, v5, s[10:11]
	global_load_dwordx4 v[4:7], v[8:9], off
	s_waitcnt vmcnt(0)
	v_add_f64 v[4:5], v[4:5], v[10:11]
	v_add_f64 v[6:7], v[20:21], v[6:7]
	global_store_dwordx4 v[8:9], v[4:7], off
.LBB127_58:                             ;   in Loop: Header=BB127_4 Depth=1
	s_or_b64 exec, exec, s[12:13]
	s_and_b64 s[8:9], s[4:5], s[8:9]
	s_and_saveexec_b64 s[10:11], s[8:9]
	s_cbranch_execz .LBB127_60
; %bb.59:                               ;   in Loop: Header=BB127_4 Depth=1
	buffer_load_dword v4, off, s[72:75], 0 offset:60 ; 4-byte Folded Reload
	buffer_load_dword v5, off, s[72:75], 0 offset:64 ; 4-byte Folded Reload
	v_mul_f64 v[8:9], s[30:31], v[18:19]
	v_mul_f64 v[10:11], s[28:29], v[18:19]
	v_fma_f64 v[8:9], s[28:29], v[16:17], -v[8:9]
	v_fma_f64 v[10:11], s[30:31], v[16:17], v[10:11]
	s_waitcnt vmcnt(0)
	v_lshlrev_b64 v[4:5], 4, v[4:5]
	v_add_co_u32_e64 v0, s[8:9], v0, v4
	v_addc_co_u32_e64 v1, s[8:9], v1, v5, s[8:9]
	global_load_dwordx4 v[4:7], v[0:1], off
	s_waitcnt vmcnt(0)
	v_add_f64 v[4:5], v[4:5], v[8:9]
	v_add_f64 v[6:7], v[10:11], v[6:7]
	global_store_dwordx4 v[0:1], v[4:7], off
.LBB127_60:                             ;   in Loop: Header=BB127_4 Depth=1
	s_or_b64 exec, exec, s[10:11]
	buffer_load_dword v0, off, s[72:75], 0  ; 4-byte Folded Reload
	buffer_load_dword v1, off, s[72:75], 0 offset:4 ; 4-byte Folded Reload
	s_waitcnt vmcnt(1)
	v_add_u32_e32 v4, 16, v0
	v_ashrrev_i32_e32 v0, 31, v4
	v_mul_lo_u32 v5, s24, v0
	v_mul_lo_u32 v6, s25, v4
	s_waitcnt vmcnt(0)
	v_mad_u64_u32 v[0:1], s[8:9], s24, v4, 0
	v_cmp_gt_i32_e64 s[8:9], s54, v4
	v_mov_b32_e32 v4, s65
	v_add3_u32 v1, v1, v5, v6
	v_lshlrev_b64 v[0:1], 4, v[0:1]
	v_add_co_u32_e64 v0, s[10:11], s64, v0
	v_addc_co_u32_e64 v1, s[10:11], v4, v1, s[10:11]
	s_and_b64 s[10:11], s[2:3], s[8:9]
	s_and_saveexec_b64 s[12:13], s[10:11]
	s_cbranch_execz .LBB127_62
; %bb.61:                               ;   in Loop: Header=BB127_4 Depth=1
	buffer_load_dword v4, off, s[72:75], 0 offset:68 ; 4-byte Folded Reload
	buffer_load_dword v5, off, s[72:75], 0 offset:72 ; 4-byte Folded Reload
	v_mul_f64 v[10:11], s[30:31], v[62:63]
	v_mul_f64 v[16:17], s[28:29], v[62:63]
	v_fma_f64 v[10:11], s[28:29], v[60:61], -v[10:11]
	v_fma_f64 v[16:17], s[30:31], v[60:61], v[16:17]
	s_waitcnt vmcnt(1)
	v_add_co_u32_e64 v8, s[10:11], v0, v4
	s_waitcnt vmcnt(0)
	v_addc_co_u32_e64 v9, s[10:11], v1, v5, s[10:11]
	global_load_dwordx4 v[4:7], v[8:9], off
	s_waitcnt vmcnt(0)
	v_add_f64 v[4:5], v[4:5], v[10:11]
	v_add_f64 v[6:7], v[16:17], v[6:7]
	global_store_dwordx4 v[8:9], v[4:7], off
.LBB127_62:                             ;   in Loop: Header=BB127_4 Depth=1
	s_or_b64 exec, exec, s[12:13]
	s_and_b64 s[8:9], s[4:5], s[8:9]
	s_and_saveexec_b64 s[10:11], s[8:9]
	s_cbranch_execz .LBB127_3
; %bb.63:                               ;   in Loop: Header=BB127_4 Depth=1
	buffer_load_dword v4, off, s[72:75], 0 offset:60 ; 4-byte Folded Reload
	buffer_load_dword v5, off, s[72:75], 0 offset:64 ; 4-byte Folded Reload
	v_mul_f64 v[8:9], s[30:31], v[12:13]
	v_mul_f64 v[10:11], s[28:29], v[12:13]
	v_fma_f64 v[8:9], s[28:29], v[14:15], -v[8:9]
	v_fma_f64 v[10:11], s[30:31], v[14:15], v[10:11]
	s_waitcnt vmcnt(0)
	v_lshlrev_b64 v[4:5], 4, v[4:5]
	v_add_co_u32_e64 v0, s[8:9], v0, v4
	v_addc_co_u32_e64 v1, s[8:9], v1, v5, s[8:9]
	global_load_dwordx4 v[4:7], v[0:1], off
	s_waitcnt vmcnt(0)
	v_add_f64 v[4:5], v[4:5], v[8:9]
	v_add_f64 v[6:7], v[10:11], v[6:7]
	global_store_dwordx4 v[0:1], v[4:7], off
	s_branch .LBB127_3
.LBB127_64:
	s_endpgm
	.section	.rodata,"a",@progbits
	.p2align	6, 0x0
	.amdhsa_kernel _ZL30rocblas_trmm_outofplace_kernelI19rocblas_complex_numIdELi32ELi2ELb0ELb1ELb1ELb0ES1_KS1_S1_Ev17rocblas_diagonal_iiT6_lPT7_lllS6_lllPT8_llli
		.amdhsa_group_segment_fixed_size 32768
		.amdhsa_private_segment_fixed_size 88
		.amdhsa_kernarg_size 400
		.amdhsa_user_sgpr_count 6
		.amdhsa_user_sgpr_private_segment_buffer 1
		.amdhsa_user_sgpr_dispatch_ptr 0
		.amdhsa_user_sgpr_queue_ptr 0
		.amdhsa_user_sgpr_kernarg_segment_ptr 1
		.amdhsa_user_sgpr_dispatch_id 0
		.amdhsa_user_sgpr_flat_scratch_init 0
		.amdhsa_user_sgpr_private_segment_size 0
		.amdhsa_uses_dynamic_stack 0
		.amdhsa_system_sgpr_private_segment_wavefront_offset 1
		.amdhsa_system_sgpr_workgroup_id_x 1
		.amdhsa_system_sgpr_workgroup_id_y 1
		.amdhsa_system_sgpr_workgroup_id_z 1
		.amdhsa_system_sgpr_workgroup_info 0
		.amdhsa_system_vgpr_workitem_id 1
		.amdhsa_next_free_vgpr 64
		.amdhsa_next_free_sgpr 76
		.amdhsa_reserve_vcc 1
		.amdhsa_reserve_flat_scratch 0
		.amdhsa_float_round_mode_32 0
		.amdhsa_float_round_mode_16_64 0
		.amdhsa_float_denorm_mode_32 3
		.amdhsa_float_denorm_mode_16_64 3
		.amdhsa_dx10_clamp 1
		.amdhsa_ieee_mode 1
		.amdhsa_fp16_overflow 0
		.amdhsa_exception_fp_ieee_invalid_op 0
		.amdhsa_exception_fp_denorm_src 0
		.amdhsa_exception_fp_ieee_div_zero 0
		.amdhsa_exception_fp_ieee_overflow 0
		.amdhsa_exception_fp_ieee_underflow 0
		.amdhsa_exception_fp_ieee_inexact 0
		.amdhsa_exception_int_div_zero 0
	.end_amdhsa_kernel
	.section	.text._ZL30rocblas_trmm_outofplace_kernelI19rocblas_complex_numIdELi32ELi2ELb0ELb1ELb1ELb0ES1_KS1_S1_Ev17rocblas_diagonal_iiT6_lPT7_lllS6_lllPT8_llli,"axG",@progbits,_ZL30rocblas_trmm_outofplace_kernelI19rocblas_complex_numIdELi32ELi2ELb0ELb1ELb1ELb0ES1_KS1_S1_Ev17rocblas_diagonal_iiT6_lPT7_lllS6_lllPT8_llli,comdat
.Lfunc_end127:
	.size	_ZL30rocblas_trmm_outofplace_kernelI19rocblas_complex_numIdELi32ELi2ELb0ELb1ELb1ELb0ES1_KS1_S1_Ev17rocblas_diagonal_iiT6_lPT7_lllS6_lllPT8_llli, .Lfunc_end127-_ZL30rocblas_trmm_outofplace_kernelI19rocblas_complex_numIdELi32ELi2ELb0ELb1ELb1ELb0ES1_KS1_S1_Ev17rocblas_diagonal_iiT6_lPT7_lllS6_lllPT8_llli
                                        ; -- End function
	.set _ZL30rocblas_trmm_outofplace_kernelI19rocblas_complex_numIdELi32ELi2ELb0ELb1ELb1ELb0ES1_KS1_S1_Ev17rocblas_diagonal_iiT6_lPT7_lllS6_lllPT8_llli.num_vgpr, 64
	.set _ZL30rocblas_trmm_outofplace_kernelI19rocblas_complex_numIdELi32ELi2ELb0ELb1ELb1ELb0ES1_KS1_S1_Ev17rocblas_diagonal_iiT6_lPT7_lllS6_lllPT8_llli.num_agpr, 0
	.set _ZL30rocblas_trmm_outofplace_kernelI19rocblas_complex_numIdELi32ELi2ELb0ELb1ELb1ELb0ES1_KS1_S1_Ev17rocblas_diagonal_iiT6_lPT7_lllS6_lllPT8_llli.numbered_sgpr, 76
	.set _ZL30rocblas_trmm_outofplace_kernelI19rocblas_complex_numIdELi32ELi2ELb0ELb1ELb1ELb0ES1_KS1_S1_Ev17rocblas_diagonal_iiT6_lPT7_lllS6_lllPT8_llli.num_named_barrier, 0
	.set _ZL30rocblas_trmm_outofplace_kernelI19rocblas_complex_numIdELi32ELi2ELb0ELb1ELb1ELb0ES1_KS1_S1_Ev17rocblas_diagonal_iiT6_lPT7_lllS6_lllPT8_llli.private_seg_size, 88
	.set _ZL30rocblas_trmm_outofplace_kernelI19rocblas_complex_numIdELi32ELi2ELb0ELb1ELb1ELb0ES1_KS1_S1_Ev17rocblas_diagonal_iiT6_lPT7_lllS6_lllPT8_llli.uses_vcc, 1
	.set _ZL30rocblas_trmm_outofplace_kernelI19rocblas_complex_numIdELi32ELi2ELb0ELb1ELb1ELb0ES1_KS1_S1_Ev17rocblas_diagonal_iiT6_lPT7_lllS6_lllPT8_llli.uses_flat_scratch, 0
	.set _ZL30rocblas_trmm_outofplace_kernelI19rocblas_complex_numIdELi32ELi2ELb0ELb1ELb1ELb0ES1_KS1_S1_Ev17rocblas_diagonal_iiT6_lPT7_lllS6_lllPT8_llli.has_dyn_sized_stack, 0
	.set _ZL30rocblas_trmm_outofplace_kernelI19rocblas_complex_numIdELi32ELi2ELb0ELb1ELb1ELb0ES1_KS1_S1_Ev17rocblas_diagonal_iiT6_lPT7_lllS6_lllPT8_llli.has_recursion, 0
	.set _ZL30rocblas_trmm_outofplace_kernelI19rocblas_complex_numIdELi32ELi2ELb0ELb1ELb1ELb0ES1_KS1_S1_Ev17rocblas_diagonal_iiT6_lPT7_lllS6_lllPT8_llli.has_indirect_call, 0
	.section	.AMDGPU.csdata,"",@progbits
; Kernel info:
; codeLenInByte = 10716
; TotalNumSgprs: 80
; NumVgprs: 64
; ScratchSize: 88
; MemoryBound: 0
; FloatMode: 240
; IeeeMode: 1
; LDSByteSize: 32768 bytes/workgroup (compile time only)
; SGPRBlocks: 9
; VGPRBlocks: 15
; NumSGPRsForWavesPerEU: 80
; NumVGPRsForWavesPerEU: 64
; Occupancy: 4
; WaveLimiterHint : 0
; COMPUTE_PGM_RSRC2:SCRATCH_EN: 1
; COMPUTE_PGM_RSRC2:USER_SGPR: 6
; COMPUTE_PGM_RSRC2:TRAP_HANDLER: 0
; COMPUTE_PGM_RSRC2:TGID_X_EN: 1
; COMPUTE_PGM_RSRC2:TGID_Y_EN: 1
; COMPUTE_PGM_RSRC2:TGID_Z_EN: 1
; COMPUTE_PGM_RSRC2:TIDIG_COMP_CNT: 1
	.section	.text._ZL30rocblas_trmm_outofplace_kernelI19rocblas_complex_numIdELi32ELi2ELb0ELb0ELb1ELb1EPKS1_S2_S1_Ev17rocblas_diagonal_iiT6_lPT7_lllS7_lllPT8_llli,"axG",@progbits,_ZL30rocblas_trmm_outofplace_kernelI19rocblas_complex_numIdELi32ELi2ELb0ELb0ELb1ELb1EPKS1_S2_S1_Ev17rocblas_diagonal_iiT6_lPT7_lllS7_lllPT8_llli,comdat
	.globl	_ZL30rocblas_trmm_outofplace_kernelI19rocblas_complex_numIdELi32ELi2ELb0ELb0ELb1ELb1EPKS1_S2_S1_Ev17rocblas_diagonal_iiT6_lPT7_lllS7_lllPT8_llli ; -- Begin function _ZL30rocblas_trmm_outofplace_kernelI19rocblas_complex_numIdELi32ELi2ELb0ELb0ELb1ELb1EPKS1_S2_S1_Ev17rocblas_diagonal_iiT6_lPT7_lllS7_lllPT8_llli
	.p2align	8
	.type	_ZL30rocblas_trmm_outofplace_kernelI19rocblas_complex_numIdELi32ELi2ELb0ELb0ELb1ELb1EPKS1_S2_S1_Ev17rocblas_diagonal_iiT6_lPT7_lllS7_lllPT8_llli,@function
_ZL30rocblas_trmm_outofplace_kernelI19rocblas_complex_numIdELi32ELi2ELb0ELb0ELb1ELb1EPKS1_S2_S1_Ev17rocblas_diagonal_iiT6_lPT7_lllS7_lllPT8_llli: ; @_ZL30rocblas_trmm_outofplace_kernelI19rocblas_complex_numIdELi32ELi2ELb0ELb0ELb1ELb1EPKS1_S2_S1_Ev17rocblas_diagonal_iiT6_lPT7_lllS7_lllPT8_llli
; %bb.0:
	s_load_dwordx16 s[12:27], s[4:5], 0x10
	s_mov_b64 s[58:59], s[2:3]
	s_mov_b64 s[56:57], s[0:1]
	s_add_u32 s56, s56, s9
	s_addc_u32 s57, s57, 0
	s_waitcnt lgkmcnt(0)
	s_mul_i32 s0, s15, s8
	s_mul_hi_u32 s1, s14, s8
	s_add_i32 s1, s1, s0
	s_mul_i32 s0, s14, s8
	s_lshl_b64 s[0:1], s[0:1], 4
	s_add_u32 s0, s12, s0
	buffer_store_dword v1, off, s[56:59], 0 ; 4-byte Folded Spill
	buffer_store_dword v0, off, s[56:59], 0 offset:36 ; 4-byte Folded Spill
	s_addc_u32 s1, s13, s1
	s_load_dwordx4 s[28:31], s[0:1], 0x0
	s_waitcnt lgkmcnt(0)
	v_cmp_eq_f64_e64 s[0:1], s[28:29], 0
	v_cmp_eq_f64_e64 s[2:3], s[30:31], 0
	s_and_b64 s[0:1], s[0:1], s[2:3]
	s_and_b64 vcc, exec, s[0:1]
	s_cbranch_vccnz .LBB128_63
; %bb.1:
	s_load_dwordx4 s[44:47], s[4:5], 0x0
	s_waitcnt lgkmcnt(0)
	s_add_i32 s0, s46, -1
	s_ashr_i32 s1, s0, 31
	s_lshr_b32 s1, s1, 27
	s_add_i32 s0, s0, s1
	s_ashr_i32 s33, s0, 5
	s_cmp_gt_i32 s7, s33
	s_cbranch_scc1 .LBB128_63
; %bb.2:
	s_load_dwordx8 s[36:43], s[4:5], 0x50
	s_load_dwordx4 s[48:51], s[4:5], 0x70
	buffer_load_dword v10, off, s[56:59], 0 offset:36 ; 4-byte Folded Reload
	s_mul_i32 s0, s23, s8
	s_mul_hi_u32 s1, s22, s8
	s_add_i32 s1, s1, s0
	s_mul_i32 s0, s22, s8
	s_lshl_b64 s[2:3], s[0:1], 4
	s_add_u32 s0, s16, s2
	s_addc_u32 s1, s17, s3
	s_lshl_b64 s[10:11], s[18:19], 4
	s_add_u32 s9, s0, s10
	s_addc_u32 s12, s1, s11
	s_waitcnt lgkmcnt(0)
	s_mul_i32 s0, s51, s8
	s_mul_hi_u32 s1, s50, s8
	s_add_i32 s1, s1, s0
	s_mul_i32 s0, s50, s8
	s_lshl_b64 s[0:1], s[0:1], 4
	s_load_dword s52, s[4:5], 0x8c
	s_add_u32 s4, s40, s0
	s_addc_u32 s5, s41, s1
	v_mov_b32_e32 v5, s12
	v_mov_b32_e32 v8, 0x100
	s_movk_i32 s12, 0x100
	s_waitcnt vmcnt(0)
	v_mad_u64_u32 v[0:1], s[0:1], s20, v10, 0
	s_lshl_b64 s[0:1], s[42:43], 4
	s_add_u32 s50, s4, s0
	s_addc_u32 s51, s5, s1
	v_mad_u64_u32 v[1:2], s[0:1], s21, v10, v[1:2]
	s_cmpk_eq_i32 s44, 0x84
	s_cselect_b64 s[22:23], -1, 0
	v_lshlrev_b64 v[0:1], 4, v[0:1]
	s_ashr_i32 s0, s45, 31
	v_add_co_u32_e32 v0, vcc, s9, v0
	v_addc_co_u32_e32 v1, vcc, v5, v1, vcc
	buffer_store_dword v0, off, s[56:59], 0 offset:84 ; 4-byte Folded Spill
	s_nop 0
	buffer_store_dword v1, off, s[56:59], 0 offset:88 ; 4-byte Folded Spill
	buffer_load_dword v9, off, s[56:59], 0  ; 4-byte Folded Reload
	v_mov_b32_e32 v1, s0
	v_lshl_add_u32 v3, s6, 5, v10
	v_ashrrev_i32_e32 v4, 31, v3
	v_sub_co_u32_e32 v0, vcc, s45, v3
	v_subb_co_u32_e32 v1, vcc, v1, v4, vcc
	v_cmp_gt_i64_e32 vcc, 1, v[0:1]
	s_ashr_i32 s47, s46, 31
	s_lshl_b64 s[34:35], s[20:21], 9
	s_lshl_b64 s[40:41], s[36:37], 9
	s_add_u32 s42, s46, -16
	s_addc_u32 s43, s47, -1
	s_waitcnt lgkmcnt(0)
	s_lshl_b32 s6, s52, 5
	v_lshlrev_b64 v[11:12], 4, v[3:4]
	v_lshlrev_b32_e32 v7, 4, v10
	v_or_b32_e32 v38, 0x4000, v7
	v_mov_b32_e32 v2, 0
	s_waitcnt vmcnt(0)
	v_mad_u64_u32 v[5:6], s[0:1], s36, v9, 0
	v_cmp_gt_i64_e64 s[0:1], 17, v[0:1]
	v_lshlrev_b32_e32 v63, 9, v9
	v_mov_b32_e32 v0, v6
	v_mad_u64_u32 v[0:1], s[4:5], s37, v9, v[0:1]
	s_mul_i32 s4, s39, s8
	s_mul_hi_u32 s5, s38, s8
	s_add_i32 s5, s5, s4
	s_mul_i32 s4, s38, s8
	s_lshl_b64 s[4:5], s[4:5], 4
	s_lshl_b64 s[8:9], s[26:27], 4
	s_add_u32 s4, s4, s8
	s_addc_u32 s5, s5, s9
	s_add_u32 s4, s24, s4
	s_addc_u32 s5, s25, s5
	v_mov_b32_e32 v4, s5
	s_add_u32 s5, s16, s10
	s_addc_u32 s8, s17, s11
	s_add_u32 s2, s5, s2
	v_mov_b32_e32 v6, v0
	s_addc_u32 s3, s8, s3
	v_mov_b32_e32 v0, s2
	v_add_u32_e32 v37, v63, v7
	v_add_u32_e32 v7, 0x100, v7
	v_mov_b32_e32 v1, s3
	v_mad_u64_u32 v[13:14], s[2:3], s20, v7, v[0:1]
	v_lshl_add_u32 v8, v9, 4, v8
	v_mad_u64_u32 v[15:16], s[2:3], s36, v8, 0
	v_mov_b32_e32 v0, v14
	v_mad_u64_u32 v[0:1], s[2:3], s21, v7, v[0:1]
	v_add_co_u32_e64 v7, s[2:3], s4, v11
	v_mov_b32_e32 v14, v0
	v_mov_b32_e32 v0, v15
	buffer_store_dword v11, off, s[56:59], 0 offset:68 ; 4-byte Folded Spill
	s_nop 0
	buffer_store_dword v12, off, s[56:59], 0 offset:72 ; 4-byte Folded Spill
	buffer_store_dword v13, off, s[56:59], 0 offset:92 ; 4-byte Folded Spill
	s_nop 0
	buffer_store_dword v14, off, s[56:59], 0 offset:96 ; 4-byte Folded Spill
	;; [unrolled: 3-line block ×3, first 2 shown]
	v_mov_b32_e32 v0, v16
	v_add_u32_e32 v30, v38, v63
	v_lshl_add_u32 v20, s7, 5, v9
	v_addc_co_u32_e64 v4, s[2:3], v4, v12, s[2:3]
	v_mad_u64_u32 v[0:1], s[2:3], s37, v8, v[0:1]
	v_add_co_u32_e64 v7, s[2:3], s12, v7
	v_addc_co_u32_e64 v8, s[2:3], 0, v4, s[2:3]
	buffer_store_dword v7, off, s[56:59], 0 offset:100 ; 4-byte Folded Spill
	s_nop 0
	buffer_store_dword v8, off, s[56:59], 0 offset:104 ; 4-byte Folded Spill
	buffer_store_dword v0, off, s[56:59], 0 offset:48 ; 4-byte Folded Spill
	v_add_u32_e32 v0, 16, v3
	v_ashrrev_i32_e32 v1, 31, v0
	v_cmp_gt_i32_e64 s[2:3], s45, v3
	v_cmp_gt_i32_e64 s[4:5], s45, v0
	v_lshlrev_b64 v[3:4], 4, v[5:6]
	v_lshlrev_b64 v[0:1], 4, v[0:1]
	buffer_store_dword v3, off, s[56:59], 0 offset:52 ; 4-byte Folded Spill
	s_nop 0
	buffer_store_dword v4, off, s[56:59], 0 offset:56 ; 4-byte Folded Spill
	buffer_store_dword v0, off, s[56:59], 0 offset:76 ; 4-byte Folded Spill
	s_nop 0
	buffer_store_dword v1, off, s[56:59], 0 offset:80 ; 4-byte Folded Spill
	v_sub_co_u32_e64 v0, s[8:9], 0, v10
	v_mov_b32_e32 v3, 0x3ff00000
	buffer_store_dword v0, off, s[56:59], 0 offset:108 ; 4-byte Folded Spill
	v_subb_co_u32_e64 v0, s[8:9], 0, 0, s[8:9]
	buffer_store_dword v0, off, s[56:59], 0 offset:112 ; 4-byte Folded Spill
	s_branch .LBB128_4
.LBB128_3:                              ;   in Loop: Header=BB128_4 Depth=1
	s_or_b64 exec, exec, s[10:11]
	s_add_i32 s7, s52, s7
	s_cmp_le_i32 s7, s33
	s_waitcnt vmcnt(1)
	v_add_u32_e32 v20, s6, v20
	s_cbranch_scc0 .LBB128_63
.LBB128_4:                              ; =>This Loop Header: Depth=1
                                        ;     Child Loop BB128_7 Depth 2
	buffer_store_dword v20, off, s[56:59], 0 offset:60 ; 4-byte Folded Spill
	s_waitcnt vmcnt(1)
	buffer_store_dword v21, off, s[56:59], 0 offset:64 ; 4-byte Folded Spill
	buffer_load_dword v0, off, s[56:59], 0  ; 4-byte Folded Reload
	s_lshl_b32 s44, s7, 5
	v_mov_b32_e32 v57, 0
	v_mov_b32_e32 v59, 0
	;; [unrolled: 1-line block ×9, first 2 shown]
	s_cmp_lt_i32 s7, 0
	v_mov_b32_e32 v60, 0
	v_mov_b32_e32 v17, 0
	v_mov_b32_e32 v19, 0
	v_mov_b32_e32 v62, 0
	v_mov_b32_e32 v25, 0
	v_mov_b32_e32 v15, 0
	v_mov_b32_e32 v13, 0
	s_waitcnt vmcnt(0)
	v_add_u32_e32 v39, s44, v0
	v_ashrrev_i32_e32 v40, 31, v39
	s_cbranch_scc1 .LBB128_55
; %bb.5:                                ;   in Loop: Header=BB128_4 Depth=1
	buffer_load_dword v0, off, s[56:59], 0 offset:60 ; 4-byte Folded Reload
	buffer_load_dword v1, off, s[56:59], 0 offset:64 ; 4-byte Folded Reload
	v_mov_b32_e32 v12, 0
	v_mov_b32_e32 v14, 0
	;; [unrolled: 1-line block ×8, first 2 shown]
	v_cmp_le_i32_e64 s[16:17], s46, v39
	v_mov_b32_e32 v13, 0
	s_mov_b64 s[24:25], 0
	v_mov_b32_e32 v15, 0
	v_mov_b32_e32 v25, 0
	;; [unrolled: 1-line block ×7, first 2 shown]
	s_waitcnt vmcnt(1)
	v_mov_b32_e32 v4, v0
	buffer_load_dword v0, off, s[56:59], 0 offset:108 ; 4-byte Folded Reload
	v_ashrrev_i32_e32 v5, 31, v4
	v_lshlrev_b64 v[43:44], 4, v[4:5]
	s_waitcnt vmcnt(0)
	v_add_co_u32_e64 v6, s[8:9], v0, v4
	buffer_load_dword v0, off, s[56:59], 0 offset:112 ; 4-byte Folded Reload
	s_waitcnt vmcnt(0)
	v_addc_co_u32_e64 v7, s[8:9], v0, v5, s[8:9]
	v_mov_b32_e32 v0, v4
	buffer_store_dword v0, off, s[56:59], 0 offset:60 ; 4-byte Folded Spill
	s_nop 0
	buffer_store_dword v1, off, s[56:59], 0 offset:64 ; 4-byte Folded Spill
	v_add_co_u32_e64 v0, s[8:9], 16, v39
	v_addc_co_u32_e64 v1, s[8:9], 0, v40, s[8:9]
	buffer_store_dword v0, off, s[56:59], 0 offset:12 ; 4-byte Folded Spill
	s_nop 0
	buffer_store_dword v1, off, s[56:59], 0 offset:16 ; 4-byte Folded Spill
	v_cmp_le_i64_e64 s[8:9], s[46:47], v[0:1]
	v_add_co_u32_e64 v0, s[10:11], 16, v6
	v_addc_co_u32_e64 v1, s[10:11], 0, v7, s[10:11]
	buffer_store_dword v0, off, s[56:59], 0 offset:20 ; 4-byte Folded Spill
	s_nop 0
	buffer_store_dword v1, off, s[56:59], 0 offset:24 ; 4-byte Folded Spill
	v_add_co_u32_e64 v0, s[10:11], -16, v6
	buffer_store_dword v6, off, s[56:59], 0 offset:4 ; 4-byte Folded Spill
	s_nop 0
	buffer_store_dword v7, off, s[56:59], 0 offset:8 ; 4-byte Folded Spill
	v_addc_co_u32_e64 v1, s[10:11], -1, v7, s[10:11]
	buffer_store_dword v0, off, s[56:59], 0 offset:28 ; 4-byte Folded Spill
	s_nop 0
	buffer_store_dword v1, off, s[56:59], 0 offset:32 ; 4-byte Folded Spill
	buffer_load_dword v51, off, s[56:59], 0 offset:92 ; 4-byte Folded Reload
	buffer_load_dword v52, off, s[56:59], 0 offset:96 ; 4-byte Folded Reload
	;; [unrolled: 1-line block ×6, first 2 shown]
	s_branch .LBB128_7
.LBB128_6:                              ;   in Loop: Header=BB128_7 Depth=2
	s_or_b64 exec, exec, s[10:11]
	s_waitcnt lgkmcnt(0)
	s_barrier
	ds_read_b128 v[26:29], v63
	ds_read_b128 v[20:23], v63 offset:16
	ds_read_b128 v[8:11], v63 offset:32
	;; [unrolled: 1-line block ×3, first 2 shown]
	ds_read_b128 v[47:50], v38
	v_add_co_u32_e64 v55, s[10:11], s40, v55
	s_add_u32 s24, s24, 32
	s_addc_u32 s25, s25, 0
	s_waitcnt lgkmcnt(0)
	v_mul_f64 v[31:32], v[28:29], v[49:50]
	v_mul_f64 v[35:36], v[26:27], v[49:50]
	s_sub_i32 s12, s24, 32
	s_cmp_ge_i32 s12, s44
	v_fma_f64 v[31:32], v[26:27], v[47:48], -v[31:32]
	v_fma_f64 v[35:36], v[28:29], v[47:48], v[35:36]
	v_add_f64 v[0:1], v[57:58], v[31:32]
	v_add_f64 v[45:46], v[35:36], v[59:60]
	ds_read_b128 v[57:60], v38 offset:256
	s_waitcnt lgkmcnt(0)
	v_mul_f64 v[31:32], v[28:29], v[59:60]
	v_fma_f64 v[31:32], v[26:27], v[57:58], -v[31:32]
	v_mul_f64 v[26:27], v[26:27], v[59:60]
	v_add_f64 v[41:42], v[16:17], v[31:32]
	v_fma_f64 v[26:27], v[28:29], v[57:58], v[26:27]
	v_add_f64 v[33:34], v[26:27], v[18:19]
	ds_read_b128 v[16:19], v63 offset:8192
	s_waitcnt lgkmcnt(0)
	v_mul_f64 v[26:27], v[18:19], v[49:50]
	v_mul_f64 v[28:29], v[16:17], v[49:50]
	v_fma_f64 v[26:27], v[16:17], v[47:48], -v[26:27]
	v_fma_f64 v[28:29], v[18:19], v[47:48], v[28:29]
	ds_read_b128 v[47:50], v63 offset:8240
	v_add_f64 v[35:36], v[61:62], v[26:27]
	v_add_f64 v[26:27], v[28:29], v[24:25]
	v_mul_f64 v[24:25], v[18:19], v[59:60]
	v_fma_f64 v[24:25], v[16:17], v[57:58], -v[24:25]
	v_mul_f64 v[16:17], v[16:17], v[59:60]
	v_add_f64 v[31:32], v[14:15], v[24:25]
	v_fma_f64 v[16:17], v[18:19], v[57:58], v[16:17]
	v_add_f64 v[28:29], v[16:17], v[12:13]
	ds_read_b128 v[16:19], v38 offset:512
	s_waitcnt lgkmcnt(0)
	v_mul_f64 v[12:13], v[22:23], v[18:19]
	v_mul_f64 v[14:15], v[20:21], v[18:19]
	v_fma_f64 v[12:13], v[20:21], v[16:17], -v[12:13]
	v_fma_f64 v[14:15], v[22:23], v[16:17], v[14:15]
	v_add_f64 v[59:60], v[0:1], v[12:13]
	v_add_f64 v[61:62], v[14:15], v[45:46]
	ds_read_b128 v[12:15], v38 offset:768
	s_waitcnt lgkmcnt(0)
	v_mul_f64 v[0:1], v[22:23], v[14:15]
	v_fma_f64 v[0:1], v[20:21], v[12:13], -v[0:1]
	v_mul_f64 v[20:21], v[20:21], v[14:15]
	v_add_f64 v[24:25], v[41:42], v[0:1]
	v_fma_f64 v[20:21], v[22:23], v[12:13], v[20:21]
	v_add_f64 v[57:58], v[20:21], v[33:34]
	ds_read_b128 v[20:23], v63 offset:8208
	s_waitcnt lgkmcnt(0)
	v_mul_f64 v[0:1], v[22:23], v[18:19]
	v_mul_f64 v[18:19], v[20:21], v[18:19]
	v_fma_f64 v[0:1], v[20:21], v[16:17], -v[0:1]
	v_fma_f64 v[18:19], v[22:23], v[16:17], v[18:19]
	v_add_f64 v[16:17], v[35:36], v[0:1]
	v_mul_f64 v[0:1], v[22:23], v[14:15]
	v_mul_f64 v[14:15], v[20:21], v[14:15]
	v_add_f64 v[18:19], v[18:19], v[26:27]
	v_fma_f64 v[0:1], v[20:21], v[12:13], -v[0:1]
	v_fma_f64 v[14:15], v[22:23], v[12:13], v[14:15]
	ds_read_b128 v[20:23], v38 offset:1024
	s_waitcnt lgkmcnt(0)
	v_mul_f64 v[26:27], v[8:9], v[22:23]
	v_add_f64 v[12:13], v[31:32], v[0:1]
	v_add_f64 v[14:15], v[14:15], v[28:29]
	v_mul_f64 v[0:1], v[10:11], v[22:23]
	v_fma_f64 v[26:27], v[10:11], v[20:21], v[26:27]
	v_fma_f64 v[0:1], v[8:9], v[20:21], -v[0:1]
	v_add_f64 v[31:32], v[26:27], v[61:62]
	ds_read_b128 v[26:29], v38 offset:1280
	v_add_f64 v[0:1], v[59:60], v[0:1]
	s_waitcnt lgkmcnt(0)
	v_mul_f64 v[33:34], v[10:11], v[28:29]
	v_fma_f64 v[33:34], v[8:9], v[26:27], -v[33:34]
	v_mul_f64 v[8:9], v[8:9], v[28:29]
	v_add_f64 v[33:34], v[24:25], v[33:34]
	v_fma_f64 v[8:9], v[10:11], v[26:27], v[8:9]
	v_add_f64 v[35:36], v[8:9], v[57:58]
	ds_read_b128 v[8:11], v63 offset:8224
	s_waitcnt lgkmcnt(0)
	v_mul_f64 v[24:25], v[10:11], v[22:23]
	v_mul_f64 v[22:23], v[8:9], v[22:23]
	v_fma_f64 v[24:25], v[8:9], v[20:21], -v[24:25]
	v_fma_f64 v[22:23], v[10:11], v[20:21], v[22:23]
	v_add_f64 v[20:21], v[16:17], v[24:25]
	v_mul_f64 v[16:17], v[10:11], v[28:29]
	v_add_f64 v[22:23], v[22:23], v[18:19]
	v_fma_f64 v[16:17], v[8:9], v[26:27], -v[16:17]
	v_mul_f64 v[8:9], v[8:9], v[28:29]
	v_add_f64 v[24:25], v[12:13], v[16:17]
	v_fma_f64 v[8:9], v[10:11], v[26:27], v[8:9]
	v_add_f64 v[26:27], v[8:9], v[14:15]
	ds_read_b128 v[8:11], v38 offset:1536
	s_waitcnt lgkmcnt(0)
	v_mul_f64 v[12:13], v[6:7], v[10:11]
	v_mul_f64 v[14:15], v[4:5], v[10:11]
	v_fma_f64 v[12:13], v[4:5], v[8:9], -v[12:13]
	v_fma_f64 v[14:15], v[6:7], v[8:9], v[14:15]
	v_add_f64 v[16:17], v[0:1], v[12:13]
	v_add_f64 v[18:19], v[14:15], v[31:32]
	ds_read_b128 v[12:15], v38 offset:1792
	s_waitcnt lgkmcnt(0)
	v_mul_f64 v[0:1], v[6:7], v[14:15]
	v_fma_f64 v[0:1], v[4:5], v[12:13], -v[0:1]
	v_mul_f64 v[4:5], v[4:5], v[14:15]
	v_fma_f64 v[6:7], v[6:7], v[12:13], v[4:5]
	v_add_f64 v[4:5], v[33:34], v[0:1]
	v_mul_f64 v[0:1], v[49:50], v[10:11]
	v_mul_f64 v[10:11], v[47:48], v[10:11]
	v_add_f64 v[6:7], v[6:7], v[35:36]
	v_fma_f64 v[0:1], v[47:48], v[8:9], -v[0:1]
	v_fma_f64 v[8:9], v[49:50], v[8:9], v[10:11]
	v_mul_f64 v[10:11], v[47:48], v[14:15]
	v_add_f64 v[0:1], v[20:21], v[0:1]
	v_add_f64 v[28:29], v[8:9], v[22:23]
	v_mul_f64 v[8:9], v[49:50], v[14:15]
	v_fma_f64 v[10:11], v[49:50], v[12:13], v[10:11]
	v_fma_f64 v[8:9], v[47:48], v[12:13], -v[8:9]
	v_add_f64 v[33:34], v[10:11], v[26:27]
	v_add_f64 v[31:32], v[24:25], v[8:9]
	ds_read_b128 v[8:11], v63 offset:64
	ds_read_b128 v[12:15], v38 offset:2048
	;; [unrolled: 1-line block ×3, first 2 shown]
	s_waitcnt lgkmcnt(1)
	v_mul_f64 v[20:21], v[10:11], v[14:15]
	v_mul_f64 v[22:23], v[8:9], v[14:15]
	v_fma_f64 v[20:21], v[8:9], v[12:13], -v[20:21]
	v_fma_f64 v[22:23], v[10:11], v[12:13], v[22:23]
	v_add_f64 v[20:21], v[16:17], v[20:21]
	s_waitcnt lgkmcnt(0)
	v_mul_f64 v[16:17], v[10:11], v[26:27]
	v_add_f64 v[22:23], v[22:23], v[18:19]
	v_fma_f64 v[16:17], v[8:9], v[24:25], -v[16:17]
	v_mul_f64 v[8:9], v[8:9], v[26:27]
	v_add_f64 v[35:36], v[4:5], v[16:17]
	v_fma_f64 v[8:9], v[10:11], v[24:25], v[8:9]
	v_add_f64 v[41:42], v[8:9], v[6:7]
	ds_read_b128 v[4:7], v63 offset:8256
	s_waitcnt lgkmcnt(0)
	v_mul_f64 v[8:9], v[6:7], v[14:15]
	v_mul_f64 v[10:11], v[4:5], v[14:15]
	v_fma_f64 v[8:9], v[4:5], v[12:13], -v[8:9]
	v_fma_f64 v[10:11], v[6:7], v[12:13], v[10:11]
	v_add_f64 v[16:17], v[0:1], v[8:9]
	v_mul_f64 v[0:1], v[6:7], v[26:27]
	v_add_f64 v[18:19], v[10:11], v[28:29]
	ds_read_b128 v[47:50], v63 offset:80
	ds_read_b128 v[8:11], v38 offset:2560
	v_fma_f64 v[0:1], v[4:5], v[24:25], -v[0:1]
	v_mul_f64 v[4:5], v[4:5], v[26:27]
	v_add_f64 v[12:13], v[31:32], v[0:1]
	v_fma_f64 v[4:5], v[6:7], v[24:25], v[4:5]
	s_waitcnt lgkmcnt(0)
	v_mul_f64 v[0:1], v[49:50], v[10:11]
	v_add_f64 v[14:15], v[4:5], v[33:34]
	v_mul_f64 v[4:5], v[47:48], v[10:11]
	v_fma_f64 v[0:1], v[47:48], v[8:9], -v[0:1]
	v_fma_f64 v[4:5], v[49:50], v[8:9], v[4:5]
	v_add_f64 v[24:25], v[20:21], v[0:1]
	v_add_f64 v[28:29], v[4:5], v[22:23]
	ds_read_b128 v[4:7], v38 offset:2816
	s_waitcnt lgkmcnt(0)
	v_mul_f64 v[0:1], v[49:50], v[6:7]
	v_mul_f64 v[20:21], v[47:48], v[6:7]
	v_fma_f64 v[0:1], v[47:48], v[4:5], -v[0:1]
	v_fma_f64 v[22:23], v[49:50], v[4:5], v[20:21]
	ds_read_b128 v[47:50], v63 offset:8272
	v_add_f64 v[20:21], v[35:36], v[0:1]
	s_waitcnt lgkmcnt(0)
	v_mul_f64 v[0:1], v[49:50], v[10:11]
	v_mul_f64 v[10:11], v[47:48], v[10:11]
	v_add_f64 v[22:23], v[22:23], v[41:42]
	v_fma_f64 v[0:1], v[47:48], v[8:9], -v[0:1]
	v_fma_f64 v[8:9], v[49:50], v[8:9], v[10:11]
	v_add_f64 v[0:1], v[16:17], v[0:1]
	v_add_f64 v[26:27], v[8:9], v[18:19]
	v_mul_f64 v[8:9], v[49:50], v[6:7]
	v_mul_f64 v[6:7], v[47:48], v[6:7]
	v_fma_f64 v[8:9], v[47:48], v[4:5], -v[8:9]
	v_fma_f64 v[4:5], v[49:50], v[4:5], v[6:7]
	v_add_f64 v[31:32], v[12:13], v[8:9]
	v_add_f64 v[33:34], v[4:5], v[14:15]
	ds_read_b128 v[8:11], v63 offset:96
	ds_read_b128 v[12:15], v38 offset:3072
	ds_read_b128 v[16:19], v38 offset:3328
	s_waitcnt lgkmcnt(1)
	v_mul_f64 v[4:5], v[10:11], v[14:15]
	v_mul_f64 v[6:7], v[8:9], v[14:15]
	v_fma_f64 v[4:5], v[8:9], v[12:13], -v[4:5]
	v_fma_f64 v[6:7], v[10:11], v[12:13], v[6:7]
	v_add_f64 v[4:5], v[24:25], v[4:5]
	s_waitcnt lgkmcnt(0)
	v_mul_f64 v[24:25], v[10:11], v[18:19]
	v_add_f64 v[6:7], v[6:7], v[28:29]
	v_fma_f64 v[24:25], v[8:9], v[16:17], -v[24:25]
	v_mul_f64 v[8:9], v[8:9], v[18:19]
	v_add_f64 v[24:25], v[20:21], v[24:25]
	v_fma_f64 v[8:9], v[10:11], v[16:17], v[8:9]
	v_add_f64 v[35:36], v[8:9], v[22:23]
	ds_read_b128 v[8:11], v63 offset:8288
	s_waitcnt lgkmcnt(0)
	v_mul_f64 v[20:21], v[10:11], v[14:15]
	v_mul_f64 v[14:15], v[8:9], v[14:15]
	v_fma_f64 v[20:21], v[8:9], v[12:13], -v[20:21]
	v_fma_f64 v[12:13], v[10:11], v[12:13], v[14:15]
	v_add_f64 v[20:21], v[0:1], v[20:21]
	v_mul_f64 v[0:1], v[10:11], v[18:19]
	v_add_f64 v[22:23], v[12:13], v[26:27]
	v_fma_f64 v[0:1], v[8:9], v[16:17], -v[0:1]
	v_mul_f64 v[8:9], v[8:9], v[18:19]
	v_fma_f64 v[8:9], v[10:11], v[16:17], v[8:9]
	v_add_f64 v[16:17], v[31:32], v[0:1]
	v_add_f64 v[18:19], v[8:9], v[33:34]
	ds_read_b128 v[12:15], v63 offset:112
	ds_read_b128 v[8:11], v38 offset:3584
	s_waitcnt lgkmcnt(0)
	v_mul_f64 v[0:1], v[14:15], v[10:11]
	v_mul_f64 v[26:27], v[12:13], v[10:11]
	v_fma_f64 v[0:1], v[12:13], v[8:9], -v[0:1]
	v_fma_f64 v[26:27], v[14:15], v[8:9], v[26:27]
	v_add_f64 v[28:29], v[4:5], v[0:1]
	v_add_f64 v[31:32], v[26:27], v[6:7]
	ds_read_b128 v[4:7], v38 offset:3840
	s_waitcnt lgkmcnt(0)
	v_mul_f64 v[0:1], v[14:15], v[6:7]
	v_fma_f64 v[0:1], v[12:13], v[4:5], -v[0:1]
	v_mul_f64 v[12:13], v[12:13], v[6:7]
	v_add_f64 v[24:25], v[24:25], v[0:1]
	v_fma_f64 v[12:13], v[14:15], v[4:5], v[12:13]
	v_add_f64 v[57:58], v[12:13], v[35:36]
	ds_read_b128 v[12:15], v63 offset:8304
	s_waitcnt lgkmcnt(0)
	v_mul_f64 v[0:1], v[14:15], v[10:11]
	v_mul_f64 v[10:11], v[12:13], v[10:11]
	v_fma_f64 v[0:1], v[12:13], v[8:9], -v[0:1]
	v_fma_f64 v[8:9], v[14:15], v[8:9], v[10:11]
	v_add_f64 v[0:1], v[20:21], v[0:1]
	v_add_f64 v[22:23], v[8:9], v[22:23]
	v_mul_f64 v[8:9], v[14:15], v[6:7]
	v_mul_f64 v[6:7], v[12:13], v[6:7]
	v_fma_f64 v[8:9], v[12:13], v[4:5], -v[8:9]
	v_fma_f64 v[4:5], v[14:15], v[4:5], v[6:7]
	v_add_f64 v[26:27], v[16:17], v[8:9]
	v_add_f64 v[33:34], v[4:5], v[18:19]
	ds_read_b128 v[8:11], v63 offset:128
	ds_read_b128 v[12:15], v38 offset:4096
	;; [unrolled: 1-line block ×3, first 2 shown]
	s_waitcnt lgkmcnt(1)
	v_mul_f64 v[4:5], v[10:11], v[14:15]
	s_waitcnt lgkmcnt(0)
	v_mul_f64 v[20:21], v[10:11], v[18:19]
	v_mul_f64 v[6:7], v[8:9], v[14:15]
	v_fma_f64 v[4:5], v[8:9], v[12:13], -v[4:5]
	v_fma_f64 v[20:21], v[8:9], v[16:17], -v[20:21]
	v_mul_f64 v[8:9], v[8:9], v[18:19]
	v_fma_f64 v[6:7], v[10:11], v[12:13], v[6:7]
	v_add_f64 v[4:5], v[28:29], v[4:5]
	v_add_f64 v[24:25], v[24:25], v[20:21]
	v_fma_f64 v[8:9], v[10:11], v[16:17], v[8:9]
	v_add_f64 v[6:7], v[6:7], v[31:32]
	v_add_f64 v[35:36], v[8:9], v[57:58]
	ds_read_b128 v[8:11], v63 offset:8320
	s_waitcnt lgkmcnt(0)
	v_mul_f64 v[20:21], v[10:11], v[14:15]
	v_mul_f64 v[14:15], v[8:9], v[14:15]
	v_fma_f64 v[20:21], v[8:9], v[12:13], -v[20:21]
	v_fma_f64 v[12:13], v[10:11], v[12:13], v[14:15]
	v_add_f64 v[20:21], v[0:1], v[20:21]
	v_mul_f64 v[0:1], v[10:11], v[18:19]
	v_add_f64 v[22:23], v[12:13], v[22:23]
	v_fma_f64 v[0:1], v[8:9], v[16:17], -v[0:1]
	v_mul_f64 v[8:9], v[8:9], v[18:19]
	v_fma_f64 v[8:9], v[10:11], v[16:17], v[8:9]
	v_add_f64 v[16:17], v[26:27], v[0:1]
	v_add_f64 v[18:19], v[8:9], v[33:34]
	ds_read_b128 v[12:15], v63 offset:144
	ds_read_b128 v[8:11], v38 offset:4608
	s_waitcnt lgkmcnt(0)
	v_mul_f64 v[0:1], v[14:15], v[10:11]
	v_mul_f64 v[26:27], v[12:13], v[10:11]
	v_fma_f64 v[0:1], v[12:13], v[8:9], -v[0:1]
	v_fma_f64 v[26:27], v[14:15], v[8:9], v[26:27]
	v_add_f64 v[28:29], v[4:5], v[0:1]
	v_add_f64 v[31:32], v[26:27], v[6:7]
	ds_read_b128 v[4:7], v38 offset:4864
	s_waitcnt lgkmcnt(0)
	v_mul_f64 v[0:1], v[14:15], v[6:7]
	v_fma_f64 v[0:1], v[12:13], v[4:5], -v[0:1]
	v_mul_f64 v[12:13], v[12:13], v[6:7]
	v_add_f64 v[24:25], v[24:25], v[0:1]
	v_fma_f64 v[12:13], v[14:15], v[4:5], v[12:13]
	v_add_f64 v[57:58], v[12:13], v[35:36]
	ds_read_b128 v[12:15], v63 offset:8336
	s_waitcnt lgkmcnt(0)
	v_mul_f64 v[0:1], v[14:15], v[10:11]
	v_mul_f64 v[10:11], v[12:13], v[10:11]
	v_fma_f64 v[0:1], v[12:13], v[8:9], -v[0:1]
	v_fma_f64 v[8:9], v[14:15], v[8:9], v[10:11]
	v_add_f64 v[0:1], v[20:21], v[0:1]
	v_add_f64 v[22:23], v[8:9], v[22:23]
	v_mul_f64 v[8:9], v[14:15], v[6:7]
	v_mul_f64 v[6:7], v[12:13], v[6:7]
	v_fma_f64 v[8:9], v[12:13], v[4:5], -v[8:9]
	v_fma_f64 v[4:5], v[14:15], v[4:5], v[6:7]
	v_add_f64 v[26:27], v[16:17], v[8:9]
	v_add_f64 v[33:34], v[4:5], v[18:19]
	ds_read_b128 v[8:11], v63 offset:160
	ds_read_b128 v[12:15], v38 offset:5120
	;; [unrolled: 1-line block ×3, first 2 shown]
	s_waitcnt lgkmcnt(1)
	v_mul_f64 v[4:5], v[10:11], v[14:15]
	s_waitcnt lgkmcnt(0)
	v_mul_f64 v[20:21], v[10:11], v[18:19]
	v_mul_f64 v[6:7], v[8:9], v[14:15]
	v_fma_f64 v[4:5], v[8:9], v[12:13], -v[4:5]
	v_fma_f64 v[20:21], v[8:9], v[16:17], -v[20:21]
	v_mul_f64 v[8:9], v[8:9], v[18:19]
	v_fma_f64 v[6:7], v[10:11], v[12:13], v[6:7]
	v_add_f64 v[4:5], v[28:29], v[4:5]
	v_add_f64 v[24:25], v[24:25], v[20:21]
	v_fma_f64 v[8:9], v[10:11], v[16:17], v[8:9]
	v_add_f64 v[6:7], v[6:7], v[31:32]
	v_add_f64 v[31:32], v[8:9], v[57:58]
	ds_read_b128 v[8:11], v63 offset:8352
	s_waitcnt lgkmcnt(0)
	v_mul_f64 v[20:21], v[10:11], v[14:15]
	v_mul_f64 v[14:15], v[8:9], v[14:15]
	v_fma_f64 v[20:21], v[8:9], v[12:13], -v[20:21]
	v_fma_f64 v[12:13], v[10:11], v[12:13], v[14:15]
	v_add_f64 v[20:21], v[0:1], v[20:21]
	v_mul_f64 v[0:1], v[10:11], v[18:19]
	v_add_f64 v[22:23], v[12:13], v[22:23]
	v_fma_f64 v[0:1], v[8:9], v[16:17], -v[0:1]
	v_mul_f64 v[8:9], v[8:9], v[18:19]
	v_fma_f64 v[8:9], v[10:11], v[16:17], v[8:9]
	v_add_f64 v[16:17], v[26:27], v[0:1]
	v_add_f64 v[18:19], v[8:9], v[33:34]
	ds_read_b128 v[12:15], v63 offset:176
	ds_read_b128 v[8:11], v38 offset:5632
	s_waitcnt lgkmcnt(0)
	v_mul_f64 v[0:1], v[14:15], v[10:11]
	v_mul_f64 v[26:27], v[12:13], v[10:11]
	v_fma_f64 v[0:1], v[12:13], v[8:9], -v[0:1]
	v_fma_f64 v[28:29], v[14:15], v[8:9], v[26:27]
	v_add_f64 v[26:27], v[4:5], v[0:1]
	v_add_f64 v[28:29], v[28:29], v[6:7]
	ds_read_b128 v[4:7], v38 offset:5888
	s_waitcnt lgkmcnt(0)
	v_mul_f64 v[0:1], v[14:15], v[6:7]
	v_fma_f64 v[0:1], v[12:13], v[4:5], -v[0:1]
	v_mul_f64 v[12:13], v[12:13], v[6:7]
	v_add_f64 v[24:25], v[24:25], v[0:1]
	v_fma_f64 v[12:13], v[14:15], v[4:5], v[12:13]
	v_add_f64 v[57:58], v[12:13], v[31:32]
	ds_read_b128 v[12:15], v63 offset:8368
	s_waitcnt lgkmcnt(0)
	v_mul_f64 v[0:1], v[14:15], v[10:11]
	v_mul_f64 v[10:11], v[12:13], v[10:11]
	v_fma_f64 v[0:1], v[12:13], v[8:9], -v[0:1]
	v_fma_f64 v[8:9], v[14:15], v[8:9], v[10:11]
	v_add_f64 v[0:1], v[20:21], v[0:1]
	v_add_f64 v[20:21], v[8:9], v[22:23]
	v_mul_f64 v[8:9], v[14:15], v[6:7]
	v_mul_f64 v[6:7], v[12:13], v[6:7]
	v_fma_f64 v[8:9], v[12:13], v[4:5], -v[8:9]
	v_fma_f64 v[4:5], v[14:15], v[4:5], v[6:7]
	v_add_f64 v[22:23], v[16:17], v[8:9]
	v_add_f64 v[31:32], v[4:5], v[18:19]
	ds_read_b128 v[4:7], v63 offset:192
	ds_read_b128 v[12:15], v38 offset:6144
	;; [unrolled: 1-line block ×3, first 2 shown]
	s_waitcnt lgkmcnt(1)
	v_mul_f64 v[8:9], v[6:7], v[14:15]
	v_mul_f64 v[10:11], v[4:5], v[14:15]
	v_fma_f64 v[8:9], v[4:5], v[12:13], -v[8:9]
	v_fma_f64 v[10:11], v[6:7], v[12:13], v[10:11]
	v_add_f64 v[8:9], v[26:27], v[8:9]
	s_waitcnt lgkmcnt(0)
	v_mul_f64 v[26:27], v[6:7], v[18:19]
	v_add_f64 v[10:11], v[10:11], v[28:29]
	v_fma_f64 v[26:27], v[4:5], v[16:17], -v[26:27]
	v_mul_f64 v[4:5], v[4:5], v[18:19]
	v_add_f64 v[26:27], v[24:25], v[26:27]
	v_fma_f64 v[4:5], v[6:7], v[16:17], v[4:5]
	v_add_f64 v[33:34], v[4:5], v[57:58]
	ds_read_b128 v[4:7], v63 offset:8384
	s_waitcnt lgkmcnt(0)
	v_mul_f64 v[24:25], v[6:7], v[14:15]
	v_mul_f64 v[14:15], v[4:5], v[14:15]
	v_fma_f64 v[24:25], v[4:5], v[12:13], -v[24:25]
	v_fma_f64 v[14:15], v[6:7], v[12:13], v[14:15]
	v_add_f64 v[12:13], v[0:1], v[24:25]
	v_mul_f64 v[0:1], v[6:7], v[18:19]
	v_add_f64 v[14:15], v[14:15], v[20:21]
	v_fma_f64 v[0:1], v[4:5], v[16:17], -v[0:1]
	v_mul_f64 v[4:5], v[4:5], v[18:19]
	v_fma_f64 v[4:5], v[6:7], v[16:17], v[4:5]
	v_add_f64 v[16:17], v[22:23], v[0:1]
	v_add_f64 v[18:19], v[4:5], v[31:32]
	ds_read_b128 v[20:23], v63 offset:208
	ds_read_b128 v[4:7], v38 offset:6656
	;; [unrolled: 1-line block ×3, first 2 shown]
	s_waitcnt lgkmcnt(1)
	v_mul_f64 v[0:1], v[22:23], v[6:7]
	v_mul_f64 v[24:25], v[20:21], v[6:7]
	v_fma_f64 v[0:1], v[20:21], v[4:5], -v[0:1]
	v_fma_f64 v[28:29], v[22:23], v[4:5], v[24:25]
	v_add_f64 v[24:25], v[8:9], v[0:1]
	v_add_f64 v[28:29], v[28:29], v[10:11]
	ds_read_b128 v[8:11], v38 offset:6912
	s_waitcnt lgkmcnt(0)
	v_mul_f64 v[0:1], v[22:23], v[10:11]
	v_fma_f64 v[0:1], v[20:21], v[8:9], -v[0:1]
	v_mul_f64 v[20:21], v[20:21], v[10:11]
	v_fma_f64 v[22:23], v[22:23], v[8:9], v[20:21]
	v_add_f64 v[20:21], v[26:27], v[0:1]
	v_mul_f64 v[0:1], v[49:50], v[6:7]
	v_mul_f64 v[6:7], v[47:48], v[6:7]
	v_add_f64 v[22:23], v[22:23], v[33:34]
	v_fma_f64 v[0:1], v[47:48], v[4:5], -v[0:1]
	v_fma_f64 v[4:5], v[49:50], v[4:5], v[6:7]
	v_mul_f64 v[6:7], v[47:48], v[10:11]
	v_add_f64 v[0:1], v[12:13], v[0:1]
	v_add_f64 v[31:32], v[4:5], v[14:15]
	v_mul_f64 v[4:5], v[49:50], v[10:11]
	v_fma_f64 v[6:7], v[49:50], v[8:9], v[6:7]
	v_fma_f64 v[4:5], v[47:48], v[8:9], -v[4:5]
	ds_read_b128 v[8:11], v63 offset:224
	ds_read_b128 v[12:15], v38 offset:7168
	v_add_f64 v[35:36], v[6:7], v[18:19]
	s_waitcnt lgkmcnt(0)
	v_mul_f64 v[6:7], v[8:9], v[14:15]
	v_add_f64 v[33:34], v[16:17], v[4:5]
	v_mul_f64 v[4:5], v[10:11], v[14:15]
	v_fma_f64 v[6:7], v[10:11], v[12:13], v[6:7]
	v_fma_f64 v[4:5], v[8:9], v[12:13], -v[4:5]
	v_add_f64 v[6:7], v[6:7], v[28:29]
	v_add_f64 v[4:5], v[24:25], v[4:5]
	ds_read_b128 v[24:27], v38 offset:7424
	s_waitcnt lgkmcnt(0)
	v_mul_f64 v[16:17], v[10:11], v[26:27]
	v_fma_f64 v[16:17], v[8:9], v[24:25], -v[16:17]
	v_mul_f64 v[8:9], v[8:9], v[26:27]
	v_add_f64 v[41:42], v[20:21], v[16:17]
	v_fma_f64 v[8:9], v[10:11], v[24:25], v[8:9]
	v_add_f64 v[45:46], v[8:9], v[22:23]
	ds_read_b128 v[8:11], v63 offset:8416
	s_waitcnt lgkmcnt(0)
	v_mul_f64 v[16:17], v[10:11], v[14:15]
	v_mul_f64 v[14:15], v[8:9], v[14:15]
	v_fma_f64 v[16:17], v[8:9], v[12:13], -v[16:17]
	v_fma_f64 v[12:13], v[10:11], v[12:13], v[14:15]
	v_add_f64 v[16:17], v[0:1], v[16:17]
	v_mul_f64 v[0:1], v[10:11], v[26:27]
	v_add_f64 v[18:19], v[12:13], v[31:32]
	v_fma_f64 v[0:1], v[8:9], v[24:25], -v[0:1]
	v_mul_f64 v[8:9], v[8:9], v[26:27]
	v_add_f64 v[12:13], v[33:34], v[0:1]
	v_fma_f64 v[8:9], v[10:11], v[24:25], v[8:9]
	v_add_f64 v[14:15], v[8:9], v[35:36]
	ds_read_b128 v[20:23], v63 offset:240
	ds_read_b128 v[8:11], v38 offset:7680
	;; [unrolled: 1-line block ×3, first 2 shown]
	s_waitcnt lgkmcnt(1)
	v_mul_f64 v[0:1], v[22:23], v[10:11]
	v_mul_f64 v[24:25], v[20:21], v[10:11]
	v_fma_f64 v[0:1], v[20:21], v[8:9], -v[0:1]
	v_fma_f64 v[26:27], v[22:23], v[8:9], v[24:25]
	v_add_f64 v[24:25], v[4:5], v[0:1]
	v_add_f64 v[28:29], v[26:27], v[6:7]
	ds_read_b128 v[4:7], v38 offset:7936
	s_waitcnt lgkmcnt(0)
	v_mul_f64 v[0:1], v[22:23], v[6:7]
	v_fma_f64 v[0:1], v[20:21], v[4:5], -v[0:1]
	v_mul_f64 v[20:21], v[20:21], v[6:7]
	v_fma_f64 v[22:23], v[22:23], v[4:5], v[20:21]
	v_add_f64 v[20:21], v[41:42], v[0:1]
	v_mul_f64 v[0:1], v[49:50], v[10:11]
	v_mul_f64 v[10:11], v[47:48], v[10:11]
	v_add_f64 v[22:23], v[22:23], v[45:46]
	v_fma_f64 v[0:1], v[47:48], v[8:9], -v[0:1]
	v_fma_f64 v[8:9], v[49:50], v[8:9], v[10:11]
	v_add_f64 v[0:1], v[16:17], v[0:1]
	v_add_f64 v[26:27], v[8:9], v[18:19]
	v_mul_f64 v[8:9], v[49:50], v[6:7]
	v_mul_f64 v[6:7], v[47:48], v[6:7]
	v_fma_f64 v[8:9], v[47:48], v[4:5], -v[8:9]
	v_fma_f64 v[4:5], v[49:50], v[4:5], v[6:7]
	v_add_f64 v[31:32], v[12:13], v[8:9]
	v_add_f64 v[33:34], v[4:5], v[14:15]
	ds_read_b128 v[8:11], v63 offset:256
	ds_read_b128 v[12:15], v38 offset:8192
	;; [unrolled: 1-line block ×3, first 2 shown]
	s_waitcnt lgkmcnt(1)
	v_mul_f64 v[4:5], v[10:11], v[14:15]
	v_mul_f64 v[6:7], v[8:9], v[14:15]
	v_fma_f64 v[4:5], v[8:9], v[12:13], -v[4:5]
	v_fma_f64 v[6:7], v[10:11], v[12:13], v[6:7]
	v_add_f64 v[4:5], v[24:25], v[4:5]
	s_waitcnt lgkmcnt(0)
	v_mul_f64 v[24:25], v[10:11], v[18:19]
	v_add_f64 v[6:7], v[6:7], v[28:29]
	v_fma_f64 v[24:25], v[8:9], v[16:17], -v[24:25]
	v_mul_f64 v[8:9], v[8:9], v[18:19]
	v_add_f64 v[24:25], v[20:21], v[24:25]
	v_fma_f64 v[8:9], v[10:11], v[16:17], v[8:9]
	v_add_f64 v[35:36], v[8:9], v[22:23]
	ds_read_b128 v[8:11], v63 offset:8448
	s_waitcnt lgkmcnt(0)
	v_mul_f64 v[20:21], v[10:11], v[14:15]
	v_mul_f64 v[14:15], v[8:9], v[14:15]
	v_fma_f64 v[20:21], v[8:9], v[12:13], -v[20:21]
	v_fma_f64 v[12:13], v[10:11], v[12:13], v[14:15]
	v_add_f64 v[20:21], v[0:1], v[20:21]
	v_mul_f64 v[0:1], v[10:11], v[18:19]
	v_add_f64 v[22:23], v[12:13], v[26:27]
	v_fma_f64 v[0:1], v[8:9], v[16:17], -v[0:1]
	v_mul_f64 v[8:9], v[8:9], v[18:19]
	v_fma_f64 v[8:9], v[10:11], v[16:17], v[8:9]
	v_add_f64 v[16:17], v[31:32], v[0:1]
	v_add_f64 v[18:19], v[8:9], v[33:34]
	ds_read_b128 v[12:15], v63 offset:272
	ds_read_b128 v[8:11], v38 offset:8704
	s_waitcnt lgkmcnt(0)
	v_mul_f64 v[0:1], v[14:15], v[10:11]
	v_mul_f64 v[26:27], v[12:13], v[10:11]
	v_fma_f64 v[0:1], v[12:13], v[8:9], -v[0:1]
	v_fma_f64 v[26:27], v[14:15], v[8:9], v[26:27]
	v_add_f64 v[28:29], v[4:5], v[0:1]
	v_add_f64 v[31:32], v[26:27], v[6:7]
	ds_read_b128 v[4:7], v38 offset:8960
	s_waitcnt lgkmcnt(0)
	v_mul_f64 v[0:1], v[14:15], v[6:7]
	v_fma_f64 v[0:1], v[12:13], v[4:5], -v[0:1]
	v_mul_f64 v[12:13], v[12:13], v[6:7]
	v_add_f64 v[24:25], v[24:25], v[0:1]
	v_fma_f64 v[12:13], v[14:15], v[4:5], v[12:13]
	v_add_f64 v[57:58], v[12:13], v[35:36]
	ds_read_b128 v[12:15], v63 offset:8464
	s_waitcnt lgkmcnt(0)
	v_mul_f64 v[0:1], v[14:15], v[10:11]
	v_mul_f64 v[10:11], v[12:13], v[10:11]
	v_fma_f64 v[0:1], v[12:13], v[8:9], -v[0:1]
	v_fma_f64 v[8:9], v[14:15], v[8:9], v[10:11]
	v_add_f64 v[0:1], v[20:21], v[0:1]
	v_add_f64 v[22:23], v[8:9], v[22:23]
	v_mul_f64 v[8:9], v[14:15], v[6:7]
	v_mul_f64 v[6:7], v[12:13], v[6:7]
	v_fma_f64 v[8:9], v[12:13], v[4:5], -v[8:9]
	v_fma_f64 v[4:5], v[14:15], v[4:5], v[6:7]
	v_add_f64 v[26:27], v[16:17], v[8:9]
	v_add_f64 v[33:34], v[4:5], v[18:19]
	ds_read_b128 v[8:11], v63 offset:288
	ds_read_b128 v[12:15], v38 offset:9216
	;; [unrolled: 1-line block ×3, first 2 shown]
	s_waitcnt lgkmcnt(1)
	v_mul_f64 v[4:5], v[10:11], v[14:15]
	s_waitcnt lgkmcnt(0)
	v_mul_f64 v[20:21], v[10:11], v[18:19]
	v_mul_f64 v[6:7], v[8:9], v[14:15]
	v_fma_f64 v[4:5], v[8:9], v[12:13], -v[4:5]
	v_fma_f64 v[20:21], v[8:9], v[16:17], -v[20:21]
	v_mul_f64 v[8:9], v[8:9], v[18:19]
	v_fma_f64 v[6:7], v[10:11], v[12:13], v[6:7]
	v_add_f64 v[4:5], v[28:29], v[4:5]
	v_add_f64 v[24:25], v[24:25], v[20:21]
	v_fma_f64 v[8:9], v[10:11], v[16:17], v[8:9]
	v_add_f64 v[6:7], v[6:7], v[31:32]
	v_add_f64 v[35:36], v[8:9], v[57:58]
	ds_read_b128 v[8:11], v63 offset:8480
	s_waitcnt lgkmcnt(0)
	v_mul_f64 v[20:21], v[10:11], v[14:15]
	v_mul_f64 v[14:15], v[8:9], v[14:15]
	v_fma_f64 v[20:21], v[8:9], v[12:13], -v[20:21]
	v_fma_f64 v[12:13], v[10:11], v[12:13], v[14:15]
	v_add_f64 v[20:21], v[0:1], v[20:21]
	v_mul_f64 v[0:1], v[10:11], v[18:19]
	v_add_f64 v[22:23], v[12:13], v[22:23]
	v_fma_f64 v[0:1], v[8:9], v[16:17], -v[0:1]
	v_mul_f64 v[8:9], v[8:9], v[18:19]
	v_fma_f64 v[8:9], v[10:11], v[16:17], v[8:9]
	v_add_f64 v[16:17], v[26:27], v[0:1]
	v_add_f64 v[18:19], v[8:9], v[33:34]
	ds_read_b128 v[12:15], v63 offset:304
	ds_read_b128 v[8:11], v38 offset:9728
	s_waitcnt lgkmcnt(0)
	v_mul_f64 v[0:1], v[14:15], v[10:11]
	v_mul_f64 v[26:27], v[12:13], v[10:11]
	v_fma_f64 v[0:1], v[12:13], v[8:9], -v[0:1]
	v_fma_f64 v[26:27], v[14:15], v[8:9], v[26:27]
	v_add_f64 v[28:29], v[4:5], v[0:1]
	v_add_f64 v[31:32], v[26:27], v[6:7]
	ds_read_b128 v[4:7], v38 offset:9984
	s_waitcnt lgkmcnt(0)
	v_mul_f64 v[0:1], v[14:15], v[6:7]
	v_fma_f64 v[0:1], v[12:13], v[4:5], -v[0:1]
	v_mul_f64 v[12:13], v[12:13], v[6:7]
	v_add_f64 v[24:25], v[24:25], v[0:1]
	v_fma_f64 v[12:13], v[14:15], v[4:5], v[12:13]
	v_add_f64 v[57:58], v[12:13], v[35:36]
	ds_read_b128 v[12:15], v63 offset:8496
	s_waitcnt lgkmcnt(0)
	v_mul_f64 v[0:1], v[14:15], v[10:11]
	v_mul_f64 v[10:11], v[12:13], v[10:11]
	v_fma_f64 v[0:1], v[12:13], v[8:9], -v[0:1]
	v_fma_f64 v[8:9], v[14:15], v[8:9], v[10:11]
	v_add_f64 v[0:1], v[20:21], v[0:1]
	v_add_f64 v[22:23], v[8:9], v[22:23]
	v_mul_f64 v[8:9], v[14:15], v[6:7]
	v_mul_f64 v[6:7], v[12:13], v[6:7]
	v_fma_f64 v[8:9], v[12:13], v[4:5], -v[8:9]
	v_fma_f64 v[4:5], v[14:15], v[4:5], v[6:7]
	v_add_f64 v[26:27], v[16:17], v[8:9]
	v_add_f64 v[33:34], v[4:5], v[18:19]
	ds_read_b128 v[8:11], v63 offset:320
	ds_read_b128 v[12:15], v38 offset:10240
	ds_read_b128 v[16:19], v38 offset:10496
	s_waitcnt lgkmcnt(1)
	v_mul_f64 v[4:5], v[10:11], v[14:15]
	s_waitcnt lgkmcnt(0)
	v_mul_f64 v[20:21], v[10:11], v[18:19]
	v_mul_f64 v[6:7], v[8:9], v[14:15]
	v_fma_f64 v[4:5], v[8:9], v[12:13], -v[4:5]
	v_fma_f64 v[20:21], v[8:9], v[16:17], -v[20:21]
	v_mul_f64 v[8:9], v[8:9], v[18:19]
	v_fma_f64 v[6:7], v[10:11], v[12:13], v[6:7]
	v_add_f64 v[4:5], v[28:29], v[4:5]
	v_add_f64 v[24:25], v[24:25], v[20:21]
	v_fma_f64 v[8:9], v[10:11], v[16:17], v[8:9]
	v_add_f64 v[6:7], v[6:7], v[31:32]
	v_add_f64 v[31:32], v[8:9], v[57:58]
	ds_read_b128 v[8:11], v63 offset:8512
	s_waitcnt lgkmcnt(0)
	v_mul_f64 v[20:21], v[10:11], v[14:15]
	v_mul_f64 v[14:15], v[8:9], v[14:15]
	v_fma_f64 v[20:21], v[8:9], v[12:13], -v[20:21]
	v_fma_f64 v[12:13], v[10:11], v[12:13], v[14:15]
	v_add_f64 v[20:21], v[0:1], v[20:21]
	v_mul_f64 v[0:1], v[10:11], v[18:19]
	v_add_f64 v[22:23], v[12:13], v[22:23]
	v_fma_f64 v[0:1], v[8:9], v[16:17], -v[0:1]
	v_mul_f64 v[8:9], v[8:9], v[18:19]
	v_fma_f64 v[8:9], v[10:11], v[16:17], v[8:9]
	v_add_f64 v[16:17], v[26:27], v[0:1]
	v_add_f64 v[18:19], v[8:9], v[33:34]
	ds_read_b128 v[12:15], v63 offset:336
	ds_read_b128 v[8:11], v38 offset:10752
	s_waitcnt lgkmcnt(0)
	v_mul_f64 v[0:1], v[14:15], v[10:11]
	v_mul_f64 v[26:27], v[12:13], v[10:11]
	v_fma_f64 v[0:1], v[12:13], v[8:9], -v[0:1]
	v_fma_f64 v[28:29], v[14:15], v[8:9], v[26:27]
	v_add_f64 v[26:27], v[4:5], v[0:1]
	v_add_f64 v[28:29], v[28:29], v[6:7]
	ds_read_b128 v[4:7], v38 offset:11008
	s_waitcnt lgkmcnt(0)
	v_mul_f64 v[0:1], v[14:15], v[6:7]
	v_fma_f64 v[0:1], v[12:13], v[4:5], -v[0:1]
	v_mul_f64 v[12:13], v[12:13], v[6:7]
	v_add_f64 v[24:25], v[24:25], v[0:1]
	v_fma_f64 v[12:13], v[14:15], v[4:5], v[12:13]
	v_add_f64 v[57:58], v[12:13], v[31:32]
	ds_read_b128 v[12:15], v63 offset:8528
	s_waitcnt lgkmcnt(0)
	v_mul_f64 v[0:1], v[14:15], v[10:11]
	v_mul_f64 v[10:11], v[12:13], v[10:11]
	v_fma_f64 v[0:1], v[12:13], v[8:9], -v[0:1]
	v_fma_f64 v[8:9], v[14:15], v[8:9], v[10:11]
	v_add_f64 v[0:1], v[20:21], v[0:1]
	v_add_f64 v[20:21], v[8:9], v[22:23]
	v_mul_f64 v[8:9], v[14:15], v[6:7]
	v_mul_f64 v[6:7], v[12:13], v[6:7]
	v_fma_f64 v[8:9], v[12:13], v[4:5], -v[8:9]
	v_fma_f64 v[4:5], v[14:15], v[4:5], v[6:7]
	v_add_f64 v[22:23], v[16:17], v[8:9]
	v_add_f64 v[31:32], v[4:5], v[18:19]
	ds_read_b128 v[4:7], v63 offset:352
	ds_read_b128 v[12:15], v38 offset:11264
	ds_read_b128 v[16:19], v38 offset:11520
	s_waitcnt lgkmcnt(1)
	v_mul_f64 v[8:9], v[6:7], v[14:15]
	v_mul_f64 v[10:11], v[4:5], v[14:15]
	v_fma_f64 v[8:9], v[4:5], v[12:13], -v[8:9]
	v_fma_f64 v[10:11], v[6:7], v[12:13], v[10:11]
	v_add_f64 v[8:9], v[26:27], v[8:9]
	s_waitcnt lgkmcnt(0)
	v_mul_f64 v[26:27], v[6:7], v[18:19]
	v_add_f64 v[10:11], v[10:11], v[28:29]
	v_fma_f64 v[26:27], v[4:5], v[16:17], -v[26:27]
	v_mul_f64 v[4:5], v[4:5], v[18:19]
	v_add_f64 v[26:27], v[24:25], v[26:27]
	v_fma_f64 v[4:5], v[6:7], v[16:17], v[4:5]
	v_add_f64 v[33:34], v[4:5], v[57:58]
	ds_read_b128 v[4:7], v63 offset:8544
	s_waitcnt lgkmcnt(0)
	v_mul_f64 v[24:25], v[6:7], v[14:15]
	v_mul_f64 v[14:15], v[4:5], v[14:15]
	v_fma_f64 v[24:25], v[4:5], v[12:13], -v[24:25]
	v_fma_f64 v[14:15], v[6:7], v[12:13], v[14:15]
	v_add_f64 v[12:13], v[0:1], v[24:25]
	v_mul_f64 v[0:1], v[6:7], v[18:19]
	v_add_f64 v[14:15], v[14:15], v[20:21]
	v_fma_f64 v[0:1], v[4:5], v[16:17], -v[0:1]
	v_mul_f64 v[4:5], v[4:5], v[18:19]
	v_fma_f64 v[4:5], v[6:7], v[16:17], v[4:5]
	v_add_f64 v[16:17], v[22:23], v[0:1]
	v_add_f64 v[18:19], v[4:5], v[31:32]
	ds_read_b128 v[20:23], v63 offset:368
	ds_read_b128 v[4:7], v38 offset:11776
	;; [unrolled: 1-line block ×3, first 2 shown]
	s_waitcnt lgkmcnt(1)
	v_mul_f64 v[0:1], v[22:23], v[6:7]
	v_mul_f64 v[24:25], v[20:21], v[6:7]
	v_fma_f64 v[0:1], v[20:21], v[4:5], -v[0:1]
	v_fma_f64 v[28:29], v[22:23], v[4:5], v[24:25]
	v_add_f64 v[24:25], v[8:9], v[0:1]
	v_add_f64 v[28:29], v[28:29], v[10:11]
	ds_read_b128 v[8:11], v38 offset:12032
	s_waitcnt lgkmcnt(0)
	v_mul_f64 v[0:1], v[22:23], v[10:11]
	v_fma_f64 v[0:1], v[20:21], v[8:9], -v[0:1]
	v_mul_f64 v[20:21], v[20:21], v[10:11]
	v_fma_f64 v[22:23], v[22:23], v[8:9], v[20:21]
	v_add_f64 v[20:21], v[26:27], v[0:1]
	v_mul_f64 v[0:1], v[49:50], v[6:7]
	v_mul_f64 v[6:7], v[47:48], v[6:7]
	v_add_f64 v[22:23], v[22:23], v[33:34]
	v_fma_f64 v[0:1], v[47:48], v[4:5], -v[0:1]
	v_fma_f64 v[4:5], v[49:50], v[4:5], v[6:7]
	v_mul_f64 v[6:7], v[47:48], v[10:11]
	v_add_f64 v[0:1], v[12:13], v[0:1]
	v_add_f64 v[31:32], v[4:5], v[14:15]
	v_mul_f64 v[4:5], v[49:50], v[10:11]
	v_fma_f64 v[6:7], v[49:50], v[8:9], v[6:7]
	v_fma_f64 v[4:5], v[47:48], v[8:9], -v[4:5]
	ds_read_b128 v[8:11], v63 offset:384
	ds_read_b128 v[12:15], v38 offset:12288
	v_add_f64 v[35:36], v[6:7], v[18:19]
	s_waitcnt lgkmcnt(0)
	v_mul_f64 v[6:7], v[8:9], v[14:15]
	v_add_f64 v[33:34], v[16:17], v[4:5]
	v_mul_f64 v[4:5], v[10:11], v[14:15]
	v_fma_f64 v[6:7], v[10:11], v[12:13], v[6:7]
	v_fma_f64 v[4:5], v[8:9], v[12:13], -v[4:5]
	v_add_f64 v[6:7], v[6:7], v[28:29]
	v_add_f64 v[4:5], v[24:25], v[4:5]
	ds_read_b128 v[24:27], v38 offset:12544
	s_waitcnt lgkmcnt(0)
	v_mul_f64 v[16:17], v[10:11], v[26:27]
	v_fma_f64 v[16:17], v[8:9], v[24:25], -v[16:17]
	v_mul_f64 v[8:9], v[8:9], v[26:27]
	v_add_f64 v[41:42], v[20:21], v[16:17]
	v_fma_f64 v[8:9], v[10:11], v[24:25], v[8:9]
	v_add_f64 v[45:46], v[8:9], v[22:23]
	ds_read_b128 v[8:11], v63 offset:8576
	s_waitcnt lgkmcnt(0)
	v_mul_f64 v[16:17], v[10:11], v[14:15]
	v_mul_f64 v[14:15], v[8:9], v[14:15]
	v_fma_f64 v[16:17], v[8:9], v[12:13], -v[16:17]
	v_fma_f64 v[12:13], v[10:11], v[12:13], v[14:15]
	v_add_f64 v[16:17], v[0:1], v[16:17]
	v_mul_f64 v[0:1], v[10:11], v[26:27]
	v_add_f64 v[18:19], v[12:13], v[31:32]
	v_fma_f64 v[0:1], v[8:9], v[24:25], -v[0:1]
	v_mul_f64 v[8:9], v[8:9], v[26:27]
	v_add_f64 v[12:13], v[33:34], v[0:1]
	v_fma_f64 v[8:9], v[10:11], v[24:25], v[8:9]
	v_add_f64 v[14:15], v[8:9], v[35:36]
	ds_read_b128 v[20:23], v63 offset:400
	ds_read_b128 v[8:11], v38 offset:12800
	;; [unrolled: 1-line block ×3, first 2 shown]
	s_waitcnt lgkmcnt(1)
	v_mul_f64 v[0:1], v[22:23], v[10:11]
	v_mul_f64 v[24:25], v[20:21], v[10:11]
	v_fma_f64 v[0:1], v[20:21], v[8:9], -v[0:1]
	v_fma_f64 v[26:27], v[22:23], v[8:9], v[24:25]
	v_add_f64 v[24:25], v[4:5], v[0:1]
	v_add_f64 v[28:29], v[26:27], v[6:7]
	ds_read_b128 v[4:7], v38 offset:13056
	s_waitcnt lgkmcnt(0)
	v_mul_f64 v[0:1], v[22:23], v[6:7]
	v_fma_f64 v[0:1], v[20:21], v[4:5], -v[0:1]
	v_mul_f64 v[20:21], v[20:21], v[6:7]
	v_fma_f64 v[22:23], v[22:23], v[4:5], v[20:21]
	v_add_f64 v[20:21], v[41:42], v[0:1]
	v_mul_f64 v[0:1], v[49:50], v[10:11]
	v_mul_f64 v[10:11], v[47:48], v[10:11]
	v_add_f64 v[22:23], v[22:23], v[45:46]
	v_fma_f64 v[0:1], v[47:48], v[8:9], -v[0:1]
	v_fma_f64 v[8:9], v[49:50], v[8:9], v[10:11]
	v_add_f64 v[0:1], v[16:17], v[0:1]
	v_add_f64 v[26:27], v[8:9], v[18:19]
	v_mul_f64 v[8:9], v[49:50], v[6:7]
	v_mul_f64 v[6:7], v[47:48], v[6:7]
	v_fma_f64 v[8:9], v[47:48], v[4:5], -v[8:9]
	v_fma_f64 v[4:5], v[49:50], v[4:5], v[6:7]
	v_add_f64 v[31:32], v[12:13], v[8:9]
	v_add_f64 v[33:34], v[4:5], v[14:15]
	ds_read_b128 v[8:11], v63 offset:416
	ds_read_b128 v[12:15], v38 offset:13312
	;; [unrolled: 1-line block ×3, first 2 shown]
	s_waitcnt lgkmcnt(1)
	v_mul_f64 v[4:5], v[10:11], v[14:15]
	v_mul_f64 v[6:7], v[8:9], v[14:15]
	v_fma_f64 v[4:5], v[8:9], v[12:13], -v[4:5]
	v_fma_f64 v[6:7], v[10:11], v[12:13], v[6:7]
	v_add_f64 v[4:5], v[24:25], v[4:5]
	s_waitcnt lgkmcnt(0)
	v_mul_f64 v[24:25], v[10:11], v[18:19]
	v_add_f64 v[6:7], v[6:7], v[28:29]
	v_fma_f64 v[24:25], v[8:9], v[16:17], -v[24:25]
	v_mul_f64 v[8:9], v[8:9], v[18:19]
	v_add_f64 v[24:25], v[20:21], v[24:25]
	v_fma_f64 v[8:9], v[10:11], v[16:17], v[8:9]
	v_add_f64 v[35:36], v[8:9], v[22:23]
	ds_read_b128 v[8:11], v63 offset:8608
	s_waitcnt lgkmcnt(0)
	v_mul_f64 v[20:21], v[10:11], v[14:15]
	v_mul_f64 v[14:15], v[8:9], v[14:15]
	v_fma_f64 v[20:21], v[8:9], v[12:13], -v[20:21]
	v_fma_f64 v[12:13], v[10:11], v[12:13], v[14:15]
	v_add_f64 v[20:21], v[0:1], v[20:21]
	v_mul_f64 v[0:1], v[10:11], v[18:19]
	v_add_f64 v[22:23], v[12:13], v[26:27]
	v_fma_f64 v[0:1], v[8:9], v[16:17], -v[0:1]
	v_mul_f64 v[8:9], v[8:9], v[18:19]
	v_fma_f64 v[8:9], v[10:11], v[16:17], v[8:9]
	v_add_f64 v[16:17], v[31:32], v[0:1]
	v_add_f64 v[18:19], v[8:9], v[33:34]
	ds_read_b128 v[12:15], v63 offset:432
	ds_read_b128 v[8:11], v38 offset:13824
	s_waitcnt lgkmcnt(0)
	v_mul_f64 v[0:1], v[14:15], v[10:11]
	v_mul_f64 v[26:27], v[12:13], v[10:11]
	v_fma_f64 v[0:1], v[12:13], v[8:9], -v[0:1]
	v_fma_f64 v[26:27], v[14:15], v[8:9], v[26:27]
	v_add_f64 v[28:29], v[4:5], v[0:1]
	v_add_f64 v[31:32], v[26:27], v[6:7]
	ds_read_b128 v[4:7], v38 offset:14080
	s_waitcnt lgkmcnt(0)
	v_mul_f64 v[0:1], v[14:15], v[6:7]
	v_fma_f64 v[0:1], v[12:13], v[4:5], -v[0:1]
	v_mul_f64 v[12:13], v[12:13], v[6:7]
	v_add_f64 v[24:25], v[24:25], v[0:1]
	v_fma_f64 v[12:13], v[14:15], v[4:5], v[12:13]
	v_add_f64 v[57:58], v[12:13], v[35:36]
	ds_read_b128 v[12:15], v63 offset:8624
	s_waitcnt lgkmcnt(0)
	v_mul_f64 v[0:1], v[14:15], v[10:11]
	v_mul_f64 v[10:11], v[12:13], v[10:11]
	v_fma_f64 v[0:1], v[12:13], v[8:9], -v[0:1]
	v_fma_f64 v[8:9], v[14:15], v[8:9], v[10:11]
	v_add_f64 v[0:1], v[20:21], v[0:1]
	v_add_f64 v[22:23], v[8:9], v[22:23]
	v_mul_f64 v[8:9], v[14:15], v[6:7]
	v_mul_f64 v[6:7], v[12:13], v[6:7]
	v_fma_f64 v[8:9], v[12:13], v[4:5], -v[8:9]
	v_fma_f64 v[4:5], v[14:15], v[4:5], v[6:7]
	v_add_f64 v[26:27], v[16:17], v[8:9]
	v_add_f64 v[33:34], v[4:5], v[18:19]
	ds_read_b128 v[8:11], v63 offset:448
	ds_read_b128 v[12:15], v38 offset:14336
	ds_read_b128 v[16:19], v38 offset:14592
	s_waitcnt lgkmcnt(1)
	v_mul_f64 v[4:5], v[10:11], v[14:15]
	s_waitcnt lgkmcnt(0)
	v_mul_f64 v[20:21], v[10:11], v[18:19]
	v_mul_f64 v[6:7], v[8:9], v[14:15]
	v_fma_f64 v[4:5], v[8:9], v[12:13], -v[4:5]
	v_fma_f64 v[20:21], v[8:9], v[16:17], -v[20:21]
	v_mul_f64 v[8:9], v[8:9], v[18:19]
	v_fma_f64 v[6:7], v[10:11], v[12:13], v[6:7]
	v_add_f64 v[4:5], v[28:29], v[4:5]
	v_add_f64 v[24:25], v[24:25], v[20:21]
	v_fma_f64 v[8:9], v[10:11], v[16:17], v[8:9]
	v_add_f64 v[6:7], v[6:7], v[31:32]
	v_add_f64 v[35:36], v[8:9], v[57:58]
	ds_read_b128 v[8:11], v63 offset:8640
	s_waitcnt lgkmcnt(0)
	v_mul_f64 v[20:21], v[10:11], v[14:15]
	v_mul_f64 v[14:15], v[8:9], v[14:15]
	v_fma_f64 v[20:21], v[8:9], v[12:13], -v[20:21]
	v_fma_f64 v[12:13], v[10:11], v[12:13], v[14:15]
	v_add_f64 v[20:21], v[0:1], v[20:21]
	v_mul_f64 v[0:1], v[10:11], v[18:19]
	v_add_f64 v[22:23], v[12:13], v[22:23]
	v_fma_f64 v[0:1], v[8:9], v[16:17], -v[0:1]
	v_mul_f64 v[8:9], v[8:9], v[18:19]
	v_fma_f64 v[8:9], v[10:11], v[16:17], v[8:9]
	v_add_f64 v[16:17], v[26:27], v[0:1]
	v_add_f64 v[18:19], v[8:9], v[33:34]
	ds_read_b128 v[12:15], v63 offset:464
	ds_read_b128 v[8:11], v38 offset:14848
	s_waitcnt lgkmcnt(0)
	v_mul_f64 v[0:1], v[14:15], v[10:11]
	v_mul_f64 v[26:27], v[12:13], v[10:11]
	v_fma_f64 v[0:1], v[12:13], v[8:9], -v[0:1]
	v_fma_f64 v[26:27], v[14:15], v[8:9], v[26:27]
	v_add_f64 v[28:29], v[4:5], v[0:1]
	v_add_f64 v[31:32], v[26:27], v[6:7]
	ds_read_b128 v[4:7], v38 offset:15104
	s_waitcnt lgkmcnt(0)
	v_mul_f64 v[0:1], v[14:15], v[6:7]
	v_fma_f64 v[0:1], v[12:13], v[4:5], -v[0:1]
	v_mul_f64 v[12:13], v[12:13], v[6:7]
	v_add_f64 v[24:25], v[24:25], v[0:1]
	v_fma_f64 v[12:13], v[14:15], v[4:5], v[12:13]
	v_add_f64 v[57:58], v[12:13], v[35:36]
	ds_read_b128 v[12:15], v63 offset:8656
	s_waitcnt lgkmcnt(0)
	v_mul_f64 v[0:1], v[14:15], v[10:11]
	v_mul_f64 v[10:11], v[12:13], v[10:11]
	v_fma_f64 v[0:1], v[12:13], v[8:9], -v[0:1]
	v_fma_f64 v[8:9], v[14:15], v[8:9], v[10:11]
	v_add_f64 v[0:1], v[20:21], v[0:1]
	v_add_f64 v[20:21], v[8:9], v[22:23]
	v_mul_f64 v[8:9], v[14:15], v[6:7]
	v_mul_f64 v[6:7], v[12:13], v[6:7]
	v_fma_f64 v[8:9], v[12:13], v[4:5], -v[8:9]
	v_fma_f64 v[4:5], v[14:15], v[4:5], v[6:7]
	v_add_f64 v[22:23], v[16:17], v[8:9]
	ds_read_b128 v[8:11], v63 offset:480
	ds_read_b128 v[12:15], v38 offset:15360
	v_add_f64 v[26:27], v[4:5], v[18:19]
	ds_read_b128 v[16:19], v38 offset:15616
	s_waitcnt lgkmcnt(1)
	v_mul_f64 v[4:5], v[10:11], v[14:15]
	v_mul_f64 v[6:7], v[8:9], v[14:15]
	v_fma_f64 v[4:5], v[8:9], v[12:13], -v[4:5]
	v_fma_f64 v[6:7], v[10:11], v[12:13], v[6:7]
	v_add_f64 v[4:5], v[28:29], v[4:5]
	s_waitcnt lgkmcnt(0)
	v_mul_f64 v[28:29], v[10:11], v[18:19]
	v_add_f64 v[6:7], v[6:7], v[31:32]
	v_fma_f64 v[28:29], v[8:9], v[16:17], -v[28:29]
	v_mul_f64 v[8:9], v[8:9], v[18:19]
	v_add_f64 v[28:29], v[24:25], v[28:29]
	v_fma_f64 v[8:9], v[10:11], v[16:17], v[8:9]
	v_add_f64 v[33:34], v[8:9], v[57:58]
	ds_read_b128 v[8:11], v63 offset:8672
	s_waitcnt lgkmcnt(0)
	v_mul_f64 v[24:25], v[10:11], v[14:15]
	v_mul_f64 v[14:15], v[8:9], v[14:15]
	v_fma_f64 v[24:25], v[8:9], v[12:13], -v[24:25]
	v_fma_f64 v[12:13], v[10:11], v[12:13], v[14:15]
	v_add_f64 v[24:25], v[0:1], v[24:25]
	v_mul_f64 v[0:1], v[10:11], v[18:19]
	v_add_f64 v[31:32], v[12:13], v[20:21]
	v_fma_f64 v[0:1], v[8:9], v[16:17], -v[0:1]
	v_mul_f64 v[8:9], v[8:9], v[18:19]
	v_add_f64 v[20:21], v[22:23], v[0:1]
	v_fma_f64 v[8:9], v[10:11], v[16:17], v[8:9]
	v_add_f64 v[22:23], v[8:9], v[26:27]
	ds_read_b128 v[12:15], v63 offset:496
	ds_read_b128 v[8:11], v38 offset:15872
	s_waitcnt lgkmcnt(0)
	v_mul_f64 v[0:1], v[14:15], v[10:11]
	v_mul_f64 v[16:17], v[12:13], v[10:11]
	v_fma_f64 v[0:1], v[12:13], v[8:9], -v[0:1]
	v_fma_f64 v[16:17], v[14:15], v[8:9], v[16:17]
	v_add_f64 v[57:58], v[4:5], v[0:1]
	v_add_f64 v[59:60], v[16:17], v[6:7]
	ds_read_b128 v[4:7], v38 offset:16128
	s_waitcnt lgkmcnt(0)
	v_mul_f64 v[0:1], v[14:15], v[6:7]
	v_fma_f64 v[0:1], v[12:13], v[4:5], -v[0:1]
	v_mul_f64 v[12:13], v[12:13], v[6:7]
	v_add_f64 v[16:17], v[28:29], v[0:1]
	v_fma_f64 v[12:13], v[14:15], v[4:5], v[12:13]
	v_add_f64 v[18:19], v[12:13], v[33:34]
	ds_read_b128 v[12:15], v63 offset:8688
	s_waitcnt lgkmcnt(0)
	s_barrier
	v_mul_f64 v[0:1], v[14:15], v[10:11]
	v_mul_f64 v[10:11], v[12:13], v[10:11]
	v_fma_f64 v[0:1], v[12:13], v[8:9], -v[0:1]
	v_fma_f64 v[8:9], v[14:15], v[8:9], v[10:11]
	v_add_f64 v[61:62], v[24:25], v[0:1]
	v_mul_f64 v[0:1], v[14:15], v[6:7]
	v_mul_f64 v[6:7], v[12:13], v[6:7]
	v_add_f64 v[24:25], v[8:9], v[31:32]
	v_fma_f64 v[0:1], v[12:13], v[4:5], -v[0:1]
	v_fma_f64 v[4:5], v[14:15], v[4:5], v[6:7]
	v_add_f64 v[14:15], v[20:21], v[0:1]
	v_add_f64 v[12:13], v[4:5], v[22:23]
	v_mov_b32_e32 v0, s41
	v_addc_co_u32_e64 v56, s[10:11], v56, v0, s[10:11]
	v_add_co_u32_e64 v53, s[10:11], s34, v53
	v_mov_b32_e32 v0, s35
	v_addc_co_u32_e64 v54, s[10:11], v54, v0, s[10:11]
	v_add_co_u32_e64 v51, s[10:11], s34, v51
	v_addc_co_u32_e64 v52, s[10:11], v52, v0, s[10:11]
	s_cbranch_scc1 .LBB128_55
.LBB128_7:                              ;   Parent Loop BB128_4 Depth=1
                                        ; =>  This Inner Loop Header: Depth=2
	buffer_load_dword v1, off, s[56:59], 0 offset:36 ; 4-byte Folded Reload
	v_mov_b32_e32 v0, s25
	s_waitcnt vmcnt(4)
	v_add_co_u32_e64 v6, s[12:13], v53, v43
	s_waitcnt vmcnt(3)
	v_addc_co_u32_e64 v7, s[12:13], v54, v44, s[12:13]
	s_waitcnt vmcnt(0)
	v_add_co_u32_e64 v8, s[10:11], s24, v1
	v_addc_co_u32_e64 v9, s[10:11], 0, v0, s[10:11]
	buffer_load_dword v0, off, s[56:59], 0 offset:4 ; 4-byte Folded Reload
	buffer_load_dword v1, off, s[56:59], 0 offset:8 ; 4-byte Folded Reload
	v_cmp_le_i64_e64 s[12:13], s[46:47], v[8:9]
	s_waitcnt vmcnt(0)
	v_cmp_eq_u64_e64 s[10:11], s[24:25], v[0:1]
	s_and_b64 s[36:37], s[22:23], s[10:11]
	v_cmp_gt_i64_e64 s[10:11], v[8:9], v[39:40]
	s_or_b64 s[14:15], s[16:17], s[10:11]
	s_or_b64 s[14:15], s[14:15], s[36:37]
	s_nor_b64 s[14:15], s[12:13], s[14:15]
	s_and_saveexec_b64 s[18:19], s[14:15]
	s_xor_b64 s[14:15], exec, s[18:19]
	s_cbranch_execz .LBB128_9
; %bb.8:                                ;   in Loop: Header=BB128_7 Depth=2
	global_load_dwordx4 v[20:23], v[6:7], off
	s_waitcnt vmcnt(0)
	v_xor_b32_e32 v23, 0x80000000, v23
	ds_write_b128 v37, v[20:23]
.LBB128_9:                              ;   in Loop: Header=BB128_7 Depth=2
	s_or_saveexec_b64 s[14:15], s[14:15]
	s_xor_b64 s[26:27], s[36:37], -1
	s_xor_b64 exec, exec, s[14:15]
	s_cbranch_execz .LBB128_15
; %bb.10:                               ;   in Loop: Header=BB128_7 Depth=2
	s_and_saveexec_b64 s[18:19], s[26:27]
	s_xor_b64 s[18:19], exec, s[18:19]
; %bb.11:                               ;   in Loop: Header=BB128_7 Depth=2
	v_mov_b32_e32 v20, v2
	v_mov_b32_e32 v21, v2
	v_mov_b32_e32 v22, v2
	v_mov_b32_e32 v23, v2
	ds_write_b128 v37, v[20:23]
; %bb.12:                               ;   in Loop: Header=BB128_7 Depth=2
	s_andn2_saveexec_b64 s[18:19], s[18:19]
; %bb.13:                               ;   in Loop: Header=BB128_7 Depth=2
	v_mov_b32_e32 v4, v2
	v_mov_b32_e32 v5, v2
	ds_write_b128 v37, v[2:5]
; %bb.14:                               ;   in Loop: Header=BB128_7 Depth=2
	s_or_b64 exec, exec, s[18:19]
.LBB128_15:                             ;   in Loop: Header=BB128_7 Depth=2
	s_or_b64 exec, exec, s[14:15]
	buffer_load_dword v0, off, s[56:59], 0 offset:28 ; 4-byte Folded Reload
	buffer_load_dword v1, off, s[56:59], 0 offset:32 ; 4-byte Folded Reload
	v_add_co_u32_e64 v4, s[18:19], 16, v8
	v_addc_co_u32_e64 v5, s[18:19], 0, v9, s[18:19]
	v_cmp_gt_i64_e64 s[18:19], v[4:5], v[39:40]
	s_or_b64 s[18:19], s[16:17], s[18:19]
	s_waitcnt vmcnt(0)
	v_cmp_eq_u64_e64 s[14:15], s[24:25], v[0:1]
	s_and_b64 s[20:21], s[22:23], s[14:15]
	v_cmp_le_i64_e64 s[14:15], s[46:47], v[4:5]
	s_or_b64 s[18:19], s[18:19], s[20:21]
	s_nor_b64 s[18:19], s[14:15], s[18:19]
	s_and_saveexec_b64 s[38:39], s[18:19]
	s_xor_b64 s[38:39], exec, s[38:39]
	s_cbranch_execz .LBB128_17
; %bb.16:                               ;   in Loop: Header=BB128_7 Depth=2
	v_add_co_u32_e64 v4, s[18:19], v51, v43
	v_addc_co_u32_e64 v5, s[18:19], v52, v44, s[18:19]
	global_load_dwordx4 v[20:23], v[4:5], off
	s_waitcnt vmcnt(0)
	v_xor_b32_e32 v23, 0x80000000, v23
	ds_write_b128 v37, v[20:23] offset:256
.LBB128_17:                             ;   in Loop: Header=BB128_7 Depth=2
	s_andn2_saveexec_b64 s[18:19], s[38:39]
	s_cbranch_execz .LBB128_23
; %bb.18:                               ;   in Loop: Header=BB128_7 Depth=2
	s_xor_b64 s[20:21], s[20:21], -1
	s_and_saveexec_b64 s[38:39], s[20:21]
	s_xor_b64 s[20:21], exec, s[38:39]
; %bb.19:                               ;   in Loop: Header=BB128_7 Depth=2
	v_mov_b32_e32 v20, v2
	v_mov_b32_e32 v21, v2
	;; [unrolled: 1-line block ×4, first 2 shown]
	ds_write_b128 v37, v[20:23] offset:256
; %bb.20:                               ;   in Loop: Header=BB128_7 Depth=2
	s_andn2_saveexec_b64 s[20:21], s[20:21]
; %bb.21:                               ;   in Loop: Header=BB128_7 Depth=2
	v_mov_b32_e32 v4, v2
	v_mov_b32_e32 v5, v2
	ds_write_b128 v37, v[2:5] offset:256
; %bb.22:                               ;   in Loop: Header=BB128_7 Depth=2
	s_or_b64 exec, exec, s[20:21]
.LBB128_23:                             ;   in Loop: Header=BB128_7 Depth=2
	s_or_b64 exec, exec, s[18:19]
	buffer_load_dword v0, off, s[56:59], 0 offset:20 ; 4-byte Folded Reload
	buffer_load_dword v1, off, s[56:59], 0 offset:24 ; 4-byte Folded Reload
	s_waitcnt vmcnt(0)
	v_cmp_eq_u64_e64 s[18:19], s[24:25], v[0:1]
	buffer_load_dword v0, off, s[56:59], 0 offset:12 ; 4-byte Folded Reload
	buffer_load_dword v1, off, s[56:59], 0 offset:16 ; 4-byte Folded Reload
	s_and_b64 s[18:19], s[22:23], s[18:19]
	s_waitcnt vmcnt(0)
	v_cmp_gt_i64_e64 s[20:21], v[8:9], v[0:1]
	s_or_b64 s[20:21], s[8:9], s[20:21]
	s_or_b64 s[20:21], s[20:21], s[18:19]
	s_nor_b64 s[12:13], s[12:13], s[20:21]
	s_and_saveexec_b64 s[20:21], s[12:13]
	s_xor_b64 s[12:13], exec, s[20:21]
	s_cbranch_execz .LBB128_25
; %bb.24:                               ;   in Loop: Header=BB128_7 Depth=2
	global_load_dwordx4 v[4:7], v[6:7], off offset:256
	s_waitcnt vmcnt(0)
	v_xor_b32_e32 v7, 0x80000000, v7
	ds_write_b128 v37, v[4:7] offset:8192
.LBB128_25:                             ;   in Loop: Header=BB128_7 Depth=2
	s_andn2_saveexec_b64 s[12:13], s[12:13]
	s_cbranch_execz .LBB128_31
; %bb.26:                               ;   in Loop: Header=BB128_7 Depth=2
	s_xor_b64 s[18:19], s[18:19], -1
	s_and_saveexec_b64 s[20:21], s[18:19]
	s_xor_b64 s[18:19], exec, s[20:21]
; %bb.27:                               ;   in Loop: Header=BB128_7 Depth=2
	v_mov_b32_e32 v4, v2
	v_mov_b32_e32 v5, v2
	;; [unrolled: 1-line block ×4, first 2 shown]
	ds_write_b128 v37, v[4:7] offset:8192
; %bb.28:                               ;   in Loop: Header=BB128_7 Depth=2
	s_andn2_saveexec_b64 s[18:19], s[18:19]
; %bb.29:                               ;   in Loop: Header=BB128_7 Depth=2
	v_mov_b32_e32 v4, v2
	v_mov_b32_e32 v5, v2
	ds_write_b128 v37, v[2:5] offset:8192
; %bb.30:                               ;   in Loop: Header=BB128_7 Depth=2
	s_or_b64 exec, exec, s[18:19]
.LBB128_31:                             ;   in Loop: Header=BB128_7 Depth=2
	s_or_b64 exec, exec, s[12:13]
	s_or_b64 s[10:11], s[8:9], s[10:11]
	s_or_b64 s[10:11], s[10:11], s[36:37]
	s_nor_b64 s[10:11], s[14:15], s[10:11]
	s_and_saveexec_b64 s[12:13], s[10:11]
	s_xor_b64 s[12:13], exec, s[12:13]
	s_cbranch_execz .LBB128_33
; %bb.32:                               ;   in Loop: Header=BB128_7 Depth=2
	v_add_co_u32_e64 v4, s[10:11], v51, v43
	v_addc_co_u32_e64 v5, s[10:11], v52, v44, s[10:11]
	global_load_dwordx4 v[4:7], v[4:5], off offset:256
	s_waitcnt vmcnt(0)
	v_xor_b32_e32 v7, 0x80000000, v7
	ds_write_b128 v37, v[4:7] offset:8448
.LBB128_33:                             ;   in Loop: Header=BB128_7 Depth=2
	s_andn2_saveexec_b64 s[10:11], s[12:13]
	s_cbranch_execz .LBB128_39
; %bb.34:                               ;   in Loop: Header=BB128_7 Depth=2
	s_and_saveexec_b64 s[12:13], s[26:27]
	s_xor_b64 s[12:13], exec, s[12:13]
; %bb.35:                               ;   in Loop: Header=BB128_7 Depth=2
	v_mov_b32_e32 v4, v2
	v_mov_b32_e32 v5, v2
	;; [unrolled: 1-line block ×4, first 2 shown]
	ds_write_b128 v37, v[4:7] offset:8448
; %bb.36:                               ;   in Loop: Header=BB128_7 Depth=2
	s_andn2_saveexec_b64 s[12:13], s[12:13]
; %bb.37:                               ;   in Loop: Header=BB128_7 Depth=2
	v_mov_b32_e32 v4, v2
	v_mov_b32_e32 v5, v2
	ds_write_b128 v37, v[2:5] offset:8448
; %bb.38:                               ;   in Loop: Header=BB128_7 Depth=2
	s_or_b64 exec, exec, s[12:13]
.LBB128_39:                             ;   in Loop: Header=BB128_7 Depth=2
	s_or_b64 exec, exec, s[10:11]
	buffer_load_dword v0, off, s[56:59], 0  ; 4-byte Folded Reload
	s_waitcnt vmcnt(0)
	v_add_co_u32_e64 v4, s[10:11], s24, v0
	v_mov_b32_e32 v0, s25
	v_addc_co_u32_e64 v5, s[10:11], 0, v0, s[10:11]
	buffer_load_dword v0, off, s[56:59], 0 offset:52 ; 4-byte Folded Reload
	buffer_load_dword v1, off, s[56:59], 0 offset:56 ; 4-byte Folded Reload
	s_waitcnt vmcnt(1)
	v_add_co_u32_e64 v6, s[10:11], v55, v0
	s_waitcnt vmcnt(0)
	v_addc_co_u32_e64 v7, s[10:11], v56, v1, s[10:11]
	v_cmp_le_i64_e64 s[10:11], s[46:47], v[4:5]
	s_nor_b64 s[12:13], s[10:11], vcc
	s_and_saveexec_b64 s[14:15], s[12:13]
	s_xor_b64 s[12:13], exec, s[14:15]
	s_cbranch_execz .LBB128_41
; %bb.40:                               ;   in Loop: Header=BB128_7 Depth=2
	global_load_dwordx4 v[8:11], v[6:7], off offset:-256
	s_waitcnt vmcnt(0)
	ds_write2_b64 v30, v[8:9], v[10:11] offset1:1
.LBB128_41:                             ;   in Loop: Header=BB128_7 Depth=2
	s_andn2_saveexec_b64 s[12:13], s[12:13]
; %bb.42:                               ;   in Loop: Header=BB128_7 Depth=2
	v_mov_b32_e32 v8, v2
	v_mov_b32_e32 v9, v2
	v_mov_b32_e32 v10, v2
	v_mov_b32_e32 v11, v2
	ds_write_b128 v30, v[8:11]
; %bb.43:                               ;   in Loop: Header=BB128_7 Depth=2
	s_or_b64 exec, exec, s[12:13]
	s_nor_b64 s[10:11], s[10:11], s[0:1]
	s_and_saveexec_b64 s[12:13], s[10:11]
	s_xor_b64 s[10:11], exec, s[12:13]
	s_cbranch_execz .LBB128_45
; %bb.44:                               ;   in Loop: Header=BB128_7 Depth=2
	global_load_dwordx4 v[6:9], v[6:7], off
	v_add_u32_e32 v0, 0x100, v30
	s_waitcnt vmcnt(0)
	ds_write2_b64 v0, v[6:7], v[8:9] offset1:1
.LBB128_45:                             ;   in Loop: Header=BB128_7 Depth=2
	s_andn2_saveexec_b64 s[10:11], s[10:11]
; %bb.46:                               ;   in Loop: Header=BB128_7 Depth=2
	v_mov_b32_e32 v6, v2
	v_mov_b32_e32 v7, v2
	;; [unrolled: 1-line block ×4, first 2 shown]
	ds_write_b128 v30, v[6:9] offset:256
; %bb.47:                               ;   in Loop: Header=BB128_7 Depth=2
	s_or_b64 exec, exec, s[10:11]
	buffer_load_dword v0, off, s[56:59], 0 offset:40 ; 4-byte Folded Reload
	buffer_load_dword v1, off, s[56:59], 0 offset:44 ; 4-byte Folded Reload
	v_cmp_le_i64_e64 s[10:11], s[42:43], v[4:5]
	s_waitcnt vmcnt(1)
	v_add_co_u32_e64 v4, s[12:13], v55, v0
	buffer_load_dword v0, off, s[56:59], 0 offset:48 ; 4-byte Folded Reload
	s_waitcnt vmcnt(0)
	v_addc_co_u32_e64 v5, s[12:13], v56, v0, s[12:13]
	s_nor_b64 s[12:13], s[10:11], vcc
	s_and_saveexec_b64 s[14:15], s[12:13]
	s_xor_b64 s[12:13], exec, s[14:15]
	s_cbranch_execz .LBB128_49
; %bb.48:                               ;   in Loop: Header=BB128_7 Depth=2
	global_load_dwordx4 v[6:9], v[4:5], off offset:-256
	v_add_u32_e32 v0, 0x2000, v30
	s_waitcnt vmcnt(0)
	ds_write2_b64 v0, v[6:7], v[8:9] offset1:1
.LBB128_49:                             ;   in Loop: Header=BB128_7 Depth=2
	s_andn2_saveexec_b64 s[12:13], s[12:13]
; %bb.50:                               ;   in Loop: Header=BB128_7 Depth=2
	v_mov_b32_e32 v6, v2
	v_mov_b32_e32 v7, v2
	;; [unrolled: 1-line block ×4, first 2 shown]
	ds_write_b128 v30, v[6:9] offset:8192
; %bb.51:                               ;   in Loop: Header=BB128_7 Depth=2
	s_or_b64 exec, exec, s[12:13]
	s_nor_b64 s[10:11], s[10:11], s[0:1]
	s_and_saveexec_b64 s[12:13], s[10:11]
	s_xor_b64 s[10:11], exec, s[12:13]
	s_cbranch_execz .LBB128_53
; %bb.52:                               ;   in Loop: Header=BB128_7 Depth=2
	global_load_dwordx4 v[4:7], v[4:5], off
	v_add_u32_e32 v0, 0x2100, v30
	s_waitcnt vmcnt(0)
	ds_write2_b64 v0, v[4:5], v[6:7] offset1:1
.LBB128_53:                             ;   in Loop: Header=BB128_7 Depth=2
	s_andn2_saveexec_b64 s[10:11], s[10:11]
	s_cbranch_execz .LBB128_6
; %bb.54:                               ;   in Loop: Header=BB128_7 Depth=2
	v_mov_b32_e32 v4, v2
	v_mov_b32_e32 v5, v2
	;; [unrolled: 1-line block ×4, first 2 shown]
	ds_write_b128 v30, v[4:7] offset:8448
	s_branch .LBB128_6
.LBB128_55:                             ;   in Loop: Header=BB128_4 Depth=1
	v_mul_lo_u32 v4, s49, v39
	v_mul_lo_u32 v5, s48, v40
	v_mad_u64_u32 v[0:1], s[8:9], s48, v39, 0
	v_cmp_gt_i32_e64 s[8:9], s46, v39
	v_add3_u32 v1, v1, v5, v4
	v_lshlrev_b64 v[0:1], 4, v[0:1]
	v_mov_b32_e32 v5, s51
	v_add_co_u32_e64 v4, s[10:11], s50, v0
	v_addc_co_u32_e64 v5, s[10:11], v5, v1, s[10:11]
	s_and_b64 s[10:11], s[2:3], s[8:9]
	s_and_saveexec_b64 s[12:13], s[10:11]
	s_cbranch_execz .LBB128_57
; %bb.56:                               ;   in Loop: Header=BB128_4 Depth=1
	buffer_load_dword v0, off, s[56:59], 0 offset:68 ; 4-byte Folded Reload
	buffer_load_dword v1, off, s[56:59], 0 offset:72 ; 4-byte Folded Reload
	v_mul_f64 v[10:11], s[30:31], v[59:60]
	v_mul_f64 v[20:21], s[28:29], v[59:60]
	v_fma_f64 v[10:11], s[28:29], v[57:58], -v[10:11]
	v_fma_f64 v[20:21], s[30:31], v[57:58], v[20:21]
	s_waitcnt vmcnt(1)
	v_add_co_u32_e64 v0, s[10:11], v4, v0
	s_waitcnt vmcnt(0)
	v_addc_co_u32_e64 v1, s[10:11], v5, v1, s[10:11]
	global_load_dwordx4 v[6:9], v[0:1], off
	s_waitcnt vmcnt(0)
	v_add_f64 v[6:7], v[6:7], v[10:11]
	v_add_f64 v[8:9], v[20:21], v[8:9]
	global_store_dwordx4 v[0:1], v[6:9], off
.LBB128_57:                             ;   in Loop: Header=BB128_4 Depth=1
	s_or_b64 exec, exec, s[12:13]
	s_and_b64 s[8:9], s[4:5], s[8:9]
	s_mov_b64 s[10:11], exec
	buffer_load_dword v20, off, s[56:59], 0 offset:60 ; 4-byte Folded Reload
	buffer_load_dword v21, off, s[56:59], 0 offset:64 ; 4-byte Folded Reload
	s_and_b64 s[8:9], s[10:11], s[8:9]
	s_mov_b64 exec, s[8:9]
	s_cbranch_execz .LBB128_59
; %bb.58:                               ;   in Loop: Header=BB128_4 Depth=1
	buffer_load_dword v0, off, s[56:59], 0 offset:76 ; 4-byte Folded Reload
	buffer_load_dword v1, off, s[56:59], 0 offset:80 ; 4-byte Folded Reload
	v_mul_f64 v[8:9], s[30:31], v[18:19]
	v_mul_f64 v[10:11], s[28:29], v[18:19]
	v_fma_f64 v[8:9], s[28:29], v[16:17], -v[8:9]
	v_fma_f64 v[10:11], s[30:31], v[16:17], v[10:11]
	s_waitcnt vmcnt(1)
	v_add_co_u32_e64 v0, s[8:9], v4, v0
	s_waitcnt vmcnt(0)
	v_addc_co_u32_e64 v1, s[8:9], v5, v1, s[8:9]
	global_load_dwordx4 v[4:7], v[0:1], off
	s_waitcnt vmcnt(0)
	v_add_f64 v[4:5], v[4:5], v[8:9]
	v_add_f64 v[6:7], v[10:11], v[6:7]
	global_store_dwordx4 v[0:1], v[4:7], off
.LBB128_59:                             ;   in Loop: Header=BB128_4 Depth=1
	s_or_b64 exec, exec, s[10:11]
	v_add_u32_e32 v4, 16, v39
	v_ashrrev_i32_e32 v0, 31, v4
	v_mul_lo_u32 v5, s48, v0
	v_mul_lo_u32 v6, s49, v4
	v_mad_u64_u32 v[0:1], s[8:9], s48, v4, 0
	v_cmp_gt_i32_e64 s[8:9], s46, v4
	v_add3_u32 v1, v1, v5, v6
	v_lshlrev_b64 v[0:1], 4, v[0:1]
	v_mov_b32_e32 v5, s51
	v_add_co_u32_e64 v4, s[10:11], s50, v0
	v_addc_co_u32_e64 v5, s[10:11], v5, v1, s[10:11]
	s_and_b64 s[10:11], s[2:3], s[8:9]
	s_and_saveexec_b64 s[12:13], s[10:11]
	s_cbranch_execz .LBB128_61
; %bb.60:                               ;   in Loop: Header=BB128_4 Depth=1
	buffer_load_dword v0, off, s[56:59], 0 offset:68 ; 4-byte Folded Reload
	buffer_load_dword v1, off, s[56:59], 0 offset:72 ; 4-byte Folded Reload
	v_mul_f64 v[10:11], s[30:31], v[24:25]
	v_mul_f64 v[16:17], s[28:29], v[24:25]
	v_fma_f64 v[10:11], s[28:29], v[61:62], -v[10:11]
	v_fma_f64 v[16:17], s[30:31], v[61:62], v[16:17]
	s_waitcnt vmcnt(1)
	v_add_co_u32_e64 v0, s[10:11], v4, v0
	s_waitcnt vmcnt(0)
	v_addc_co_u32_e64 v1, s[10:11], v5, v1, s[10:11]
	global_load_dwordx4 v[6:9], v[0:1], off
	s_waitcnt vmcnt(0)
	v_add_f64 v[6:7], v[6:7], v[10:11]
	v_add_f64 v[8:9], v[16:17], v[8:9]
	global_store_dwordx4 v[0:1], v[6:9], off
.LBB128_61:                             ;   in Loop: Header=BB128_4 Depth=1
	s_or_b64 exec, exec, s[12:13]
	s_and_b64 s[8:9], s[4:5], s[8:9]
	s_and_saveexec_b64 s[10:11], s[8:9]
	s_cbranch_execz .LBB128_3
; %bb.62:                               ;   in Loop: Header=BB128_4 Depth=1
	buffer_load_dword v0, off, s[56:59], 0 offset:76 ; 4-byte Folded Reload
	buffer_load_dword v1, off, s[56:59], 0 offset:80 ; 4-byte Folded Reload
	v_mul_f64 v[8:9], s[30:31], v[12:13]
	v_mul_f64 v[10:11], s[28:29], v[12:13]
	v_fma_f64 v[8:9], s[28:29], v[14:15], -v[8:9]
	v_fma_f64 v[10:11], s[30:31], v[14:15], v[10:11]
	s_waitcnt vmcnt(1)
	v_add_co_u32_e64 v0, s[8:9], v4, v0
	s_waitcnt vmcnt(0)
	v_addc_co_u32_e64 v1, s[8:9], v5, v1, s[8:9]
	global_load_dwordx4 v[4:7], v[0:1], off
	s_waitcnt vmcnt(0)
	v_add_f64 v[4:5], v[4:5], v[8:9]
	v_add_f64 v[6:7], v[10:11], v[6:7]
	global_store_dwordx4 v[0:1], v[4:7], off
	s_branch .LBB128_3
.LBB128_63:
	s_endpgm
	.section	.rodata,"a",@progbits
	.p2align	6, 0x0
	.amdhsa_kernel _ZL30rocblas_trmm_outofplace_kernelI19rocblas_complex_numIdELi32ELi2ELb0ELb0ELb1ELb1EPKS1_S2_S1_Ev17rocblas_diagonal_iiT6_lPT7_lllS7_lllPT8_llli
		.amdhsa_group_segment_fixed_size 32768
		.amdhsa_private_segment_fixed_size 120
		.amdhsa_kernarg_size 392
		.amdhsa_user_sgpr_count 6
		.amdhsa_user_sgpr_private_segment_buffer 1
		.amdhsa_user_sgpr_dispatch_ptr 0
		.amdhsa_user_sgpr_queue_ptr 0
		.amdhsa_user_sgpr_kernarg_segment_ptr 1
		.amdhsa_user_sgpr_dispatch_id 0
		.amdhsa_user_sgpr_flat_scratch_init 0
		.amdhsa_user_sgpr_private_segment_size 0
		.amdhsa_uses_dynamic_stack 0
		.amdhsa_system_sgpr_private_segment_wavefront_offset 1
		.amdhsa_system_sgpr_workgroup_id_x 1
		.amdhsa_system_sgpr_workgroup_id_y 1
		.amdhsa_system_sgpr_workgroup_id_z 1
		.amdhsa_system_sgpr_workgroup_info 0
		.amdhsa_system_vgpr_workitem_id 1
		.amdhsa_next_free_vgpr 64
		.amdhsa_next_free_sgpr 61
		.amdhsa_reserve_vcc 1
		.amdhsa_reserve_flat_scratch 0
		.amdhsa_float_round_mode_32 0
		.amdhsa_float_round_mode_16_64 0
		.amdhsa_float_denorm_mode_32 3
		.amdhsa_float_denorm_mode_16_64 3
		.amdhsa_dx10_clamp 1
		.amdhsa_ieee_mode 1
		.amdhsa_fp16_overflow 0
		.amdhsa_exception_fp_ieee_invalid_op 0
		.amdhsa_exception_fp_denorm_src 0
		.amdhsa_exception_fp_ieee_div_zero 0
		.amdhsa_exception_fp_ieee_overflow 0
		.amdhsa_exception_fp_ieee_underflow 0
		.amdhsa_exception_fp_ieee_inexact 0
		.amdhsa_exception_int_div_zero 0
	.end_amdhsa_kernel
	.section	.text._ZL30rocblas_trmm_outofplace_kernelI19rocblas_complex_numIdELi32ELi2ELb0ELb0ELb1ELb1EPKS1_S2_S1_Ev17rocblas_diagonal_iiT6_lPT7_lllS7_lllPT8_llli,"axG",@progbits,_ZL30rocblas_trmm_outofplace_kernelI19rocblas_complex_numIdELi32ELi2ELb0ELb0ELb1ELb1EPKS1_S2_S1_Ev17rocblas_diagonal_iiT6_lPT7_lllS7_lllPT8_llli,comdat
.Lfunc_end128:
	.size	_ZL30rocblas_trmm_outofplace_kernelI19rocblas_complex_numIdELi32ELi2ELb0ELb0ELb1ELb1EPKS1_S2_S1_Ev17rocblas_diagonal_iiT6_lPT7_lllS7_lllPT8_llli, .Lfunc_end128-_ZL30rocblas_trmm_outofplace_kernelI19rocblas_complex_numIdELi32ELi2ELb0ELb0ELb1ELb1EPKS1_S2_S1_Ev17rocblas_diagonal_iiT6_lPT7_lllS7_lllPT8_llli
                                        ; -- End function
	.set _ZL30rocblas_trmm_outofplace_kernelI19rocblas_complex_numIdELi32ELi2ELb0ELb0ELb1ELb1EPKS1_S2_S1_Ev17rocblas_diagonal_iiT6_lPT7_lllS7_lllPT8_llli.num_vgpr, 64
	.set _ZL30rocblas_trmm_outofplace_kernelI19rocblas_complex_numIdELi32ELi2ELb0ELb0ELb1ELb1EPKS1_S2_S1_Ev17rocblas_diagonal_iiT6_lPT7_lllS7_lllPT8_llli.num_agpr, 0
	.set _ZL30rocblas_trmm_outofplace_kernelI19rocblas_complex_numIdELi32ELi2ELb0ELb0ELb1ELb1EPKS1_S2_S1_Ev17rocblas_diagonal_iiT6_lPT7_lllS7_lllPT8_llli.numbered_sgpr, 60
	.set _ZL30rocblas_trmm_outofplace_kernelI19rocblas_complex_numIdELi32ELi2ELb0ELb0ELb1ELb1EPKS1_S2_S1_Ev17rocblas_diagonal_iiT6_lPT7_lllS7_lllPT8_llli.num_named_barrier, 0
	.set _ZL30rocblas_trmm_outofplace_kernelI19rocblas_complex_numIdELi32ELi2ELb0ELb0ELb1ELb1EPKS1_S2_S1_Ev17rocblas_diagonal_iiT6_lPT7_lllS7_lllPT8_llli.private_seg_size, 120
	.set _ZL30rocblas_trmm_outofplace_kernelI19rocblas_complex_numIdELi32ELi2ELb0ELb0ELb1ELb1EPKS1_S2_S1_Ev17rocblas_diagonal_iiT6_lPT7_lllS7_lllPT8_llli.uses_vcc, 1
	.set _ZL30rocblas_trmm_outofplace_kernelI19rocblas_complex_numIdELi32ELi2ELb0ELb0ELb1ELb1EPKS1_S2_S1_Ev17rocblas_diagonal_iiT6_lPT7_lllS7_lllPT8_llli.uses_flat_scratch, 0
	.set _ZL30rocblas_trmm_outofplace_kernelI19rocblas_complex_numIdELi32ELi2ELb0ELb0ELb1ELb1EPKS1_S2_S1_Ev17rocblas_diagonal_iiT6_lPT7_lllS7_lllPT8_llli.has_dyn_sized_stack, 0
	.set _ZL30rocblas_trmm_outofplace_kernelI19rocblas_complex_numIdELi32ELi2ELb0ELb0ELb1ELb1EPKS1_S2_S1_Ev17rocblas_diagonal_iiT6_lPT7_lllS7_lllPT8_llli.has_recursion, 0
	.set _ZL30rocblas_trmm_outofplace_kernelI19rocblas_complex_numIdELi32ELi2ELb0ELb0ELb1ELb1EPKS1_S2_S1_Ev17rocblas_diagonal_iiT6_lPT7_lllS7_lllPT8_llli.has_indirect_call, 0
	.section	.AMDGPU.csdata,"",@progbits
; Kernel info:
; codeLenInByte = 10860
; TotalNumSgprs: 64
; NumVgprs: 64
; ScratchSize: 120
; MemoryBound: 0
; FloatMode: 240
; IeeeMode: 1
; LDSByteSize: 32768 bytes/workgroup (compile time only)
; SGPRBlocks: 8
; VGPRBlocks: 15
; NumSGPRsForWavesPerEU: 65
; NumVGPRsForWavesPerEU: 64
; Occupancy: 4
; WaveLimiterHint : 0
; COMPUTE_PGM_RSRC2:SCRATCH_EN: 1
; COMPUTE_PGM_RSRC2:USER_SGPR: 6
; COMPUTE_PGM_RSRC2:TRAP_HANDLER: 0
; COMPUTE_PGM_RSRC2:TGID_X_EN: 1
; COMPUTE_PGM_RSRC2:TGID_Y_EN: 1
; COMPUTE_PGM_RSRC2:TGID_Z_EN: 1
; COMPUTE_PGM_RSRC2:TIDIG_COMP_CNT: 1
	.section	.text._ZL30rocblas_trmm_outofplace_kernelI19rocblas_complex_numIdELi32ELi2ELb0ELb0ELb1ELb1ES1_KS1_S1_Ev17rocblas_diagonal_iiT6_lPT7_lllS6_lllPT8_llli,"axG",@progbits,_ZL30rocblas_trmm_outofplace_kernelI19rocblas_complex_numIdELi32ELi2ELb0ELb0ELb1ELb1ES1_KS1_S1_Ev17rocblas_diagonal_iiT6_lPT7_lllS6_lllPT8_llli,comdat
	.globl	_ZL30rocblas_trmm_outofplace_kernelI19rocblas_complex_numIdELi32ELi2ELb0ELb0ELb1ELb1ES1_KS1_S1_Ev17rocblas_diagonal_iiT6_lPT7_lllS6_lllPT8_llli ; -- Begin function _ZL30rocblas_trmm_outofplace_kernelI19rocblas_complex_numIdELi32ELi2ELb0ELb0ELb1ELb1ES1_KS1_S1_Ev17rocblas_diagonal_iiT6_lPT7_lllS6_lllPT8_llli
	.p2align	8
	.type	_ZL30rocblas_trmm_outofplace_kernelI19rocblas_complex_numIdELi32ELi2ELb0ELb0ELb1ELb1ES1_KS1_S1_Ev17rocblas_diagonal_iiT6_lPT7_lllS6_lllPT8_llli,@function
_ZL30rocblas_trmm_outofplace_kernelI19rocblas_complex_numIdELi32ELi2ELb0ELb0ELb1ELb1ES1_KS1_S1_Ev17rocblas_diagonal_iiT6_lPT7_lllS6_lllPT8_llli: ; @_ZL30rocblas_trmm_outofplace_kernelI19rocblas_complex_numIdELi32ELi2ELb0ELb0ELb1ELb1ES1_KS1_S1_Ev17rocblas_diagonal_iiT6_lPT7_lllS6_lllPT8_llli
; %bb.0:
	s_load_dwordx4 s[28:31], s[4:5], 0x10
	s_mov_b64 s[54:55], s[2:3]
	s_mov_b64 s[52:53], s[0:1]
	s_add_u32 s52, s52, s9
	s_addc_u32 s53, s53, 0
	s_waitcnt lgkmcnt(0)
	v_cmp_eq_f64_e64 s[0:1], s[28:29], 0
	v_cmp_eq_f64_e64 s[2:3], s[30:31], 0
	buffer_store_dword v1, off, s[52:55], 0 ; 4-byte Folded Spill
	buffer_store_dword v0, off, s[52:55], 0 offset:36 ; 4-byte Folded Spill
	s_and_b64 s[0:1], s[0:1], s[2:3]
	s_and_b64 vcc, exec, s[0:1]
	s_cbranch_vccnz .LBB129_63
; %bb.1:
	s_load_dwordx4 s[44:47], s[4:5], 0x0
	s_waitcnt lgkmcnt(0)
	s_add_i32 s0, s46, -1
	s_ashr_i32 s1, s0, 31
	s_lshr_b32 s1, s1, 27
	s_add_i32 s0, s0, s1
	s_ashr_i32 s33, s0, 5
	s_cmp_gt_i32 s7, s33
	s_cbranch_scc1 .LBB129_63
; %bb.2:
	s_load_dwordx16 s[12:27], s[4:5], 0x28
	s_load_dwordx8 s[36:43], s[4:5], 0x68
	buffer_load_dword v10, off, s[52:55], 0 offset:36 ; 4-byte Folded Reload
	v_mov_b32_e32 v8, 0x100
	s_waitcnt lgkmcnt(0)
	s_mul_i32 s1, s19, s8
	s_mul_hi_u32 s2, s18, s8
	s_mul_i32 s0, s18, s8
	s_add_i32 s1, s2, s1
	s_lshl_b64 s[2:3], s[0:1], 4
	s_add_u32 s0, s12, s2
	s_addc_u32 s1, s13, s3
	s_lshl_b64 s[10:11], s[14:15], 4
	s_add_u32 s9, s0, s10
	s_addc_u32 s14, s1, s11
	s_mul_i32 s0, s43, s8
	s_mul_hi_u32 s1, s42, s8
	s_add_i32 s1, s1, s0
	s_mul_i32 s0, s42, s8
	s_lshl_b64 s[0:1], s[0:1], 4
	s_add_u32 s15, s36, s0
	s_addc_u32 s18, s37, s1
	v_mov_b32_e32 v5, s14
	s_movk_i32 s14, 0x100
	s_waitcnt vmcnt(0)
	v_mad_u64_u32 v[0:1], s[0:1], s16, v10, 0
	s_lshl_b64 s[0:1], s[38:39], 4
	s_add_u32 s48, s15, s0
	s_addc_u32 s49, s18, s1
	v_mad_u64_u32 v[1:2], s[0:1], s17, v10, v[1:2]
	s_cmpk_eq_i32 s44, 0x84
	s_cselect_b64 s[34:35], -1, 0
	v_lshlrev_b64 v[0:1], 4, v[0:1]
	s_ashr_i32 s0, s45, 31
	v_add_co_u32_e32 v0, vcc, s9, v0
	v_addc_co_u32_e32 v1, vcc, v5, v1, vcc
	buffer_store_dword v0, off, s[52:55], 0 offset:84 ; 4-byte Folded Spill
	s_nop 0
	buffer_store_dword v1, off, s[52:55], 0 offset:88 ; 4-byte Folded Spill
	buffer_load_dword v9, off, s[52:55], 0  ; 4-byte Folded Reload
	v_mov_b32_e32 v1, s0
	v_lshl_add_u32 v3, s6, 5, v10
	v_ashrrev_i32_e32 v4, 31, v3
	v_sub_co_u32_e32 v0, vcc, s45, v3
	v_subb_co_u32_e32 v1, vcc, v1, v4, vcc
	s_load_dword s6, s[4:5], 0x94
	v_cmp_gt_i64_e32 vcc, 1, v[0:1]
	s_ashr_i32 s47, s46, 31
	s_lshl_b64 s[36:37], s[16:17], 9
	s_lshl_b64 s[38:39], s[24:25], 9
	s_add_u32 s42, s46, -16
	s_addc_u32 s43, s47, -1
	s_waitcnt lgkmcnt(0)
	s_lshl_b32 s50, s6, 5
	v_lshlrev_b64 v[11:12], 4, v[3:4]
	v_lshlrev_b32_e32 v7, 4, v10
	v_or_b32_e32 v38, 0x4000, v7
	v_mov_b32_e32 v2, 0
	s_waitcnt vmcnt(0)
	v_mad_u64_u32 v[5:6], s[0:1], s24, v9, 0
	v_cmp_gt_i64_e64 s[0:1], 17, v[0:1]
	v_lshlrev_b32_e32 v63, 9, v9
	v_mov_b32_e32 v0, v6
	v_mad_u64_u32 v[0:1], s[4:5], s25, v9, v[0:1]
	s_mul_i32 s4, s27, s8
	s_mul_hi_u32 s5, s26, s8
	s_add_i32 s5, s5, s4
	s_mul_i32 s4, s26, s8
	s_lshl_b64 s[4:5], s[4:5], 4
	s_lshl_b64 s[8:9], s[22:23], 4
	s_add_u32 s4, s4, s8
	s_addc_u32 s5, s5, s9
	s_add_u32 s4, s20, s4
	s_addc_u32 s5, s21, s5
	v_mov_b32_e32 v4, s5
	s_add_u32 s5, s12, s10
	s_addc_u32 s8, s13, s11
	s_add_u32 s2, s5, s2
	v_mov_b32_e32 v6, v0
	s_addc_u32 s3, s8, s3
	v_mov_b32_e32 v0, s2
	v_add_u32_e32 v37, v63, v7
	v_add_u32_e32 v7, 0x100, v7
	v_mov_b32_e32 v1, s3
	v_mad_u64_u32 v[13:14], s[2:3], s16, v7, v[0:1]
	v_lshl_add_u32 v8, v9, 4, v8
	v_mad_u64_u32 v[15:16], s[2:3], s24, v8, 0
	v_mov_b32_e32 v0, v14
	v_mad_u64_u32 v[0:1], s[2:3], s17, v7, v[0:1]
	v_add_co_u32_e64 v7, s[2:3], s4, v11
	v_mov_b32_e32 v14, v0
	v_mov_b32_e32 v0, v15
	buffer_store_dword v11, off, s[52:55], 0 offset:68 ; 4-byte Folded Spill
	s_nop 0
	buffer_store_dword v12, off, s[52:55], 0 offset:72 ; 4-byte Folded Spill
	buffer_store_dword v13, off, s[52:55], 0 offset:92 ; 4-byte Folded Spill
	s_nop 0
	buffer_store_dword v14, off, s[52:55], 0 offset:96 ; 4-byte Folded Spill
	;; [unrolled: 3-line block ×3, first 2 shown]
	v_mov_b32_e32 v0, v16
	v_add_u32_e32 v30, v38, v63
	v_lshl_add_u32 v20, s7, 5, v9
	v_addc_co_u32_e64 v4, s[2:3], v4, v12, s[2:3]
	v_mad_u64_u32 v[0:1], s[2:3], s25, v8, v[0:1]
	v_add_co_u32_e64 v7, s[2:3], s14, v7
	v_addc_co_u32_e64 v8, s[2:3], 0, v4, s[2:3]
	buffer_store_dword v7, off, s[52:55], 0 offset:100 ; 4-byte Folded Spill
	s_nop 0
	buffer_store_dword v8, off, s[52:55], 0 offset:104 ; 4-byte Folded Spill
	buffer_store_dword v0, off, s[52:55], 0 offset:48 ; 4-byte Folded Spill
	v_add_u32_e32 v0, 16, v3
	v_ashrrev_i32_e32 v1, 31, v0
	v_cmp_gt_i32_e64 s[2:3], s45, v3
	v_cmp_gt_i32_e64 s[4:5], s45, v0
	v_lshlrev_b64 v[3:4], 4, v[5:6]
	v_lshlrev_b64 v[0:1], 4, v[0:1]
	buffer_store_dword v3, off, s[52:55], 0 offset:52 ; 4-byte Folded Spill
	s_nop 0
	buffer_store_dword v4, off, s[52:55], 0 offset:56 ; 4-byte Folded Spill
	buffer_store_dword v0, off, s[52:55], 0 offset:76 ; 4-byte Folded Spill
	s_nop 0
	buffer_store_dword v1, off, s[52:55], 0 offset:80 ; 4-byte Folded Spill
	v_sub_co_u32_e64 v0, s[8:9], 0, v10
	v_mov_b32_e32 v3, 0x3ff00000
	buffer_store_dword v0, off, s[52:55], 0 offset:108 ; 4-byte Folded Spill
	v_subb_co_u32_e64 v0, s[8:9], 0, 0, s[8:9]
	buffer_store_dword v0, off, s[52:55], 0 offset:112 ; 4-byte Folded Spill
	s_branch .LBB129_4
.LBB129_3:                              ;   in Loop: Header=BB129_4 Depth=1
	s_or_b64 exec, exec, s[10:11]
	s_add_i32 s7, s6, s7
	s_cmp_le_i32 s7, s33
	s_waitcnt vmcnt(1)
	v_add_u32_e32 v20, s50, v20
	s_cbranch_scc0 .LBB129_63
.LBB129_4:                              ; =>This Loop Header: Depth=1
                                        ;     Child Loop BB129_7 Depth 2
	buffer_store_dword v20, off, s[52:55], 0 offset:60 ; 4-byte Folded Spill
	s_waitcnt vmcnt(1)
	buffer_store_dword v21, off, s[52:55], 0 offset:64 ; 4-byte Folded Spill
	buffer_load_dword v0, off, s[52:55], 0  ; 4-byte Folded Reload
	s_lshl_b32 s51, s7, 5
	v_mov_b32_e32 v57, 0
	v_mov_b32_e32 v59, 0
	;; [unrolled: 1-line block ×9, first 2 shown]
	s_cmp_lt_i32 s7, 0
	v_mov_b32_e32 v60, 0
	v_mov_b32_e32 v17, 0
	;; [unrolled: 1-line block ×7, first 2 shown]
	s_waitcnt vmcnt(0)
	v_add_u32_e32 v39, s51, v0
	v_ashrrev_i32_e32 v40, 31, v39
	s_cbranch_scc1 .LBB129_55
; %bb.5:                                ;   in Loop: Header=BB129_4 Depth=1
	buffer_load_dword v0, off, s[52:55], 0 offset:60 ; 4-byte Folded Reload
	buffer_load_dword v1, off, s[52:55], 0 offset:64 ; 4-byte Folded Reload
	v_mov_b32_e32 v12, 0
	v_mov_b32_e32 v14, 0
	;; [unrolled: 1-line block ×8, first 2 shown]
	v_cmp_le_i32_e64 s[16:17], s46, v39
	v_mov_b32_e32 v13, 0
	s_mov_b64 s[22:23], 0
	v_mov_b32_e32 v15, 0
	v_mov_b32_e32 v25, 0
	;; [unrolled: 1-line block ×7, first 2 shown]
	s_waitcnt vmcnt(1)
	v_mov_b32_e32 v4, v0
	buffer_load_dword v0, off, s[52:55], 0 offset:108 ; 4-byte Folded Reload
	v_ashrrev_i32_e32 v5, 31, v4
	v_lshlrev_b64 v[43:44], 4, v[4:5]
	s_waitcnt vmcnt(0)
	v_add_co_u32_e64 v6, s[8:9], v0, v4
	buffer_load_dword v0, off, s[52:55], 0 offset:112 ; 4-byte Folded Reload
	s_waitcnt vmcnt(0)
	v_addc_co_u32_e64 v7, s[8:9], v0, v5, s[8:9]
	v_mov_b32_e32 v0, v4
	buffer_store_dword v0, off, s[52:55], 0 offset:60 ; 4-byte Folded Spill
	s_nop 0
	buffer_store_dword v1, off, s[52:55], 0 offset:64 ; 4-byte Folded Spill
	v_add_co_u32_e64 v0, s[8:9], 16, v39
	v_addc_co_u32_e64 v1, s[8:9], 0, v40, s[8:9]
	buffer_store_dword v0, off, s[52:55], 0 offset:12 ; 4-byte Folded Spill
	s_nop 0
	buffer_store_dword v1, off, s[52:55], 0 offset:16 ; 4-byte Folded Spill
	v_cmp_le_i64_e64 s[8:9], s[46:47], v[0:1]
	v_add_co_u32_e64 v0, s[10:11], 16, v6
	v_addc_co_u32_e64 v1, s[10:11], 0, v7, s[10:11]
	buffer_store_dword v0, off, s[52:55], 0 offset:20 ; 4-byte Folded Spill
	s_nop 0
	buffer_store_dword v1, off, s[52:55], 0 offset:24 ; 4-byte Folded Spill
	v_add_co_u32_e64 v0, s[10:11], -16, v6
	buffer_store_dword v6, off, s[52:55], 0 offset:4 ; 4-byte Folded Spill
	s_nop 0
	buffer_store_dword v7, off, s[52:55], 0 offset:8 ; 4-byte Folded Spill
	v_addc_co_u32_e64 v1, s[10:11], -1, v7, s[10:11]
	buffer_store_dword v0, off, s[52:55], 0 offset:28 ; 4-byte Folded Spill
	s_nop 0
	buffer_store_dword v1, off, s[52:55], 0 offset:32 ; 4-byte Folded Spill
	buffer_load_dword v51, off, s[52:55], 0 offset:92 ; 4-byte Folded Reload
	buffer_load_dword v52, off, s[52:55], 0 offset:96 ; 4-byte Folded Reload
	;; [unrolled: 1-line block ×6, first 2 shown]
	s_branch .LBB129_7
.LBB129_6:                              ;   in Loop: Header=BB129_7 Depth=2
	s_or_b64 exec, exec, s[10:11]
	s_waitcnt lgkmcnt(0)
	s_barrier
	ds_read_b128 v[26:29], v63
	ds_read_b128 v[20:23], v63 offset:16
	ds_read_b128 v[8:11], v63 offset:32
	;; [unrolled: 1-line block ×3, first 2 shown]
	ds_read_b128 v[47:50], v38
	v_add_co_u32_e64 v55, s[10:11], s38, v55
	s_add_u32 s22, s22, 32
	s_addc_u32 s23, s23, 0
	s_waitcnt lgkmcnt(0)
	v_mul_f64 v[31:32], v[28:29], v[49:50]
	v_mul_f64 v[35:36], v[26:27], v[49:50]
	s_sub_i32 s12, s22, 32
	s_cmp_ge_i32 s12, s51
	v_fma_f64 v[31:32], v[26:27], v[47:48], -v[31:32]
	v_fma_f64 v[35:36], v[28:29], v[47:48], v[35:36]
	v_add_f64 v[0:1], v[57:58], v[31:32]
	v_add_f64 v[45:46], v[35:36], v[59:60]
	ds_read_b128 v[57:60], v38 offset:256
	s_waitcnt lgkmcnt(0)
	v_mul_f64 v[31:32], v[28:29], v[59:60]
	v_fma_f64 v[31:32], v[26:27], v[57:58], -v[31:32]
	v_mul_f64 v[26:27], v[26:27], v[59:60]
	v_add_f64 v[41:42], v[16:17], v[31:32]
	v_fma_f64 v[26:27], v[28:29], v[57:58], v[26:27]
	v_add_f64 v[33:34], v[26:27], v[18:19]
	ds_read_b128 v[16:19], v63 offset:8192
	s_waitcnt lgkmcnt(0)
	v_mul_f64 v[26:27], v[18:19], v[49:50]
	v_mul_f64 v[28:29], v[16:17], v[49:50]
	v_fma_f64 v[26:27], v[16:17], v[47:48], -v[26:27]
	v_fma_f64 v[28:29], v[18:19], v[47:48], v[28:29]
	ds_read_b128 v[47:50], v63 offset:8240
	v_add_f64 v[35:36], v[61:62], v[26:27]
	v_add_f64 v[26:27], v[28:29], v[24:25]
	v_mul_f64 v[24:25], v[18:19], v[59:60]
	v_fma_f64 v[24:25], v[16:17], v[57:58], -v[24:25]
	v_mul_f64 v[16:17], v[16:17], v[59:60]
	v_add_f64 v[31:32], v[14:15], v[24:25]
	v_fma_f64 v[16:17], v[18:19], v[57:58], v[16:17]
	v_add_f64 v[28:29], v[16:17], v[12:13]
	ds_read_b128 v[16:19], v38 offset:512
	s_waitcnt lgkmcnt(0)
	v_mul_f64 v[12:13], v[22:23], v[18:19]
	v_mul_f64 v[14:15], v[20:21], v[18:19]
	v_fma_f64 v[12:13], v[20:21], v[16:17], -v[12:13]
	v_fma_f64 v[14:15], v[22:23], v[16:17], v[14:15]
	v_add_f64 v[59:60], v[0:1], v[12:13]
	v_add_f64 v[61:62], v[14:15], v[45:46]
	ds_read_b128 v[12:15], v38 offset:768
	s_waitcnt lgkmcnt(0)
	v_mul_f64 v[0:1], v[22:23], v[14:15]
	v_fma_f64 v[0:1], v[20:21], v[12:13], -v[0:1]
	v_mul_f64 v[20:21], v[20:21], v[14:15]
	v_add_f64 v[24:25], v[41:42], v[0:1]
	v_fma_f64 v[20:21], v[22:23], v[12:13], v[20:21]
	v_add_f64 v[57:58], v[20:21], v[33:34]
	ds_read_b128 v[20:23], v63 offset:8208
	s_waitcnt lgkmcnt(0)
	v_mul_f64 v[0:1], v[22:23], v[18:19]
	v_mul_f64 v[18:19], v[20:21], v[18:19]
	v_fma_f64 v[0:1], v[20:21], v[16:17], -v[0:1]
	v_fma_f64 v[18:19], v[22:23], v[16:17], v[18:19]
	v_add_f64 v[16:17], v[35:36], v[0:1]
	v_mul_f64 v[0:1], v[22:23], v[14:15]
	v_mul_f64 v[14:15], v[20:21], v[14:15]
	v_add_f64 v[18:19], v[18:19], v[26:27]
	v_fma_f64 v[0:1], v[20:21], v[12:13], -v[0:1]
	v_fma_f64 v[14:15], v[22:23], v[12:13], v[14:15]
	ds_read_b128 v[20:23], v38 offset:1024
	s_waitcnt lgkmcnt(0)
	v_mul_f64 v[26:27], v[8:9], v[22:23]
	v_add_f64 v[12:13], v[31:32], v[0:1]
	v_add_f64 v[14:15], v[14:15], v[28:29]
	v_mul_f64 v[0:1], v[10:11], v[22:23]
	v_fma_f64 v[26:27], v[10:11], v[20:21], v[26:27]
	v_fma_f64 v[0:1], v[8:9], v[20:21], -v[0:1]
	v_add_f64 v[31:32], v[26:27], v[61:62]
	ds_read_b128 v[26:29], v38 offset:1280
	v_add_f64 v[0:1], v[59:60], v[0:1]
	s_waitcnt lgkmcnt(0)
	v_mul_f64 v[33:34], v[10:11], v[28:29]
	v_fma_f64 v[33:34], v[8:9], v[26:27], -v[33:34]
	v_mul_f64 v[8:9], v[8:9], v[28:29]
	v_add_f64 v[33:34], v[24:25], v[33:34]
	v_fma_f64 v[8:9], v[10:11], v[26:27], v[8:9]
	v_add_f64 v[35:36], v[8:9], v[57:58]
	ds_read_b128 v[8:11], v63 offset:8224
	s_waitcnt lgkmcnt(0)
	v_mul_f64 v[24:25], v[10:11], v[22:23]
	v_mul_f64 v[22:23], v[8:9], v[22:23]
	v_fma_f64 v[24:25], v[8:9], v[20:21], -v[24:25]
	v_fma_f64 v[22:23], v[10:11], v[20:21], v[22:23]
	v_add_f64 v[20:21], v[16:17], v[24:25]
	v_mul_f64 v[16:17], v[10:11], v[28:29]
	v_add_f64 v[22:23], v[22:23], v[18:19]
	v_fma_f64 v[16:17], v[8:9], v[26:27], -v[16:17]
	v_mul_f64 v[8:9], v[8:9], v[28:29]
	v_add_f64 v[24:25], v[12:13], v[16:17]
	v_fma_f64 v[8:9], v[10:11], v[26:27], v[8:9]
	v_add_f64 v[26:27], v[8:9], v[14:15]
	ds_read_b128 v[8:11], v38 offset:1536
	s_waitcnt lgkmcnt(0)
	v_mul_f64 v[12:13], v[6:7], v[10:11]
	v_mul_f64 v[14:15], v[4:5], v[10:11]
	v_fma_f64 v[12:13], v[4:5], v[8:9], -v[12:13]
	v_fma_f64 v[14:15], v[6:7], v[8:9], v[14:15]
	v_add_f64 v[16:17], v[0:1], v[12:13]
	v_add_f64 v[18:19], v[14:15], v[31:32]
	ds_read_b128 v[12:15], v38 offset:1792
	s_waitcnt lgkmcnt(0)
	v_mul_f64 v[0:1], v[6:7], v[14:15]
	v_fma_f64 v[0:1], v[4:5], v[12:13], -v[0:1]
	v_mul_f64 v[4:5], v[4:5], v[14:15]
	v_fma_f64 v[6:7], v[6:7], v[12:13], v[4:5]
	v_add_f64 v[4:5], v[33:34], v[0:1]
	v_mul_f64 v[0:1], v[49:50], v[10:11]
	v_mul_f64 v[10:11], v[47:48], v[10:11]
	v_add_f64 v[6:7], v[6:7], v[35:36]
	v_fma_f64 v[0:1], v[47:48], v[8:9], -v[0:1]
	v_fma_f64 v[8:9], v[49:50], v[8:9], v[10:11]
	v_mul_f64 v[10:11], v[47:48], v[14:15]
	v_add_f64 v[0:1], v[20:21], v[0:1]
	v_add_f64 v[28:29], v[8:9], v[22:23]
	v_mul_f64 v[8:9], v[49:50], v[14:15]
	v_fma_f64 v[10:11], v[49:50], v[12:13], v[10:11]
	v_fma_f64 v[8:9], v[47:48], v[12:13], -v[8:9]
	v_add_f64 v[33:34], v[10:11], v[26:27]
	v_add_f64 v[31:32], v[24:25], v[8:9]
	ds_read_b128 v[8:11], v63 offset:64
	ds_read_b128 v[12:15], v38 offset:2048
	;; [unrolled: 1-line block ×3, first 2 shown]
	s_waitcnt lgkmcnt(1)
	v_mul_f64 v[20:21], v[10:11], v[14:15]
	v_mul_f64 v[22:23], v[8:9], v[14:15]
	v_fma_f64 v[20:21], v[8:9], v[12:13], -v[20:21]
	v_fma_f64 v[22:23], v[10:11], v[12:13], v[22:23]
	v_add_f64 v[20:21], v[16:17], v[20:21]
	s_waitcnt lgkmcnt(0)
	v_mul_f64 v[16:17], v[10:11], v[26:27]
	v_add_f64 v[22:23], v[22:23], v[18:19]
	v_fma_f64 v[16:17], v[8:9], v[24:25], -v[16:17]
	v_mul_f64 v[8:9], v[8:9], v[26:27]
	v_add_f64 v[35:36], v[4:5], v[16:17]
	v_fma_f64 v[8:9], v[10:11], v[24:25], v[8:9]
	v_add_f64 v[41:42], v[8:9], v[6:7]
	ds_read_b128 v[4:7], v63 offset:8256
	s_waitcnt lgkmcnt(0)
	v_mul_f64 v[8:9], v[6:7], v[14:15]
	v_mul_f64 v[10:11], v[4:5], v[14:15]
	v_fma_f64 v[8:9], v[4:5], v[12:13], -v[8:9]
	v_fma_f64 v[10:11], v[6:7], v[12:13], v[10:11]
	v_add_f64 v[16:17], v[0:1], v[8:9]
	v_mul_f64 v[0:1], v[6:7], v[26:27]
	v_add_f64 v[18:19], v[10:11], v[28:29]
	ds_read_b128 v[47:50], v63 offset:80
	ds_read_b128 v[8:11], v38 offset:2560
	v_fma_f64 v[0:1], v[4:5], v[24:25], -v[0:1]
	v_mul_f64 v[4:5], v[4:5], v[26:27]
	v_add_f64 v[12:13], v[31:32], v[0:1]
	v_fma_f64 v[4:5], v[6:7], v[24:25], v[4:5]
	s_waitcnt lgkmcnt(0)
	v_mul_f64 v[0:1], v[49:50], v[10:11]
	v_add_f64 v[14:15], v[4:5], v[33:34]
	v_mul_f64 v[4:5], v[47:48], v[10:11]
	v_fma_f64 v[0:1], v[47:48], v[8:9], -v[0:1]
	v_fma_f64 v[4:5], v[49:50], v[8:9], v[4:5]
	v_add_f64 v[24:25], v[20:21], v[0:1]
	v_add_f64 v[28:29], v[4:5], v[22:23]
	ds_read_b128 v[4:7], v38 offset:2816
	s_waitcnt lgkmcnt(0)
	v_mul_f64 v[0:1], v[49:50], v[6:7]
	v_mul_f64 v[20:21], v[47:48], v[6:7]
	v_fma_f64 v[0:1], v[47:48], v[4:5], -v[0:1]
	v_fma_f64 v[22:23], v[49:50], v[4:5], v[20:21]
	ds_read_b128 v[47:50], v63 offset:8272
	v_add_f64 v[20:21], v[35:36], v[0:1]
	s_waitcnt lgkmcnt(0)
	v_mul_f64 v[0:1], v[49:50], v[10:11]
	v_mul_f64 v[10:11], v[47:48], v[10:11]
	v_add_f64 v[22:23], v[22:23], v[41:42]
	v_fma_f64 v[0:1], v[47:48], v[8:9], -v[0:1]
	v_fma_f64 v[8:9], v[49:50], v[8:9], v[10:11]
	v_add_f64 v[0:1], v[16:17], v[0:1]
	v_add_f64 v[26:27], v[8:9], v[18:19]
	v_mul_f64 v[8:9], v[49:50], v[6:7]
	v_mul_f64 v[6:7], v[47:48], v[6:7]
	v_fma_f64 v[8:9], v[47:48], v[4:5], -v[8:9]
	v_fma_f64 v[4:5], v[49:50], v[4:5], v[6:7]
	v_add_f64 v[31:32], v[12:13], v[8:9]
	v_add_f64 v[33:34], v[4:5], v[14:15]
	ds_read_b128 v[8:11], v63 offset:96
	ds_read_b128 v[12:15], v38 offset:3072
	;; [unrolled: 1-line block ×3, first 2 shown]
	s_waitcnt lgkmcnt(1)
	v_mul_f64 v[4:5], v[10:11], v[14:15]
	v_mul_f64 v[6:7], v[8:9], v[14:15]
	v_fma_f64 v[4:5], v[8:9], v[12:13], -v[4:5]
	v_fma_f64 v[6:7], v[10:11], v[12:13], v[6:7]
	v_add_f64 v[4:5], v[24:25], v[4:5]
	s_waitcnt lgkmcnt(0)
	v_mul_f64 v[24:25], v[10:11], v[18:19]
	v_add_f64 v[6:7], v[6:7], v[28:29]
	v_fma_f64 v[24:25], v[8:9], v[16:17], -v[24:25]
	v_mul_f64 v[8:9], v[8:9], v[18:19]
	v_add_f64 v[24:25], v[20:21], v[24:25]
	v_fma_f64 v[8:9], v[10:11], v[16:17], v[8:9]
	v_add_f64 v[35:36], v[8:9], v[22:23]
	ds_read_b128 v[8:11], v63 offset:8288
	s_waitcnt lgkmcnt(0)
	v_mul_f64 v[20:21], v[10:11], v[14:15]
	v_mul_f64 v[14:15], v[8:9], v[14:15]
	v_fma_f64 v[20:21], v[8:9], v[12:13], -v[20:21]
	v_fma_f64 v[12:13], v[10:11], v[12:13], v[14:15]
	v_add_f64 v[20:21], v[0:1], v[20:21]
	v_mul_f64 v[0:1], v[10:11], v[18:19]
	v_add_f64 v[22:23], v[12:13], v[26:27]
	v_fma_f64 v[0:1], v[8:9], v[16:17], -v[0:1]
	v_mul_f64 v[8:9], v[8:9], v[18:19]
	v_fma_f64 v[8:9], v[10:11], v[16:17], v[8:9]
	v_add_f64 v[16:17], v[31:32], v[0:1]
	v_add_f64 v[18:19], v[8:9], v[33:34]
	ds_read_b128 v[12:15], v63 offset:112
	ds_read_b128 v[8:11], v38 offset:3584
	s_waitcnt lgkmcnt(0)
	v_mul_f64 v[0:1], v[14:15], v[10:11]
	v_mul_f64 v[26:27], v[12:13], v[10:11]
	v_fma_f64 v[0:1], v[12:13], v[8:9], -v[0:1]
	v_fma_f64 v[26:27], v[14:15], v[8:9], v[26:27]
	v_add_f64 v[28:29], v[4:5], v[0:1]
	v_add_f64 v[31:32], v[26:27], v[6:7]
	ds_read_b128 v[4:7], v38 offset:3840
	s_waitcnt lgkmcnt(0)
	v_mul_f64 v[0:1], v[14:15], v[6:7]
	v_fma_f64 v[0:1], v[12:13], v[4:5], -v[0:1]
	v_mul_f64 v[12:13], v[12:13], v[6:7]
	v_add_f64 v[24:25], v[24:25], v[0:1]
	v_fma_f64 v[12:13], v[14:15], v[4:5], v[12:13]
	v_add_f64 v[57:58], v[12:13], v[35:36]
	ds_read_b128 v[12:15], v63 offset:8304
	s_waitcnt lgkmcnt(0)
	v_mul_f64 v[0:1], v[14:15], v[10:11]
	v_mul_f64 v[10:11], v[12:13], v[10:11]
	v_fma_f64 v[0:1], v[12:13], v[8:9], -v[0:1]
	v_fma_f64 v[8:9], v[14:15], v[8:9], v[10:11]
	v_add_f64 v[0:1], v[20:21], v[0:1]
	v_add_f64 v[22:23], v[8:9], v[22:23]
	v_mul_f64 v[8:9], v[14:15], v[6:7]
	v_mul_f64 v[6:7], v[12:13], v[6:7]
	v_fma_f64 v[8:9], v[12:13], v[4:5], -v[8:9]
	v_fma_f64 v[4:5], v[14:15], v[4:5], v[6:7]
	v_add_f64 v[26:27], v[16:17], v[8:9]
	v_add_f64 v[33:34], v[4:5], v[18:19]
	ds_read_b128 v[8:11], v63 offset:128
	ds_read_b128 v[12:15], v38 offset:4096
	;; [unrolled: 1-line block ×3, first 2 shown]
	s_waitcnt lgkmcnt(1)
	v_mul_f64 v[4:5], v[10:11], v[14:15]
	s_waitcnt lgkmcnt(0)
	v_mul_f64 v[20:21], v[10:11], v[18:19]
	v_mul_f64 v[6:7], v[8:9], v[14:15]
	v_fma_f64 v[4:5], v[8:9], v[12:13], -v[4:5]
	v_fma_f64 v[20:21], v[8:9], v[16:17], -v[20:21]
	v_mul_f64 v[8:9], v[8:9], v[18:19]
	v_fma_f64 v[6:7], v[10:11], v[12:13], v[6:7]
	v_add_f64 v[4:5], v[28:29], v[4:5]
	v_add_f64 v[24:25], v[24:25], v[20:21]
	v_fma_f64 v[8:9], v[10:11], v[16:17], v[8:9]
	v_add_f64 v[6:7], v[6:7], v[31:32]
	v_add_f64 v[35:36], v[8:9], v[57:58]
	ds_read_b128 v[8:11], v63 offset:8320
	s_waitcnt lgkmcnt(0)
	v_mul_f64 v[20:21], v[10:11], v[14:15]
	v_mul_f64 v[14:15], v[8:9], v[14:15]
	v_fma_f64 v[20:21], v[8:9], v[12:13], -v[20:21]
	v_fma_f64 v[12:13], v[10:11], v[12:13], v[14:15]
	v_add_f64 v[20:21], v[0:1], v[20:21]
	v_mul_f64 v[0:1], v[10:11], v[18:19]
	v_add_f64 v[22:23], v[12:13], v[22:23]
	v_fma_f64 v[0:1], v[8:9], v[16:17], -v[0:1]
	v_mul_f64 v[8:9], v[8:9], v[18:19]
	v_fma_f64 v[8:9], v[10:11], v[16:17], v[8:9]
	v_add_f64 v[16:17], v[26:27], v[0:1]
	v_add_f64 v[18:19], v[8:9], v[33:34]
	ds_read_b128 v[12:15], v63 offset:144
	ds_read_b128 v[8:11], v38 offset:4608
	s_waitcnt lgkmcnt(0)
	v_mul_f64 v[0:1], v[14:15], v[10:11]
	v_mul_f64 v[26:27], v[12:13], v[10:11]
	v_fma_f64 v[0:1], v[12:13], v[8:9], -v[0:1]
	v_fma_f64 v[26:27], v[14:15], v[8:9], v[26:27]
	v_add_f64 v[28:29], v[4:5], v[0:1]
	v_add_f64 v[31:32], v[26:27], v[6:7]
	ds_read_b128 v[4:7], v38 offset:4864
	s_waitcnt lgkmcnt(0)
	v_mul_f64 v[0:1], v[14:15], v[6:7]
	v_fma_f64 v[0:1], v[12:13], v[4:5], -v[0:1]
	v_mul_f64 v[12:13], v[12:13], v[6:7]
	v_add_f64 v[24:25], v[24:25], v[0:1]
	v_fma_f64 v[12:13], v[14:15], v[4:5], v[12:13]
	v_add_f64 v[57:58], v[12:13], v[35:36]
	ds_read_b128 v[12:15], v63 offset:8336
	s_waitcnt lgkmcnt(0)
	v_mul_f64 v[0:1], v[14:15], v[10:11]
	v_mul_f64 v[10:11], v[12:13], v[10:11]
	v_fma_f64 v[0:1], v[12:13], v[8:9], -v[0:1]
	v_fma_f64 v[8:9], v[14:15], v[8:9], v[10:11]
	v_add_f64 v[0:1], v[20:21], v[0:1]
	v_add_f64 v[22:23], v[8:9], v[22:23]
	v_mul_f64 v[8:9], v[14:15], v[6:7]
	v_mul_f64 v[6:7], v[12:13], v[6:7]
	v_fma_f64 v[8:9], v[12:13], v[4:5], -v[8:9]
	v_fma_f64 v[4:5], v[14:15], v[4:5], v[6:7]
	v_add_f64 v[26:27], v[16:17], v[8:9]
	v_add_f64 v[33:34], v[4:5], v[18:19]
	ds_read_b128 v[8:11], v63 offset:160
	ds_read_b128 v[12:15], v38 offset:5120
	;; [unrolled: 1-line block ×3, first 2 shown]
	s_waitcnt lgkmcnt(1)
	v_mul_f64 v[4:5], v[10:11], v[14:15]
	s_waitcnt lgkmcnt(0)
	v_mul_f64 v[20:21], v[10:11], v[18:19]
	v_mul_f64 v[6:7], v[8:9], v[14:15]
	v_fma_f64 v[4:5], v[8:9], v[12:13], -v[4:5]
	v_fma_f64 v[20:21], v[8:9], v[16:17], -v[20:21]
	v_mul_f64 v[8:9], v[8:9], v[18:19]
	v_fma_f64 v[6:7], v[10:11], v[12:13], v[6:7]
	v_add_f64 v[4:5], v[28:29], v[4:5]
	v_add_f64 v[24:25], v[24:25], v[20:21]
	v_fma_f64 v[8:9], v[10:11], v[16:17], v[8:9]
	v_add_f64 v[6:7], v[6:7], v[31:32]
	v_add_f64 v[31:32], v[8:9], v[57:58]
	ds_read_b128 v[8:11], v63 offset:8352
	s_waitcnt lgkmcnt(0)
	v_mul_f64 v[20:21], v[10:11], v[14:15]
	v_mul_f64 v[14:15], v[8:9], v[14:15]
	v_fma_f64 v[20:21], v[8:9], v[12:13], -v[20:21]
	v_fma_f64 v[12:13], v[10:11], v[12:13], v[14:15]
	v_add_f64 v[20:21], v[0:1], v[20:21]
	v_mul_f64 v[0:1], v[10:11], v[18:19]
	v_add_f64 v[22:23], v[12:13], v[22:23]
	v_fma_f64 v[0:1], v[8:9], v[16:17], -v[0:1]
	v_mul_f64 v[8:9], v[8:9], v[18:19]
	v_fma_f64 v[8:9], v[10:11], v[16:17], v[8:9]
	v_add_f64 v[16:17], v[26:27], v[0:1]
	v_add_f64 v[18:19], v[8:9], v[33:34]
	ds_read_b128 v[12:15], v63 offset:176
	ds_read_b128 v[8:11], v38 offset:5632
	s_waitcnt lgkmcnt(0)
	v_mul_f64 v[0:1], v[14:15], v[10:11]
	v_mul_f64 v[26:27], v[12:13], v[10:11]
	v_fma_f64 v[0:1], v[12:13], v[8:9], -v[0:1]
	v_fma_f64 v[28:29], v[14:15], v[8:9], v[26:27]
	v_add_f64 v[26:27], v[4:5], v[0:1]
	v_add_f64 v[28:29], v[28:29], v[6:7]
	ds_read_b128 v[4:7], v38 offset:5888
	s_waitcnt lgkmcnt(0)
	v_mul_f64 v[0:1], v[14:15], v[6:7]
	v_fma_f64 v[0:1], v[12:13], v[4:5], -v[0:1]
	v_mul_f64 v[12:13], v[12:13], v[6:7]
	v_add_f64 v[24:25], v[24:25], v[0:1]
	v_fma_f64 v[12:13], v[14:15], v[4:5], v[12:13]
	v_add_f64 v[57:58], v[12:13], v[31:32]
	ds_read_b128 v[12:15], v63 offset:8368
	s_waitcnt lgkmcnt(0)
	v_mul_f64 v[0:1], v[14:15], v[10:11]
	v_mul_f64 v[10:11], v[12:13], v[10:11]
	v_fma_f64 v[0:1], v[12:13], v[8:9], -v[0:1]
	v_fma_f64 v[8:9], v[14:15], v[8:9], v[10:11]
	v_add_f64 v[0:1], v[20:21], v[0:1]
	v_add_f64 v[20:21], v[8:9], v[22:23]
	v_mul_f64 v[8:9], v[14:15], v[6:7]
	v_mul_f64 v[6:7], v[12:13], v[6:7]
	v_fma_f64 v[8:9], v[12:13], v[4:5], -v[8:9]
	v_fma_f64 v[4:5], v[14:15], v[4:5], v[6:7]
	v_add_f64 v[22:23], v[16:17], v[8:9]
	v_add_f64 v[31:32], v[4:5], v[18:19]
	ds_read_b128 v[4:7], v63 offset:192
	ds_read_b128 v[12:15], v38 offset:6144
	;; [unrolled: 1-line block ×3, first 2 shown]
	s_waitcnt lgkmcnt(1)
	v_mul_f64 v[8:9], v[6:7], v[14:15]
	v_mul_f64 v[10:11], v[4:5], v[14:15]
	v_fma_f64 v[8:9], v[4:5], v[12:13], -v[8:9]
	v_fma_f64 v[10:11], v[6:7], v[12:13], v[10:11]
	v_add_f64 v[8:9], v[26:27], v[8:9]
	s_waitcnt lgkmcnt(0)
	v_mul_f64 v[26:27], v[6:7], v[18:19]
	v_add_f64 v[10:11], v[10:11], v[28:29]
	v_fma_f64 v[26:27], v[4:5], v[16:17], -v[26:27]
	v_mul_f64 v[4:5], v[4:5], v[18:19]
	v_add_f64 v[26:27], v[24:25], v[26:27]
	v_fma_f64 v[4:5], v[6:7], v[16:17], v[4:5]
	v_add_f64 v[33:34], v[4:5], v[57:58]
	ds_read_b128 v[4:7], v63 offset:8384
	s_waitcnt lgkmcnt(0)
	v_mul_f64 v[24:25], v[6:7], v[14:15]
	v_mul_f64 v[14:15], v[4:5], v[14:15]
	v_fma_f64 v[24:25], v[4:5], v[12:13], -v[24:25]
	v_fma_f64 v[14:15], v[6:7], v[12:13], v[14:15]
	v_add_f64 v[12:13], v[0:1], v[24:25]
	v_mul_f64 v[0:1], v[6:7], v[18:19]
	v_add_f64 v[14:15], v[14:15], v[20:21]
	v_fma_f64 v[0:1], v[4:5], v[16:17], -v[0:1]
	v_mul_f64 v[4:5], v[4:5], v[18:19]
	v_fma_f64 v[4:5], v[6:7], v[16:17], v[4:5]
	v_add_f64 v[16:17], v[22:23], v[0:1]
	v_add_f64 v[18:19], v[4:5], v[31:32]
	ds_read_b128 v[20:23], v63 offset:208
	ds_read_b128 v[4:7], v38 offset:6656
	;; [unrolled: 1-line block ×3, first 2 shown]
	s_waitcnt lgkmcnt(1)
	v_mul_f64 v[0:1], v[22:23], v[6:7]
	v_mul_f64 v[24:25], v[20:21], v[6:7]
	v_fma_f64 v[0:1], v[20:21], v[4:5], -v[0:1]
	v_fma_f64 v[28:29], v[22:23], v[4:5], v[24:25]
	v_add_f64 v[24:25], v[8:9], v[0:1]
	v_add_f64 v[28:29], v[28:29], v[10:11]
	ds_read_b128 v[8:11], v38 offset:6912
	s_waitcnt lgkmcnt(0)
	v_mul_f64 v[0:1], v[22:23], v[10:11]
	v_fma_f64 v[0:1], v[20:21], v[8:9], -v[0:1]
	v_mul_f64 v[20:21], v[20:21], v[10:11]
	v_fma_f64 v[22:23], v[22:23], v[8:9], v[20:21]
	v_add_f64 v[20:21], v[26:27], v[0:1]
	v_mul_f64 v[0:1], v[49:50], v[6:7]
	v_mul_f64 v[6:7], v[47:48], v[6:7]
	v_add_f64 v[22:23], v[22:23], v[33:34]
	v_fma_f64 v[0:1], v[47:48], v[4:5], -v[0:1]
	v_fma_f64 v[4:5], v[49:50], v[4:5], v[6:7]
	v_mul_f64 v[6:7], v[47:48], v[10:11]
	v_add_f64 v[0:1], v[12:13], v[0:1]
	v_add_f64 v[31:32], v[4:5], v[14:15]
	v_mul_f64 v[4:5], v[49:50], v[10:11]
	v_fma_f64 v[6:7], v[49:50], v[8:9], v[6:7]
	v_fma_f64 v[4:5], v[47:48], v[8:9], -v[4:5]
	ds_read_b128 v[8:11], v63 offset:224
	ds_read_b128 v[12:15], v38 offset:7168
	v_add_f64 v[35:36], v[6:7], v[18:19]
	s_waitcnt lgkmcnt(0)
	v_mul_f64 v[6:7], v[8:9], v[14:15]
	v_add_f64 v[33:34], v[16:17], v[4:5]
	v_mul_f64 v[4:5], v[10:11], v[14:15]
	v_fma_f64 v[6:7], v[10:11], v[12:13], v[6:7]
	v_fma_f64 v[4:5], v[8:9], v[12:13], -v[4:5]
	v_add_f64 v[6:7], v[6:7], v[28:29]
	v_add_f64 v[4:5], v[24:25], v[4:5]
	ds_read_b128 v[24:27], v38 offset:7424
	s_waitcnt lgkmcnt(0)
	v_mul_f64 v[16:17], v[10:11], v[26:27]
	v_fma_f64 v[16:17], v[8:9], v[24:25], -v[16:17]
	v_mul_f64 v[8:9], v[8:9], v[26:27]
	v_add_f64 v[41:42], v[20:21], v[16:17]
	v_fma_f64 v[8:9], v[10:11], v[24:25], v[8:9]
	v_add_f64 v[45:46], v[8:9], v[22:23]
	ds_read_b128 v[8:11], v63 offset:8416
	s_waitcnt lgkmcnt(0)
	v_mul_f64 v[16:17], v[10:11], v[14:15]
	v_mul_f64 v[14:15], v[8:9], v[14:15]
	v_fma_f64 v[16:17], v[8:9], v[12:13], -v[16:17]
	v_fma_f64 v[12:13], v[10:11], v[12:13], v[14:15]
	v_add_f64 v[16:17], v[0:1], v[16:17]
	v_mul_f64 v[0:1], v[10:11], v[26:27]
	v_add_f64 v[18:19], v[12:13], v[31:32]
	v_fma_f64 v[0:1], v[8:9], v[24:25], -v[0:1]
	v_mul_f64 v[8:9], v[8:9], v[26:27]
	v_add_f64 v[12:13], v[33:34], v[0:1]
	v_fma_f64 v[8:9], v[10:11], v[24:25], v[8:9]
	v_add_f64 v[14:15], v[8:9], v[35:36]
	ds_read_b128 v[20:23], v63 offset:240
	ds_read_b128 v[8:11], v38 offset:7680
	;; [unrolled: 1-line block ×3, first 2 shown]
	s_waitcnt lgkmcnt(1)
	v_mul_f64 v[0:1], v[22:23], v[10:11]
	v_mul_f64 v[24:25], v[20:21], v[10:11]
	v_fma_f64 v[0:1], v[20:21], v[8:9], -v[0:1]
	v_fma_f64 v[26:27], v[22:23], v[8:9], v[24:25]
	v_add_f64 v[24:25], v[4:5], v[0:1]
	v_add_f64 v[28:29], v[26:27], v[6:7]
	ds_read_b128 v[4:7], v38 offset:7936
	s_waitcnt lgkmcnt(0)
	v_mul_f64 v[0:1], v[22:23], v[6:7]
	v_fma_f64 v[0:1], v[20:21], v[4:5], -v[0:1]
	v_mul_f64 v[20:21], v[20:21], v[6:7]
	v_fma_f64 v[22:23], v[22:23], v[4:5], v[20:21]
	v_add_f64 v[20:21], v[41:42], v[0:1]
	v_mul_f64 v[0:1], v[49:50], v[10:11]
	v_mul_f64 v[10:11], v[47:48], v[10:11]
	v_add_f64 v[22:23], v[22:23], v[45:46]
	v_fma_f64 v[0:1], v[47:48], v[8:9], -v[0:1]
	v_fma_f64 v[8:9], v[49:50], v[8:9], v[10:11]
	v_add_f64 v[0:1], v[16:17], v[0:1]
	v_add_f64 v[26:27], v[8:9], v[18:19]
	v_mul_f64 v[8:9], v[49:50], v[6:7]
	v_mul_f64 v[6:7], v[47:48], v[6:7]
	v_fma_f64 v[8:9], v[47:48], v[4:5], -v[8:9]
	v_fma_f64 v[4:5], v[49:50], v[4:5], v[6:7]
	v_add_f64 v[31:32], v[12:13], v[8:9]
	v_add_f64 v[33:34], v[4:5], v[14:15]
	ds_read_b128 v[8:11], v63 offset:256
	ds_read_b128 v[12:15], v38 offset:8192
	;; [unrolled: 1-line block ×3, first 2 shown]
	s_waitcnt lgkmcnt(1)
	v_mul_f64 v[4:5], v[10:11], v[14:15]
	v_mul_f64 v[6:7], v[8:9], v[14:15]
	v_fma_f64 v[4:5], v[8:9], v[12:13], -v[4:5]
	v_fma_f64 v[6:7], v[10:11], v[12:13], v[6:7]
	v_add_f64 v[4:5], v[24:25], v[4:5]
	s_waitcnt lgkmcnt(0)
	v_mul_f64 v[24:25], v[10:11], v[18:19]
	v_add_f64 v[6:7], v[6:7], v[28:29]
	v_fma_f64 v[24:25], v[8:9], v[16:17], -v[24:25]
	v_mul_f64 v[8:9], v[8:9], v[18:19]
	v_add_f64 v[24:25], v[20:21], v[24:25]
	v_fma_f64 v[8:9], v[10:11], v[16:17], v[8:9]
	v_add_f64 v[35:36], v[8:9], v[22:23]
	ds_read_b128 v[8:11], v63 offset:8448
	s_waitcnt lgkmcnt(0)
	v_mul_f64 v[20:21], v[10:11], v[14:15]
	v_mul_f64 v[14:15], v[8:9], v[14:15]
	v_fma_f64 v[20:21], v[8:9], v[12:13], -v[20:21]
	v_fma_f64 v[12:13], v[10:11], v[12:13], v[14:15]
	v_add_f64 v[20:21], v[0:1], v[20:21]
	v_mul_f64 v[0:1], v[10:11], v[18:19]
	v_add_f64 v[22:23], v[12:13], v[26:27]
	v_fma_f64 v[0:1], v[8:9], v[16:17], -v[0:1]
	v_mul_f64 v[8:9], v[8:9], v[18:19]
	v_fma_f64 v[8:9], v[10:11], v[16:17], v[8:9]
	v_add_f64 v[16:17], v[31:32], v[0:1]
	v_add_f64 v[18:19], v[8:9], v[33:34]
	ds_read_b128 v[12:15], v63 offset:272
	ds_read_b128 v[8:11], v38 offset:8704
	s_waitcnt lgkmcnt(0)
	v_mul_f64 v[0:1], v[14:15], v[10:11]
	v_mul_f64 v[26:27], v[12:13], v[10:11]
	v_fma_f64 v[0:1], v[12:13], v[8:9], -v[0:1]
	v_fma_f64 v[26:27], v[14:15], v[8:9], v[26:27]
	v_add_f64 v[28:29], v[4:5], v[0:1]
	v_add_f64 v[31:32], v[26:27], v[6:7]
	ds_read_b128 v[4:7], v38 offset:8960
	s_waitcnt lgkmcnt(0)
	v_mul_f64 v[0:1], v[14:15], v[6:7]
	v_fma_f64 v[0:1], v[12:13], v[4:5], -v[0:1]
	v_mul_f64 v[12:13], v[12:13], v[6:7]
	v_add_f64 v[24:25], v[24:25], v[0:1]
	v_fma_f64 v[12:13], v[14:15], v[4:5], v[12:13]
	v_add_f64 v[57:58], v[12:13], v[35:36]
	ds_read_b128 v[12:15], v63 offset:8464
	s_waitcnt lgkmcnt(0)
	v_mul_f64 v[0:1], v[14:15], v[10:11]
	v_mul_f64 v[10:11], v[12:13], v[10:11]
	v_fma_f64 v[0:1], v[12:13], v[8:9], -v[0:1]
	v_fma_f64 v[8:9], v[14:15], v[8:9], v[10:11]
	v_add_f64 v[0:1], v[20:21], v[0:1]
	v_add_f64 v[22:23], v[8:9], v[22:23]
	v_mul_f64 v[8:9], v[14:15], v[6:7]
	v_mul_f64 v[6:7], v[12:13], v[6:7]
	v_fma_f64 v[8:9], v[12:13], v[4:5], -v[8:9]
	v_fma_f64 v[4:5], v[14:15], v[4:5], v[6:7]
	v_add_f64 v[26:27], v[16:17], v[8:9]
	v_add_f64 v[33:34], v[4:5], v[18:19]
	ds_read_b128 v[8:11], v63 offset:288
	ds_read_b128 v[12:15], v38 offset:9216
	;; [unrolled: 1-line block ×3, first 2 shown]
	s_waitcnt lgkmcnt(1)
	v_mul_f64 v[4:5], v[10:11], v[14:15]
	s_waitcnt lgkmcnt(0)
	v_mul_f64 v[20:21], v[10:11], v[18:19]
	v_mul_f64 v[6:7], v[8:9], v[14:15]
	v_fma_f64 v[4:5], v[8:9], v[12:13], -v[4:5]
	v_fma_f64 v[20:21], v[8:9], v[16:17], -v[20:21]
	v_mul_f64 v[8:9], v[8:9], v[18:19]
	v_fma_f64 v[6:7], v[10:11], v[12:13], v[6:7]
	v_add_f64 v[4:5], v[28:29], v[4:5]
	v_add_f64 v[24:25], v[24:25], v[20:21]
	v_fma_f64 v[8:9], v[10:11], v[16:17], v[8:9]
	v_add_f64 v[6:7], v[6:7], v[31:32]
	v_add_f64 v[35:36], v[8:9], v[57:58]
	ds_read_b128 v[8:11], v63 offset:8480
	s_waitcnt lgkmcnt(0)
	v_mul_f64 v[20:21], v[10:11], v[14:15]
	v_mul_f64 v[14:15], v[8:9], v[14:15]
	v_fma_f64 v[20:21], v[8:9], v[12:13], -v[20:21]
	v_fma_f64 v[12:13], v[10:11], v[12:13], v[14:15]
	v_add_f64 v[20:21], v[0:1], v[20:21]
	v_mul_f64 v[0:1], v[10:11], v[18:19]
	v_add_f64 v[22:23], v[12:13], v[22:23]
	v_fma_f64 v[0:1], v[8:9], v[16:17], -v[0:1]
	v_mul_f64 v[8:9], v[8:9], v[18:19]
	v_fma_f64 v[8:9], v[10:11], v[16:17], v[8:9]
	v_add_f64 v[16:17], v[26:27], v[0:1]
	v_add_f64 v[18:19], v[8:9], v[33:34]
	ds_read_b128 v[12:15], v63 offset:304
	ds_read_b128 v[8:11], v38 offset:9728
	s_waitcnt lgkmcnt(0)
	v_mul_f64 v[0:1], v[14:15], v[10:11]
	v_mul_f64 v[26:27], v[12:13], v[10:11]
	v_fma_f64 v[0:1], v[12:13], v[8:9], -v[0:1]
	v_fma_f64 v[26:27], v[14:15], v[8:9], v[26:27]
	v_add_f64 v[28:29], v[4:5], v[0:1]
	v_add_f64 v[31:32], v[26:27], v[6:7]
	ds_read_b128 v[4:7], v38 offset:9984
	s_waitcnt lgkmcnt(0)
	v_mul_f64 v[0:1], v[14:15], v[6:7]
	v_fma_f64 v[0:1], v[12:13], v[4:5], -v[0:1]
	v_mul_f64 v[12:13], v[12:13], v[6:7]
	v_add_f64 v[24:25], v[24:25], v[0:1]
	v_fma_f64 v[12:13], v[14:15], v[4:5], v[12:13]
	v_add_f64 v[57:58], v[12:13], v[35:36]
	ds_read_b128 v[12:15], v63 offset:8496
	s_waitcnt lgkmcnt(0)
	v_mul_f64 v[0:1], v[14:15], v[10:11]
	v_mul_f64 v[10:11], v[12:13], v[10:11]
	v_fma_f64 v[0:1], v[12:13], v[8:9], -v[0:1]
	v_fma_f64 v[8:9], v[14:15], v[8:9], v[10:11]
	v_add_f64 v[0:1], v[20:21], v[0:1]
	v_add_f64 v[22:23], v[8:9], v[22:23]
	v_mul_f64 v[8:9], v[14:15], v[6:7]
	v_mul_f64 v[6:7], v[12:13], v[6:7]
	v_fma_f64 v[8:9], v[12:13], v[4:5], -v[8:9]
	v_fma_f64 v[4:5], v[14:15], v[4:5], v[6:7]
	v_add_f64 v[26:27], v[16:17], v[8:9]
	v_add_f64 v[33:34], v[4:5], v[18:19]
	ds_read_b128 v[8:11], v63 offset:320
	ds_read_b128 v[12:15], v38 offset:10240
	;; [unrolled: 1-line block ×3, first 2 shown]
	s_waitcnt lgkmcnt(1)
	v_mul_f64 v[4:5], v[10:11], v[14:15]
	s_waitcnt lgkmcnt(0)
	v_mul_f64 v[20:21], v[10:11], v[18:19]
	v_mul_f64 v[6:7], v[8:9], v[14:15]
	v_fma_f64 v[4:5], v[8:9], v[12:13], -v[4:5]
	v_fma_f64 v[20:21], v[8:9], v[16:17], -v[20:21]
	v_mul_f64 v[8:9], v[8:9], v[18:19]
	v_fma_f64 v[6:7], v[10:11], v[12:13], v[6:7]
	v_add_f64 v[4:5], v[28:29], v[4:5]
	v_add_f64 v[24:25], v[24:25], v[20:21]
	v_fma_f64 v[8:9], v[10:11], v[16:17], v[8:9]
	v_add_f64 v[6:7], v[6:7], v[31:32]
	v_add_f64 v[31:32], v[8:9], v[57:58]
	ds_read_b128 v[8:11], v63 offset:8512
	s_waitcnt lgkmcnt(0)
	v_mul_f64 v[20:21], v[10:11], v[14:15]
	v_mul_f64 v[14:15], v[8:9], v[14:15]
	v_fma_f64 v[20:21], v[8:9], v[12:13], -v[20:21]
	v_fma_f64 v[12:13], v[10:11], v[12:13], v[14:15]
	v_add_f64 v[20:21], v[0:1], v[20:21]
	v_mul_f64 v[0:1], v[10:11], v[18:19]
	v_add_f64 v[22:23], v[12:13], v[22:23]
	v_fma_f64 v[0:1], v[8:9], v[16:17], -v[0:1]
	v_mul_f64 v[8:9], v[8:9], v[18:19]
	v_fma_f64 v[8:9], v[10:11], v[16:17], v[8:9]
	v_add_f64 v[16:17], v[26:27], v[0:1]
	v_add_f64 v[18:19], v[8:9], v[33:34]
	ds_read_b128 v[12:15], v63 offset:336
	ds_read_b128 v[8:11], v38 offset:10752
	s_waitcnt lgkmcnt(0)
	v_mul_f64 v[0:1], v[14:15], v[10:11]
	v_mul_f64 v[26:27], v[12:13], v[10:11]
	v_fma_f64 v[0:1], v[12:13], v[8:9], -v[0:1]
	v_fma_f64 v[28:29], v[14:15], v[8:9], v[26:27]
	v_add_f64 v[26:27], v[4:5], v[0:1]
	v_add_f64 v[28:29], v[28:29], v[6:7]
	ds_read_b128 v[4:7], v38 offset:11008
	s_waitcnt lgkmcnt(0)
	v_mul_f64 v[0:1], v[14:15], v[6:7]
	v_fma_f64 v[0:1], v[12:13], v[4:5], -v[0:1]
	v_mul_f64 v[12:13], v[12:13], v[6:7]
	v_add_f64 v[24:25], v[24:25], v[0:1]
	v_fma_f64 v[12:13], v[14:15], v[4:5], v[12:13]
	v_add_f64 v[57:58], v[12:13], v[31:32]
	ds_read_b128 v[12:15], v63 offset:8528
	s_waitcnt lgkmcnt(0)
	v_mul_f64 v[0:1], v[14:15], v[10:11]
	v_mul_f64 v[10:11], v[12:13], v[10:11]
	v_fma_f64 v[0:1], v[12:13], v[8:9], -v[0:1]
	v_fma_f64 v[8:9], v[14:15], v[8:9], v[10:11]
	v_add_f64 v[0:1], v[20:21], v[0:1]
	v_add_f64 v[20:21], v[8:9], v[22:23]
	v_mul_f64 v[8:9], v[14:15], v[6:7]
	v_mul_f64 v[6:7], v[12:13], v[6:7]
	v_fma_f64 v[8:9], v[12:13], v[4:5], -v[8:9]
	v_fma_f64 v[4:5], v[14:15], v[4:5], v[6:7]
	v_add_f64 v[22:23], v[16:17], v[8:9]
	v_add_f64 v[31:32], v[4:5], v[18:19]
	ds_read_b128 v[4:7], v63 offset:352
	ds_read_b128 v[12:15], v38 offset:11264
	;; [unrolled: 1-line block ×3, first 2 shown]
	s_waitcnt lgkmcnt(1)
	v_mul_f64 v[8:9], v[6:7], v[14:15]
	v_mul_f64 v[10:11], v[4:5], v[14:15]
	v_fma_f64 v[8:9], v[4:5], v[12:13], -v[8:9]
	v_fma_f64 v[10:11], v[6:7], v[12:13], v[10:11]
	v_add_f64 v[8:9], v[26:27], v[8:9]
	s_waitcnt lgkmcnt(0)
	v_mul_f64 v[26:27], v[6:7], v[18:19]
	v_add_f64 v[10:11], v[10:11], v[28:29]
	v_fma_f64 v[26:27], v[4:5], v[16:17], -v[26:27]
	v_mul_f64 v[4:5], v[4:5], v[18:19]
	v_add_f64 v[26:27], v[24:25], v[26:27]
	v_fma_f64 v[4:5], v[6:7], v[16:17], v[4:5]
	v_add_f64 v[33:34], v[4:5], v[57:58]
	ds_read_b128 v[4:7], v63 offset:8544
	s_waitcnt lgkmcnt(0)
	v_mul_f64 v[24:25], v[6:7], v[14:15]
	v_mul_f64 v[14:15], v[4:5], v[14:15]
	v_fma_f64 v[24:25], v[4:5], v[12:13], -v[24:25]
	v_fma_f64 v[14:15], v[6:7], v[12:13], v[14:15]
	v_add_f64 v[12:13], v[0:1], v[24:25]
	v_mul_f64 v[0:1], v[6:7], v[18:19]
	v_add_f64 v[14:15], v[14:15], v[20:21]
	v_fma_f64 v[0:1], v[4:5], v[16:17], -v[0:1]
	v_mul_f64 v[4:5], v[4:5], v[18:19]
	v_fma_f64 v[4:5], v[6:7], v[16:17], v[4:5]
	v_add_f64 v[16:17], v[22:23], v[0:1]
	v_add_f64 v[18:19], v[4:5], v[31:32]
	ds_read_b128 v[20:23], v63 offset:368
	ds_read_b128 v[4:7], v38 offset:11776
	;; [unrolled: 1-line block ×3, first 2 shown]
	s_waitcnt lgkmcnt(1)
	v_mul_f64 v[0:1], v[22:23], v[6:7]
	v_mul_f64 v[24:25], v[20:21], v[6:7]
	v_fma_f64 v[0:1], v[20:21], v[4:5], -v[0:1]
	v_fma_f64 v[28:29], v[22:23], v[4:5], v[24:25]
	v_add_f64 v[24:25], v[8:9], v[0:1]
	v_add_f64 v[28:29], v[28:29], v[10:11]
	ds_read_b128 v[8:11], v38 offset:12032
	s_waitcnt lgkmcnt(0)
	v_mul_f64 v[0:1], v[22:23], v[10:11]
	v_fma_f64 v[0:1], v[20:21], v[8:9], -v[0:1]
	v_mul_f64 v[20:21], v[20:21], v[10:11]
	v_fma_f64 v[22:23], v[22:23], v[8:9], v[20:21]
	v_add_f64 v[20:21], v[26:27], v[0:1]
	v_mul_f64 v[0:1], v[49:50], v[6:7]
	v_mul_f64 v[6:7], v[47:48], v[6:7]
	v_add_f64 v[22:23], v[22:23], v[33:34]
	v_fma_f64 v[0:1], v[47:48], v[4:5], -v[0:1]
	v_fma_f64 v[4:5], v[49:50], v[4:5], v[6:7]
	v_mul_f64 v[6:7], v[47:48], v[10:11]
	v_add_f64 v[0:1], v[12:13], v[0:1]
	v_add_f64 v[31:32], v[4:5], v[14:15]
	v_mul_f64 v[4:5], v[49:50], v[10:11]
	v_fma_f64 v[6:7], v[49:50], v[8:9], v[6:7]
	v_fma_f64 v[4:5], v[47:48], v[8:9], -v[4:5]
	ds_read_b128 v[8:11], v63 offset:384
	ds_read_b128 v[12:15], v38 offset:12288
	v_add_f64 v[35:36], v[6:7], v[18:19]
	s_waitcnt lgkmcnt(0)
	v_mul_f64 v[6:7], v[8:9], v[14:15]
	v_add_f64 v[33:34], v[16:17], v[4:5]
	v_mul_f64 v[4:5], v[10:11], v[14:15]
	v_fma_f64 v[6:7], v[10:11], v[12:13], v[6:7]
	v_fma_f64 v[4:5], v[8:9], v[12:13], -v[4:5]
	v_add_f64 v[6:7], v[6:7], v[28:29]
	v_add_f64 v[4:5], v[24:25], v[4:5]
	ds_read_b128 v[24:27], v38 offset:12544
	s_waitcnt lgkmcnt(0)
	v_mul_f64 v[16:17], v[10:11], v[26:27]
	v_fma_f64 v[16:17], v[8:9], v[24:25], -v[16:17]
	v_mul_f64 v[8:9], v[8:9], v[26:27]
	v_add_f64 v[41:42], v[20:21], v[16:17]
	v_fma_f64 v[8:9], v[10:11], v[24:25], v[8:9]
	v_add_f64 v[45:46], v[8:9], v[22:23]
	ds_read_b128 v[8:11], v63 offset:8576
	s_waitcnt lgkmcnt(0)
	v_mul_f64 v[16:17], v[10:11], v[14:15]
	v_mul_f64 v[14:15], v[8:9], v[14:15]
	v_fma_f64 v[16:17], v[8:9], v[12:13], -v[16:17]
	v_fma_f64 v[12:13], v[10:11], v[12:13], v[14:15]
	v_add_f64 v[16:17], v[0:1], v[16:17]
	v_mul_f64 v[0:1], v[10:11], v[26:27]
	v_add_f64 v[18:19], v[12:13], v[31:32]
	v_fma_f64 v[0:1], v[8:9], v[24:25], -v[0:1]
	v_mul_f64 v[8:9], v[8:9], v[26:27]
	v_add_f64 v[12:13], v[33:34], v[0:1]
	v_fma_f64 v[8:9], v[10:11], v[24:25], v[8:9]
	v_add_f64 v[14:15], v[8:9], v[35:36]
	ds_read_b128 v[20:23], v63 offset:400
	ds_read_b128 v[8:11], v38 offset:12800
	;; [unrolled: 1-line block ×3, first 2 shown]
	s_waitcnt lgkmcnt(1)
	v_mul_f64 v[0:1], v[22:23], v[10:11]
	v_mul_f64 v[24:25], v[20:21], v[10:11]
	v_fma_f64 v[0:1], v[20:21], v[8:9], -v[0:1]
	v_fma_f64 v[26:27], v[22:23], v[8:9], v[24:25]
	v_add_f64 v[24:25], v[4:5], v[0:1]
	v_add_f64 v[28:29], v[26:27], v[6:7]
	ds_read_b128 v[4:7], v38 offset:13056
	s_waitcnt lgkmcnt(0)
	v_mul_f64 v[0:1], v[22:23], v[6:7]
	v_fma_f64 v[0:1], v[20:21], v[4:5], -v[0:1]
	v_mul_f64 v[20:21], v[20:21], v[6:7]
	v_fma_f64 v[22:23], v[22:23], v[4:5], v[20:21]
	v_add_f64 v[20:21], v[41:42], v[0:1]
	v_mul_f64 v[0:1], v[49:50], v[10:11]
	v_mul_f64 v[10:11], v[47:48], v[10:11]
	v_add_f64 v[22:23], v[22:23], v[45:46]
	v_fma_f64 v[0:1], v[47:48], v[8:9], -v[0:1]
	v_fma_f64 v[8:9], v[49:50], v[8:9], v[10:11]
	v_add_f64 v[0:1], v[16:17], v[0:1]
	v_add_f64 v[26:27], v[8:9], v[18:19]
	v_mul_f64 v[8:9], v[49:50], v[6:7]
	v_mul_f64 v[6:7], v[47:48], v[6:7]
	v_fma_f64 v[8:9], v[47:48], v[4:5], -v[8:9]
	v_fma_f64 v[4:5], v[49:50], v[4:5], v[6:7]
	v_add_f64 v[31:32], v[12:13], v[8:9]
	v_add_f64 v[33:34], v[4:5], v[14:15]
	ds_read_b128 v[8:11], v63 offset:416
	ds_read_b128 v[12:15], v38 offset:13312
	;; [unrolled: 1-line block ×3, first 2 shown]
	s_waitcnt lgkmcnt(1)
	v_mul_f64 v[4:5], v[10:11], v[14:15]
	v_mul_f64 v[6:7], v[8:9], v[14:15]
	v_fma_f64 v[4:5], v[8:9], v[12:13], -v[4:5]
	v_fma_f64 v[6:7], v[10:11], v[12:13], v[6:7]
	v_add_f64 v[4:5], v[24:25], v[4:5]
	s_waitcnt lgkmcnt(0)
	v_mul_f64 v[24:25], v[10:11], v[18:19]
	v_add_f64 v[6:7], v[6:7], v[28:29]
	v_fma_f64 v[24:25], v[8:9], v[16:17], -v[24:25]
	v_mul_f64 v[8:9], v[8:9], v[18:19]
	v_add_f64 v[24:25], v[20:21], v[24:25]
	v_fma_f64 v[8:9], v[10:11], v[16:17], v[8:9]
	v_add_f64 v[35:36], v[8:9], v[22:23]
	ds_read_b128 v[8:11], v63 offset:8608
	s_waitcnt lgkmcnt(0)
	v_mul_f64 v[20:21], v[10:11], v[14:15]
	v_mul_f64 v[14:15], v[8:9], v[14:15]
	v_fma_f64 v[20:21], v[8:9], v[12:13], -v[20:21]
	v_fma_f64 v[12:13], v[10:11], v[12:13], v[14:15]
	v_add_f64 v[20:21], v[0:1], v[20:21]
	v_mul_f64 v[0:1], v[10:11], v[18:19]
	v_add_f64 v[22:23], v[12:13], v[26:27]
	v_fma_f64 v[0:1], v[8:9], v[16:17], -v[0:1]
	v_mul_f64 v[8:9], v[8:9], v[18:19]
	v_fma_f64 v[8:9], v[10:11], v[16:17], v[8:9]
	v_add_f64 v[16:17], v[31:32], v[0:1]
	v_add_f64 v[18:19], v[8:9], v[33:34]
	ds_read_b128 v[12:15], v63 offset:432
	ds_read_b128 v[8:11], v38 offset:13824
	s_waitcnt lgkmcnt(0)
	v_mul_f64 v[0:1], v[14:15], v[10:11]
	v_mul_f64 v[26:27], v[12:13], v[10:11]
	v_fma_f64 v[0:1], v[12:13], v[8:9], -v[0:1]
	v_fma_f64 v[26:27], v[14:15], v[8:9], v[26:27]
	v_add_f64 v[28:29], v[4:5], v[0:1]
	v_add_f64 v[31:32], v[26:27], v[6:7]
	ds_read_b128 v[4:7], v38 offset:14080
	s_waitcnt lgkmcnt(0)
	v_mul_f64 v[0:1], v[14:15], v[6:7]
	v_fma_f64 v[0:1], v[12:13], v[4:5], -v[0:1]
	v_mul_f64 v[12:13], v[12:13], v[6:7]
	v_add_f64 v[24:25], v[24:25], v[0:1]
	v_fma_f64 v[12:13], v[14:15], v[4:5], v[12:13]
	v_add_f64 v[57:58], v[12:13], v[35:36]
	ds_read_b128 v[12:15], v63 offset:8624
	s_waitcnt lgkmcnt(0)
	v_mul_f64 v[0:1], v[14:15], v[10:11]
	v_mul_f64 v[10:11], v[12:13], v[10:11]
	v_fma_f64 v[0:1], v[12:13], v[8:9], -v[0:1]
	v_fma_f64 v[8:9], v[14:15], v[8:9], v[10:11]
	v_add_f64 v[0:1], v[20:21], v[0:1]
	v_add_f64 v[22:23], v[8:9], v[22:23]
	v_mul_f64 v[8:9], v[14:15], v[6:7]
	v_mul_f64 v[6:7], v[12:13], v[6:7]
	v_fma_f64 v[8:9], v[12:13], v[4:5], -v[8:9]
	v_fma_f64 v[4:5], v[14:15], v[4:5], v[6:7]
	v_add_f64 v[26:27], v[16:17], v[8:9]
	v_add_f64 v[33:34], v[4:5], v[18:19]
	ds_read_b128 v[8:11], v63 offset:448
	ds_read_b128 v[12:15], v38 offset:14336
	ds_read_b128 v[16:19], v38 offset:14592
	s_waitcnt lgkmcnt(1)
	v_mul_f64 v[4:5], v[10:11], v[14:15]
	s_waitcnt lgkmcnt(0)
	v_mul_f64 v[20:21], v[10:11], v[18:19]
	v_mul_f64 v[6:7], v[8:9], v[14:15]
	v_fma_f64 v[4:5], v[8:9], v[12:13], -v[4:5]
	v_fma_f64 v[20:21], v[8:9], v[16:17], -v[20:21]
	v_mul_f64 v[8:9], v[8:9], v[18:19]
	v_fma_f64 v[6:7], v[10:11], v[12:13], v[6:7]
	v_add_f64 v[4:5], v[28:29], v[4:5]
	v_add_f64 v[24:25], v[24:25], v[20:21]
	v_fma_f64 v[8:9], v[10:11], v[16:17], v[8:9]
	v_add_f64 v[6:7], v[6:7], v[31:32]
	v_add_f64 v[35:36], v[8:9], v[57:58]
	ds_read_b128 v[8:11], v63 offset:8640
	s_waitcnt lgkmcnt(0)
	v_mul_f64 v[20:21], v[10:11], v[14:15]
	v_mul_f64 v[14:15], v[8:9], v[14:15]
	v_fma_f64 v[20:21], v[8:9], v[12:13], -v[20:21]
	v_fma_f64 v[12:13], v[10:11], v[12:13], v[14:15]
	v_add_f64 v[20:21], v[0:1], v[20:21]
	v_mul_f64 v[0:1], v[10:11], v[18:19]
	v_add_f64 v[22:23], v[12:13], v[22:23]
	v_fma_f64 v[0:1], v[8:9], v[16:17], -v[0:1]
	v_mul_f64 v[8:9], v[8:9], v[18:19]
	v_fma_f64 v[8:9], v[10:11], v[16:17], v[8:9]
	v_add_f64 v[16:17], v[26:27], v[0:1]
	v_add_f64 v[18:19], v[8:9], v[33:34]
	ds_read_b128 v[12:15], v63 offset:464
	ds_read_b128 v[8:11], v38 offset:14848
	s_waitcnt lgkmcnt(0)
	v_mul_f64 v[0:1], v[14:15], v[10:11]
	v_mul_f64 v[26:27], v[12:13], v[10:11]
	v_fma_f64 v[0:1], v[12:13], v[8:9], -v[0:1]
	v_fma_f64 v[26:27], v[14:15], v[8:9], v[26:27]
	v_add_f64 v[28:29], v[4:5], v[0:1]
	v_add_f64 v[31:32], v[26:27], v[6:7]
	ds_read_b128 v[4:7], v38 offset:15104
	s_waitcnt lgkmcnt(0)
	v_mul_f64 v[0:1], v[14:15], v[6:7]
	v_fma_f64 v[0:1], v[12:13], v[4:5], -v[0:1]
	v_mul_f64 v[12:13], v[12:13], v[6:7]
	v_add_f64 v[24:25], v[24:25], v[0:1]
	v_fma_f64 v[12:13], v[14:15], v[4:5], v[12:13]
	v_add_f64 v[57:58], v[12:13], v[35:36]
	ds_read_b128 v[12:15], v63 offset:8656
	s_waitcnt lgkmcnt(0)
	v_mul_f64 v[0:1], v[14:15], v[10:11]
	v_mul_f64 v[10:11], v[12:13], v[10:11]
	v_fma_f64 v[0:1], v[12:13], v[8:9], -v[0:1]
	v_fma_f64 v[8:9], v[14:15], v[8:9], v[10:11]
	v_add_f64 v[0:1], v[20:21], v[0:1]
	v_add_f64 v[20:21], v[8:9], v[22:23]
	v_mul_f64 v[8:9], v[14:15], v[6:7]
	v_mul_f64 v[6:7], v[12:13], v[6:7]
	v_fma_f64 v[8:9], v[12:13], v[4:5], -v[8:9]
	v_fma_f64 v[4:5], v[14:15], v[4:5], v[6:7]
	v_add_f64 v[22:23], v[16:17], v[8:9]
	ds_read_b128 v[8:11], v63 offset:480
	ds_read_b128 v[12:15], v38 offset:15360
	v_add_f64 v[26:27], v[4:5], v[18:19]
	ds_read_b128 v[16:19], v38 offset:15616
	s_waitcnt lgkmcnt(1)
	v_mul_f64 v[4:5], v[10:11], v[14:15]
	v_mul_f64 v[6:7], v[8:9], v[14:15]
	v_fma_f64 v[4:5], v[8:9], v[12:13], -v[4:5]
	v_fma_f64 v[6:7], v[10:11], v[12:13], v[6:7]
	v_add_f64 v[4:5], v[28:29], v[4:5]
	s_waitcnt lgkmcnt(0)
	v_mul_f64 v[28:29], v[10:11], v[18:19]
	v_add_f64 v[6:7], v[6:7], v[31:32]
	v_fma_f64 v[28:29], v[8:9], v[16:17], -v[28:29]
	v_mul_f64 v[8:9], v[8:9], v[18:19]
	v_add_f64 v[28:29], v[24:25], v[28:29]
	v_fma_f64 v[8:9], v[10:11], v[16:17], v[8:9]
	v_add_f64 v[33:34], v[8:9], v[57:58]
	ds_read_b128 v[8:11], v63 offset:8672
	s_waitcnt lgkmcnt(0)
	v_mul_f64 v[24:25], v[10:11], v[14:15]
	v_mul_f64 v[14:15], v[8:9], v[14:15]
	v_fma_f64 v[24:25], v[8:9], v[12:13], -v[24:25]
	v_fma_f64 v[12:13], v[10:11], v[12:13], v[14:15]
	v_add_f64 v[24:25], v[0:1], v[24:25]
	v_mul_f64 v[0:1], v[10:11], v[18:19]
	v_add_f64 v[31:32], v[12:13], v[20:21]
	v_fma_f64 v[0:1], v[8:9], v[16:17], -v[0:1]
	v_mul_f64 v[8:9], v[8:9], v[18:19]
	v_add_f64 v[20:21], v[22:23], v[0:1]
	v_fma_f64 v[8:9], v[10:11], v[16:17], v[8:9]
	v_add_f64 v[22:23], v[8:9], v[26:27]
	ds_read_b128 v[12:15], v63 offset:496
	ds_read_b128 v[8:11], v38 offset:15872
	s_waitcnt lgkmcnt(0)
	v_mul_f64 v[0:1], v[14:15], v[10:11]
	v_mul_f64 v[16:17], v[12:13], v[10:11]
	v_fma_f64 v[0:1], v[12:13], v[8:9], -v[0:1]
	v_fma_f64 v[16:17], v[14:15], v[8:9], v[16:17]
	v_add_f64 v[57:58], v[4:5], v[0:1]
	v_add_f64 v[59:60], v[16:17], v[6:7]
	ds_read_b128 v[4:7], v38 offset:16128
	s_waitcnt lgkmcnt(0)
	v_mul_f64 v[0:1], v[14:15], v[6:7]
	v_fma_f64 v[0:1], v[12:13], v[4:5], -v[0:1]
	v_mul_f64 v[12:13], v[12:13], v[6:7]
	v_add_f64 v[16:17], v[28:29], v[0:1]
	v_fma_f64 v[12:13], v[14:15], v[4:5], v[12:13]
	v_add_f64 v[18:19], v[12:13], v[33:34]
	ds_read_b128 v[12:15], v63 offset:8688
	s_waitcnt lgkmcnt(0)
	s_barrier
	v_mul_f64 v[0:1], v[14:15], v[10:11]
	v_mul_f64 v[10:11], v[12:13], v[10:11]
	v_fma_f64 v[0:1], v[12:13], v[8:9], -v[0:1]
	v_fma_f64 v[8:9], v[14:15], v[8:9], v[10:11]
	v_add_f64 v[61:62], v[24:25], v[0:1]
	v_mul_f64 v[0:1], v[14:15], v[6:7]
	v_mul_f64 v[6:7], v[12:13], v[6:7]
	v_add_f64 v[24:25], v[8:9], v[31:32]
	v_fma_f64 v[0:1], v[12:13], v[4:5], -v[0:1]
	v_fma_f64 v[4:5], v[14:15], v[4:5], v[6:7]
	v_add_f64 v[14:15], v[20:21], v[0:1]
	v_add_f64 v[12:13], v[4:5], v[22:23]
	v_mov_b32_e32 v0, s39
	v_addc_co_u32_e64 v56, s[10:11], v56, v0, s[10:11]
	v_add_co_u32_e64 v53, s[10:11], s36, v53
	v_mov_b32_e32 v0, s37
	v_addc_co_u32_e64 v54, s[10:11], v54, v0, s[10:11]
	v_add_co_u32_e64 v51, s[10:11], s36, v51
	v_addc_co_u32_e64 v52, s[10:11], v52, v0, s[10:11]
	s_cbranch_scc1 .LBB129_55
.LBB129_7:                              ;   Parent Loop BB129_4 Depth=1
                                        ; =>  This Inner Loop Header: Depth=2
	buffer_load_dword v1, off, s[52:55], 0 offset:36 ; 4-byte Folded Reload
	v_mov_b32_e32 v0, s23
	s_waitcnt vmcnt(4)
	v_add_co_u32_e64 v6, s[12:13], v53, v43
	s_waitcnt vmcnt(3)
	v_addc_co_u32_e64 v7, s[12:13], v54, v44, s[12:13]
	s_waitcnt vmcnt(0)
	v_add_co_u32_e64 v8, s[10:11], s22, v1
	v_addc_co_u32_e64 v9, s[10:11], 0, v0, s[10:11]
	buffer_load_dword v0, off, s[52:55], 0 offset:4 ; 4-byte Folded Reload
	buffer_load_dword v1, off, s[52:55], 0 offset:8 ; 4-byte Folded Reload
	v_cmp_le_i64_e64 s[12:13], s[46:47], v[8:9]
	s_waitcnt vmcnt(0)
	v_cmp_eq_u64_e64 s[10:11], s[22:23], v[0:1]
	s_and_b64 s[26:27], s[34:35], s[10:11]
	v_cmp_gt_i64_e64 s[10:11], v[8:9], v[39:40]
	s_or_b64 s[14:15], s[16:17], s[10:11]
	s_or_b64 s[14:15], s[14:15], s[26:27]
	s_nor_b64 s[14:15], s[12:13], s[14:15]
	s_and_saveexec_b64 s[18:19], s[14:15]
	s_xor_b64 s[14:15], exec, s[18:19]
	s_cbranch_execz .LBB129_9
; %bb.8:                                ;   in Loop: Header=BB129_7 Depth=2
	global_load_dwordx4 v[20:23], v[6:7], off
	s_waitcnt vmcnt(0)
	v_xor_b32_e32 v23, 0x80000000, v23
	ds_write_b128 v37, v[20:23]
.LBB129_9:                              ;   in Loop: Header=BB129_7 Depth=2
	s_or_saveexec_b64 s[14:15], s[14:15]
	s_xor_b64 s[24:25], s[26:27], -1
	s_xor_b64 exec, exec, s[14:15]
	s_cbranch_execz .LBB129_15
; %bb.10:                               ;   in Loop: Header=BB129_7 Depth=2
	s_and_saveexec_b64 s[18:19], s[24:25]
	s_xor_b64 s[18:19], exec, s[18:19]
; %bb.11:                               ;   in Loop: Header=BB129_7 Depth=2
	v_mov_b32_e32 v20, v2
	v_mov_b32_e32 v21, v2
	;; [unrolled: 1-line block ×4, first 2 shown]
	ds_write_b128 v37, v[20:23]
; %bb.12:                               ;   in Loop: Header=BB129_7 Depth=2
	s_andn2_saveexec_b64 s[18:19], s[18:19]
; %bb.13:                               ;   in Loop: Header=BB129_7 Depth=2
	v_mov_b32_e32 v4, v2
	v_mov_b32_e32 v5, v2
	ds_write_b128 v37, v[2:5]
; %bb.14:                               ;   in Loop: Header=BB129_7 Depth=2
	s_or_b64 exec, exec, s[18:19]
.LBB129_15:                             ;   in Loop: Header=BB129_7 Depth=2
	s_or_b64 exec, exec, s[14:15]
	buffer_load_dword v0, off, s[52:55], 0 offset:28 ; 4-byte Folded Reload
	buffer_load_dword v1, off, s[52:55], 0 offset:32 ; 4-byte Folded Reload
	v_add_co_u32_e64 v4, s[18:19], 16, v8
	v_addc_co_u32_e64 v5, s[18:19], 0, v9, s[18:19]
	v_cmp_gt_i64_e64 s[18:19], v[4:5], v[39:40]
	s_or_b64 s[18:19], s[16:17], s[18:19]
	s_waitcnt vmcnt(0)
	v_cmp_eq_u64_e64 s[14:15], s[22:23], v[0:1]
	s_and_b64 s[20:21], s[34:35], s[14:15]
	v_cmp_le_i64_e64 s[14:15], s[46:47], v[4:5]
	s_or_b64 s[18:19], s[18:19], s[20:21]
	s_nor_b64 s[18:19], s[14:15], s[18:19]
	s_and_saveexec_b64 s[44:45], s[18:19]
	s_xor_b64 s[44:45], exec, s[44:45]
	s_cbranch_execz .LBB129_17
; %bb.16:                               ;   in Loop: Header=BB129_7 Depth=2
	v_add_co_u32_e64 v4, s[18:19], v51, v43
	v_addc_co_u32_e64 v5, s[18:19], v52, v44, s[18:19]
	global_load_dwordx4 v[20:23], v[4:5], off
	s_waitcnt vmcnt(0)
	v_xor_b32_e32 v23, 0x80000000, v23
	ds_write_b128 v37, v[20:23] offset:256
.LBB129_17:                             ;   in Loop: Header=BB129_7 Depth=2
	s_andn2_saveexec_b64 s[18:19], s[44:45]
	s_cbranch_execz .LBB129_23
; %bb.18:                               ;   in Loop: Header=BB129_7 Depth=2
	s_xor_b64 s[20:21], s[20:21], -1
	s_and_saveexec_b64 s[44:45], s[20:21]
	s_xor_b64 s[20:21], exec, s[44:45]
; %bb.19:                               ;   in Loop: Header=BB129_7 Depth=2
	v_mov_b32_e32 v20, v2
	v_mov_b32_e32 v21, v2
	v_mov_b32_e32 v22, v2
	v_mov_b32_e32 v23, v2
	ds_write_b128 v37, v[20:23] offset:256
; %bb.20:                               ;   in Loop: Header=BB129_7 Depth=2
	s_andn2_saveexec_b64 s[20:21], s[20:21]
; %bb.21:                               ;   in Loop: Header=BB129_7 Depth=2
	v_mov_b32_e32 v4, v2
	v_mov_b32_e32 v5, v2
	ds_write_b128 v37, v[2:5] offset:256
; %bb.22:                               ;   in Loop: Header=BB129_7 Depth=2
	s_or_b64 exec, exec, s[20:21]
.LBB129_23:                             ;   in Loop: Header=BB129_7 Depth=2
	s_or_b64 exec, exec, s[18:19]
	buffer_load_dword v0, off, s[52:55], 0 offset:20 ; 4-byte Folded Reload
	buffer_load_dword v1, off, s[52:55], 0 offset:24 ; 4-byte Folded Reload
	s_waitcnt vmcnt(0)
	v_cmp_eq_u64_e64 s[18:19], s[22:23], v[0:1]
	buffer_load_dword v0, off, s[52:55], 0 offset:12 ; 4-byte Folded Reload
	buffer_load_dword v1, off, s[52:55], 0 offset:16 ; 4-byte Folded Reload
	s_and_b64 s[18:19], s[34:35], s[18:19]
	s_waitcnt vmcnt(0)
	v_cmp_gt_i64_e64 s[20:21], v[8:9], v[0:1]
	s_or_b64 s[20:21], s[8:9], s[20:21]
	s_or_b64 s[20:21], s[20:21], s[18:19]
	s_nor_b64 s[12:13], s[12:13], s[20:21]
	s_and_saveexec_b64 s[20:21], s[12:13]
	s_xor_b64 s[12:13], exec, s[20:21]
	s_cbranch_execz .LBB129_25
; %bb.24:                               ;   in Loop: Header=BB129_7 Depth=2
	global_load_dwordx4 v[4:7], v[6:7], off offset:256
	s_waitcnt vmcnt(0)
	v_xor_b32_e32 v7, 0x80000000, v7
	ds_write_b128 v37, v[4:7] offset:8192
.LBB129_25:                             ;   in Loop: Header=BB129_7 Depth=2
	s_andn2_saveexec_b64 s[12:13], s[12:13]
	s_cbranch_execz .LBB129_31
; %bb.26:                               ;   in Loop: Header=BB129_7 Depth=2
	s_xor_b64 s[18:19], s[18:19], -1
	s_and_saveexec_b64 s[20:21], s[18:19]
	s_xor_b64 s[18:19], exec, s[20:21]
; %bb.27:                               ;   in Loop: Header=BB129_7 Depth=2
	v_mov_b32_e32 v4, v2
	v_mov_b32_e32 v5, v2
	;; [unrolled: 1-line block ×4, first 2 shown]
	ds_write_b128 v37, v[4:7] offset:8192
; %bb.28:                               ;   in Loop: Header=BB129_7 Depth=2
	s_andn2_saveexec_b64 s[18:19], s[18:19]
; %bb.29:                               ;   in Loop: Header=BB129_7 Depth=2
	v_mov_b32_e32 v4, v2
	v_mov_b32_e32 v5, v2
	ds_write_b128 v37, v[2:5] offset:8192
; %bb.30:                               ;   in Loop: Header=BB129_7 Depth=2
	s_or_b64 exec, exec, s[18:19]
.LBB129_31:                             ;   in Loop: Header=BB129_7 Depth=2
	s_or_b64 exec, exec, s[12:13]
	s_or_b64 s[10:11], s[8:9], s[10:11]
	s_or_b64 s[10:11], s[10:11], s[26:27]
	s_nor_b64 s[10:11], s[14:15], s[10:11]
	s_and_saveexec_b64 s[12:13], s[10:11]
	s_xor_b64 s[12:13], exec, s[12:13]
	s_cbranch_execz .LBB129_33
; %bb.32:                               ;   in Loop: Header=BB129_7 Depth=2
	v_add_co_u32_e64 v4, s[10:11], v51, v43
	v_addc_co_u32_e64 v5, s[10:11], v52, v44, s[10:11]
	global_load_dwordx4 v[4:7], v[4:5], off offset:256
	s_waitcnt vmcnt(0)
	v_xor_b32_e32 v7, 0x80000000, v7
	ds_write_b128 v37, v[4:7] offset:8448
.LBB129_33:                             ;   in Loop: Header=BB129_7 Depth=2
	s_andn2_saveexec_b64 s[10:11], s[12:13]
	s_cbranch_execz .LBB129_39
; %bb.34:                               ;   in Loop: Header=BB129_7 Depth=2
	s_and_saveexec_b64 s[12:13], s[24:25]
	s_xor_b64 s[12:13], exec, s[12:13]
; %bb.35:                               ;   in Loop: Header=BB129_7 Depth=2
	v_mov_b32_e32 v4, v2
	v_mov_b32_e32 v5, v2
	;; [unrolled: 1-line block ×4, first 2 shown]
	ds_write_b128 v37, v[4:7] offset:8448
; %bb.36:                               ;   in Loop: Header=BB129_7 Depth=2
	s_andn2_saveexec_b64 s[12:13], s[12:13]
; %bb.37:                               ;   in Loop: Header=BB129_7 Depth=2
	v_mov_b32_e32 v4, v2
	v_mov_b32_e32 v5, v2
	ds_write_b128 v37, v[2:5] offset:8448
; %bb.38:                               ;   in Loop: Header=BB129_7 Depth=2
	s_or_b64 exec, exec, s[12:13]
.LBB129_39:                             ;   in Loop: Header=BB129_7 Depth=2
	s_or_b64 exec, exec, s[10:11]
	buffer_load_dword v0, off, s[52:55], 0  ; 4-byte Folded Reload
	s_waitcnt vmcnt(0)
	v_add_co_u32_e64 v4, s[10:11], s22, v0
	v_mov_b32_e32 v0, s23
	v_addc_co_u32_e64 v5, s[10:11], 0, v0, s[10:11]
	buffer_load_dword v0, off, s[52:55], 0 offset:52 ; 4-byte Folded Reload
	buffer_load_dword v1, off, s[52:55], 0 offset:56 ; 4-byte Folded Reload
	s_waitcnt vmcnt(1)
	v_add_co_u32_e64 v6, s[10:11], v55, v0
	s_waitcnt vmcnt(0)
	v_addc_co_u32_e64 v7, s[10:11], v56, v1, s[10:11]
	v_cmp_le_i64_e64 s[10:11], s[46:47], v[4:5]
	s_nor_b64 s[12:13], s[10:11], vcc
	s_and_saveexec_b64 s[14:15], s[12:13]
	s_xor_b64 s[12:13], exec, s[14:15]
	s_cbranch_execz .LBB129_41
; %bb.40:                               ;   in Loop: Header=BB129_7 Depth=2
	global_load_dwordx4 v[8:11], v[6:7], off offset:-256
	s_waitcnt vmcnt(0)
	ds_write2_b64 v30, v[8:9], v[10:11] offset1:1
.LBB129_41:                             ;   in Loop: Header=BB129_7 Depth=2
	s_andn2_saveexec_b64 s[12:13], s[12:13]
; %bb.42:                               ;   in Loop: Header=BB129_7 Depth=2
	v_mov_b32_e32 v8, v2
	v_mov_b32_e32 v9, v2
	v_mov_b32_e32 v10, v2
	v_mov_b32_e32 v11, v2
	ds_write_b128 v30, v[8:11]
; %bb.43:                               ;   in Loop: Header=BB129_7 Depth=2
	s_or_b64 exec, exec, s[12:13]
	s_nor_b64 s[10:11], s[10:11], s[0:1]
	s_and_saveexec_b64 s[12:13], s[10:11]
	s_xor_b64 s[10:11], exec, s[12:13]
	s_cbranch_execz .LBB129_45
; %bb.44:                               ;   in Loop: Header=BB129_7 Depth=2
	global_load_dwordx4 v[6:9], v[6:7], off
	v_add_u32_e32 v0, 0x100, v30
	s_waitcnt vmcnt(0)
	ds_write2_b64 v0, v[6:7], v[8:9] offset1:1
.LBB129_45:                             ;   in Loop: Header=BB129_7 Depth=2
	s_andn2_saveexec_b64 s[10:11], s[10:11]
; %bb.46:                               ;   in Loop: Header=BB129_7 Depth=2
	v_mov_b32_e32 v6, v2
	v_mov_b32_e32 v7, v2
	v_mov_b32_e32 v8, v2
	v_mov_b32_e32 v9, v2
	ds_write_b128 v30, v[6:9] offset:256
; %bb.47:                               ;   in Loop: Header=BB129_7 Depth=2
	s_or_b64 exec, exec, s[10:11]
	buffer_load_dword v0, off, s[52:55], 0 offset:40 ; 4-byte Folded Reload
	buffer_load_dword v1, off, s[52:55], 0 offset:44 ; 4-byte Folded Reload
	v_cmp_le_i64_e64 s[10:11], s[42:43], v[4:5]
	s_waitcnt vmcnt(1)
	v_add_co_u32_e64 v4, s[12:13], v55, v0
	buffer_load_dword v0, off, s[52:55], 0 offset:48 ; 4-byte Folded Reload
	s_waitcnt vmcnt(0)
	v_addc_co_u32_e64 v5, s[12:13], v56, v0, s[12:13]
	s_nor_b64 s[12:13], s[10:11], vcc
	s_and_saveexec_b64 s[14:15], s[12:13]
	s_xor_b64 s[12:13], exec, s[14:15]
	s_cbranch_execz .LBB129_49
; %bb.48:                               ;   in Loop: Header=BB129_7 Depth=2
	global_load_dwordx4 v[6:9], v[4:5], off offset:-256
	v_add_u32_e32 v0, 0x2000, v30
	s_waitcnt vmcnt(0)
	ds_write2_b64 v0, v[6:7], v[8:9] offset1:1
.LBB129_49:                             ;   in Loop: Header=BB129_7 Depth=2
	s_andn2_saveexec_b64 s[12:13], s[12:13]
; %bb.50:                               ;   in Loop: Header=BB129_7 Depth=2
	v_mov_b32_e32 v6, v2
	v_mov_b32_e32 v7, v2
	v_mov_b32_e32 v8, v2
	v_mov_b32_e32 v9, v2
	ds_write_b128 v30, v[6:9] offset:8192
; %bb.51:                               ;   in Loop: Header=BB129_7 Depth=2
	s_or_b64 exec, exec, s[12:13]
	s_nor_b64 s[10:11], s[10:11], s[0:1]
	s_and_saveexec_b64 s[12:13], s[10:11]
	s_xor_b64 s[10:11], exec, s[12:13]
	s_cbranch_execz .LBB129_53
; %bb.52:                               ;   in Loop: Header=BB129_7 Depth=2
	global_load_dwordx4 v[4:7], v[4:5], off
	v_add_u32_e32 v0, 0x2100, v30
	s_waitcnt vmcnt(0)
	ds_write2_b64 v0, v[4:5], v[6:7] offset1:1
.LBB129_53:                             ;   in Loop: Header=BB129_7 Depth=2
	s_andn2_saveexec_b64 s[10:11], s[10:11]
	s_cbranch_execz .LBB129_6
; %bb.54:                               ;   in Loop: Header=BB129_7 Depth=2
	v_mov_b32_e32 v4, v2
	v_mov_b32_e32 v5, v2
	;; [unrolled: 1-line block ×4, first 2 shown]
	ds_write_b128 v30, v[4:7] offset:8448
	s_branch .LBB129_6
.LBB129_55:                             ;   in Loop: Header=BB129_4 Depth=1
	v_mul_lo_u32 v4, s41, v39
	v_mul_lo_u32 v5, s40, v40
	v_mad_u64_u32 v[0:1], s[8:9], s40, v39, 0
	v_cmp_gt_i32_e64 s[8:9], s46, v39
	v_add3_u32 v1, v1, v5, v4
	v_lshlrev_b64 v[0:1], 4, v[0:1]
	v_mov_b32_e32 v5, s49
	v_add_co_u32_e64 v4, s[10:11], s48, v0
	v_addc_co_u32_e64 v5, s[10:11], v5, v1, s[10:11]
	s_and_b64 s[10:11], s[2:3], s[8:9]
	s_and_saveexec_b64 s[12:13], s[10:11]
	s_cbranch_execz .LBB129_57
; %bb.56:                               ;   in Loop: Header=BB129_4 Depth=1
	buffer_load_dword v0, off, s[52:55], 0 offset:68 ; 4-byte Folded Reload
	buffer_load_dword v1, off, s[52:55], 0 offset:72 ; 4-byte Folded Reload
	v_mul_f64 v[10:11], s[30:31], v[59:60]
	v_mul_f64 v[20:21], s[28:29], v[59:60]
	v_fma_f64 v[10:11], s[28:29], v[57:58], -v[10:11]
	v_fma_f64 v[20:21], s[30:31], v[57:58], v[20:21]
	s_waitcnt vmcnt(1)
	v_add_co_u32_e64 v0, s[10:11], v4, v0
	s_waitcnt vmcnt(0)
	v_addc_co_u32_e64 v1, s[10:11], v5, v1, s[10:11]
	global_load_dwordx4 v[6:9], v[0:1], off
	s_waitcnt vmcnt(0)
	v_add_f64 v[6:7], v[6:7], v[10:11]
	v_add_f64 v[8:9], v[20:21], v[8:9]
	global_store_dwordx4 v[0:1], v[6:9], off
.LBB129_57:                             ;   in Loop: Header=BB129_4 Depth=1
	s_or_b64 exec, exec, s[12:13]
	s_and_b64 s[8:9], s[4:5], s[8:9]
	s_mov_b64 s[10:11], exec
	buffer_load_dword v20, off, s[52:55], 0 offset:60 ; 4-byte Folded Reload
	buffer_load_dword v21, off, s[52:55], 0 offset:64 ; 4-byte Folded Reload
	s_and_b64 s[8:9], s[10:11], s[8:9]
	s_mov_b64 exec, s[8:9]
	s_cbranch_execz .LBB129_59
; %bb.58:                               ;   in Loop: Header=BB129_4 Depth=1
	buffer_load_dword v0, off, s[52:55], 0 offset:76 ; 4-byte Folded Reload
	buffer_load_dword v1, off, s[52:55], 0 offset:80 ; 4-byte Folded Reload
	v_mul_f64 v[8:9], s[30:31], v[18:19]
	v_mul_f64 v[10:11], s[28:29], v[18:19]
	v_fma_f64 v[8:9], s[28:29], v[16:17], -v[8:9]
	v_fma_f64 v[10:11], s[30:31], v[16:17], v[10:11]
	s_waitcnt vmcnt(1)
	v_add_co_u32_e64 v0, s[8:9], v4, v0
	s_waitcnt vmcnt(0)
	v_addc_co_u32_e64 v1, s[8:9], v5, v1, s[8:9]
	global_load_dwordx4 v[4:7], v[0:1], off
	s_waitcnt vmcnt(0)
	v_add_f64 v[4:5], v[4:5], v[8:9]
	v_add_f64 v[6:7], v[10:11], v[6:7]
	global_store_dwordx4 v[0:1], v[4:7], off
.LBB129_59:                             ;   in Loop: Header=BB129_4 Depth=1
	s_or_b64 exec, exec, s[10:11]
	v_add_u32_e32 v4, 16, v39
	v_ashrrev_i32_e32 v0, 31, v4
	v_mul_lo_u32 v5, s40, v0
	v_mul_lo_u32 v6, s41, v4
	v_mad_u64_u32 v[0:1], s[8:9], s40, v4, 0
	v_cmp_gt_i32_e64 s[8:9], s46, v4
	v_add3_u32 v1, v1, v5, v6
	v_lshlrev_b64 v[0:1], 4, v[0:1]
	v_mov_b32_e32 v5, s49
	v_add_co_u32_e64 v4, s[10:11], s48, v0
	v_addc_co_u32_e64 v5, s[10:11], v5, v1, s[10:11]
	s_and_b64 s[10:11], s[2:3], s[8:9]
	s_and_saveexec_b64 s[12:13], s[10:11]
	s_cbranch_execz .LBB129_61
; %bb.60:                               ;   in Loop: Header=BB129_4 Depth=1
	buffer_load_dword v0, off, s[52:55], 0 offset:68 ; 4-byte Folded Reload
	buffer_load_dword v1, off, s[52:55], 0 offset:72 ; 4-byte Folded Reload
	v_mul_f64 v[10:11], s[30:31], v[24:25]
	v_mul_f64 v[16:17], s[28:29], v[24:25]
	v_fma_f64 v[10:11], s[28:29], v[61:62], -v[10:11]
	v_fma_f64 v[16:17], s[30:31], v[61:62], v[16:17]
	s_waitcnt vmcnt(1)
	v_add_co_u32_e64 v0, s[10:11], v4, v0
	s_waitcnt vmcnt(0)
	v_addc_co_u32_e64 v1, s[10:11], v5, v1, s[10:11]
	global_load_dwordx4 v[6:9], v[0:1], off
	s_waitcnt vmcnt(0)
	v_add_f64 v[6:7], v[6:7], v[10:11]
	v_add_f64 v[8:9], v[16:17], v[8:9]
	global_store_dwordx4 v[0:1], v[6:9], off
.LBB129_61:                             ;   in Loop: Header=BB129_4 Depth=1
	s_or_b64 exec, exec, s[12:13]
	s_and_b64 s[8:9], s[4:5], s[8:9]
	s_and_saveexec_b64 s[10:11], s[8:9]
	s_cbranch_execz .LBB129_3
; %bb.62:                               ;   in Loop: Header=BB129_4 Depth=1
	buffer_load_dword v0, off, s[52:55], 0 offset:76 ; 4-byte Folded Reload
	buffer_load_dword v1, off, s[52:55], 0 offset:80 ; 4-byte Folded Reload
	v_mul_f64 v[8:9], s[30:31], v[12:13]
	v_mul_f64 v[10:11], s[28:29], v[12:13]
	v_fma_f64 v[8:9], s[28:29], v[14:15], -v[8:9]
	v_fma_f64 v[10:11], s[30:31], v[14:15], v[10:11]
	s_waitcnt vmcnt(1)
	v_add_co_u32_e64 v0, s[8:9], v4, v0
	s_waitcnt vmcnt(0)
	v_addc_co_u32_e64 v1, s[8:9], v5, v1, s[8:9]
	global_load_dwordx4 v[4:7], v[0:1], off
	s_waitcnt vmcnt(0)
	v_add_f64 v[4:5], v[4:5], v[8:9]
	v_add_f64 v[6:7], v[10:11], v[6:7]
	global_store_dwordx4 v[0:1], v[4:7], off
	s_branch .LBB129_3
.LBB129_63:
	s_endpgm
	.section	.rodata,"a",@progbits
	.p2align	6, 0x0
	.amdhsa_kernel _ZL30rocblas_trmm_outofplace_kernelI19rocblas_complex_numIdELi32ELi2ELb0ELb0ELb1ELb1ES1_KS1_S1_Ev17rocblas_diagonal_iiT6_lPT7_lllS6_lllPT8_llli
		.amdhsa_group_segment_fixed_size 32768
		.amdhsa_private_segment_fixed_size 120
		.amdhsa_kernarg_size 400
		.amdhsa_user_sgpr_count 6
		.amdhsa_user_sgpr_private_segment_buffer 1
		.amdhsa_user_sgpr_dispatch_ptr 0
		.amdhsa_user_sgpr_queue_ptr 0
		.amdhsa_user_sgpr_kernarg_segment_ptr 1
		.amdhsa_user_sgpr_dispatch_id 0
		.amdhsa_user_sgpr_flat_scratch_init 0
		.amdhsa_user_sgpr_private_segment_size 0
		.amdhsa_uses_dynamic_stack 0
		.amdhsa_system_sgpr_private_segment_wavefront_offset 1
		.amdhsa_system_sgpr_workgroup_id_x 1
		.amdhsa_system_sgpr_workgroup_id_y 1
		.amdhsa_system_sgpr_workgroup_id_z 1
		.amdhsa_system_sgpr_workgroup_info 0
		.amdhsa_system_vgpr_workitem_id 1
		.amdhsa_next_free_vgpr 64
		.amdhsa_next_free_sgpr 61
		.amdhsa_reserve_vcc 1
		.amdhsa_reserve_flat_scratch 0
		.amdhsa_float_round_mode_32 0
		.amdhsa_float_round_mode_16_64 0
		.amdhsa_float_denorm_mode_32 3
		.amdhsa_float_denorm_mode_16_64 3
		.amdhsa_dx10_clamp 1
		.amdhsa_ieee_mode 1
		.amdhsa_fp16_overflow 0
		.amdhsa_exception_fp_ieee_invalid_op 0
		.amdhsa_exception_fp_denorm_src 0
		.amdhsa_exception_fp_ieee_div_zero 0
		.amdhsa_exception_fp_ieee_overflow 0
		.amdhsa_exception_fp_ieee_underflow 0
		.amdhsa_exception_fp_ieee_inexact 0
		.amdhsa_exception_int_div_zero 0
	.end_amdhsa_kernel
	.section	.text._ZL30rocblas_trmm_outofplace_kernelI19rocblas_complex_numIdELi32ELi2ELb0ELb0ELb1ELb1ES1_KS1_S1_Ev17rocblas_diagonal_iiT6_lPT7_lllS6_lllPT8_llli,"axG",@progbits,_ZL30rocblas_trmm_outofplace_kernelI19rocblas_complex_numIdELi32ELi2ELb0ELb0ELb1ELb1ES1_KS1_S1_Ev17rocblas_diagonal_iiT6_lPT7_lllS6_lllPT8_llli,comdat
.Lfunc_end129:
	.size	_ZL30rocblas_trmm_outofplace_kernelI19rocblas_complex_numIdELi32ELi2ELb0ELb0ELb1ELb1ES1_KS1_S1_Ev17rocblas_diagonal_iiT6_lPT7_lllS6_lllPT8_llli, .Lfunc_end129-_ZL30rocblas_trmm_outofplace_kernelI19rocblas_complex_numIdELi32ELi2ELb0ELb0ELb1ELb1ES1_KS1_S1_Ev17rocblas_diagonal_iiT6_lPT7_lllS6_lllPT8_llli
                                        ; -- End function
	.set _ZL30rocblas_trmm_outofplace_kernelI19rocblas_complex_numIdELi32ELi2ELb0ELb0ELb1ELb1ES1_KS1_S1_Ev17rocblas_diagonal_iiT6_lPT7_lllS6_lllPT8_llli.num_vgpr, 64
	.set _ZL30rocblas_trmm_outofplace_kernelI19rocblas_complex_numIdELi32ELi2ELb0ELb0ELb1ELb1ES1_KS1_S1_Ev17rocblas_diagonal_iiT6_lPT7_lllS6_lllPT8_llli.num_agpr, 0
	.set _ZL30rocblas_trmm_outofplace_kernelI19rocblas_complex_numIdELi32ELi2ELb0ELb0ELb1ELb1ES1_KS1_S1_Ev17rocblas_diagonal_iiT6_lPT7_lllS6_lllPT8_llli.numbered_sgpr, 56
	.set _ZL30rocblas_trmm_outofplace_kernelI19rocblas_complex_numIdELi32ELi2ELb0ELb0ELb1ELb1ES1_KS1_S1_Ev17rocblas_diagonal_iiT6_lPT7_lllS6_lllPT8_llli.num_named_barrier, 0
	.set _ZL30rocblas_trmm_outofplace_kernelI19rocblas_complex_numIdELi32ELi2ELb0ELb0ELb1ELb1ES1_KS1_S1_Ev17rocblas_diagonal_iiT6_lPT7_lllS6_lllPT8_llli.private_seg_size, 120
	.set _ZL30rocblas_trmm_outofplace_kernelI19rocblas_complex_numIdELi32ELi2ELb0ELb0ELb1ELb1ES1_KS1_S1_Ev17rocblas_diagonal_iiT6_lPT7_lllS6_lllPT8_llli.uses_vcc, 1
	.set _ZL30rocblas_trmm_outofplace_kernelI19rocblas_complex_numIdELi32ELi2ELb0ELb0ELb1ELb1ES1_KS1_S1_Ev17rocblas_diagonal_iiT6_lPT7_lllS6_lllPT8_llli.uses_flat_scratch, 0
	.set _ZL30rocblas_trmm_outofplace_kernelI19rocblas_complex_numIdELi32ELi2ELb0ELb0ELb1ELb1ES1_KS1_S1_Ev17rocblas_diagonal_iiT6_lPT7_lllS6_lllPT8_llli.has_dyn_sized_stack, 0
	.set _ZL30rocblas_trmm_outofplace_kernelI19rocblas_complex_numIdELi32ELi2ELb0ELb0ELb1ELb1ES1_KS1_S1_Ev17rocblas_diagonal_iiT6_lPT7_lllS6_lllPT8_llli.has_recursion, 0
	.set _ZL30rocblas_trmm_outofplace_kernelI19rocblas_complex_numIdELi32ELi2ELb0ELb0ELb1ELb1ES1_KS1_S1_Ev17rocblas_diagonal_iiT6_lPT7_lllS6_lllPT8_llli.has_indirect_call, 0
	.section	.AMDGPU.csdata,"",@progbits
; Kernel info:
; codeLenInByte = 10820
; TotalNumSgprs: 60
; NumVgprs: 64
; ScratchSize: 120
; MemoryBound: 0
; FloatMode: 240
; IeeeMode: 1
; LDSByteSize: 32768 bytes/workgroup (compile time only)
; SGPRBlocks: 8
; VGPRBlocks: 15
; NumSGPRsForWavesPerEU: 65
; NumVGPRsForWavesPerEU: 64
; Occupancy: 4
; WaveLimiterHint : 0
; COMPUTE_PGM_RSRC2:SCRATCH_EN: 1
; COMPUTE_PGM_RSRC2:USER_SGPR: 6
; COMPUTE_PGM_RSRC2:TRAP_HANDLER: 0
; COMPUTE_PGM_RSRC2:TGID_X_EN: 1
; COMPUTE_PGM_RSRC2:TGID_Y_EN: 1
; COMPUTE_PGM_RSRC2:TGID_Z_EN: 1
; COMPUTE_PGM_RSRC2:TIDIG_COMP_CNT: 1
	.section	.text._ZL30rocblas_trmm_outofplace_kernelI19rocblas_complex_numIdELi32ELi2ELb0ELb1ELb1ELb1EPKS1_S2_S1_Ev17rocblas_diagonal_iiT6_lPT7_lllS7_lllPT8_llli,"axG",@progbits,_ZL30rocblas_trmm_outofplace_kernelI19rocblas_complex_numIdELi32ELi2ELb0ELb1ELb1ELb1EPKS1_S2_S1_Ev17rocblas_diagonal_iiT6_lPT7_lllS7_lllPT8_llli,comdat
	.globl	_ZL30rocblas_trmm_outofplace_kernelI19rocblas_complex_numIdELi32ELi2ELb0ELb1ELb1ELb1EPKS1_S2_S1_Ev17rocblas_diagonal_iiT6_lPT7_lllS7_lllPT8_llli ; -- Begin function _ZL30rocblas_trmm_outofplace_kernelI19rocblas_complex_numIdELi32ELi2ELb0ELb1ELb1ELb1EPKS1_S2_S1_Ev17rocblas_diagonal_iiT6_lPT7_lllS7_lllPT8_llli
	.p2align	8
	.type	_ZL30rocblas_trmm_outofplace_kernelI19rocblas_complex_numIdELi32ELi2ELb0ELb1ELb1ELb1EPKS1_S2_S1_Ev17rocblas_diagonal_iiT6_lPT7_lllS7_lllPT8_llli,@function
_ZL30rocblas_trmm_outofplace_kernelI19rocblas_complex_numIdELi32ELi2ELb0ELb1ELb1ELb1EPKS1_S2_S1_Ev17rocblas_diagonal_iiT6_lPT7_lllS7_lllPT8_llli: ; @_ZL30rocblas_trmm_outofplace_kernelI19rocblas_complex_numIdELi32ELi2ELb0ELb1ELb1ELb1EPKS1_S2_S1_Ev17rocblas_diagonal_iiT6_lPT7_lllS7_lllPT8_llli
; %bb.0:
	s_load_dwordx16 s[16:31], s[4:5], 0x10
	s_mov_b64 s[66:67], s[2:3]
	s_mov_b64 s[64:65], s[0:1]
	s_add_u32 s64, s64, s9
	s_addc_u32 s65, s65, 0
	s_waitcnt lgkmcnt(0)
	s_mul_i32 s0, s19, s8
	s_mul_hi_u32 s1, s18, s8
	s_add_i32 s1, s1, s0
	s_mul_i32 s0, s18, s8
	s_lshl_b64 s[0:1], s[0:1], 4
	s_add_u32 s0, s16, s0
	s_addc_u32 s1, s17, s1
	s_load_dwordx4 s[44:47], s[0:1], 0x0
	buffer_store_dword v1, off, s[64:67], 0 offset:48 ; 4-byte Folded Spill
	s_waitcnt lgkmcnt(0)
	v_cmp_eq_f64_e64 s[0:1], s[44:45], 0
	v_cmp_eq_f64_e64 s[2:3], s[46:47], 0
	s_and_b64 s[0:1], s[0:1], s[2:3]
	s_and_b64 vcc, exec, s[0:1]
	s_cbranch_vccnz .LBB130_64
; %bb.1:
	s_load_dwordx4 s[48:51], s[4:5], 0x0
	s_waitcnt lgkmcnt(0)
	s_add_i32 s0, s50, -1
	s_ashr_i32 s1, s0, 31
	s_lshr_b32 s1, s1, 27
	s_add_i32 s0, s0, s1
	s_ashr_i32 s33, s0, 5
	s_cmp_gt_i32 s7, s33
	s_cbranch_scc1 .LBB130_64
; %bb.2:
	s_load_dwordx8 s[36:43], s[4:5], 0x50
	s_load_dwordx4 s[52:55], s[4:5], 0x70
	v_lshl_add_u32 v2, s6, 5, v0
	v_ashrrev_i32_e32 v3, 31, v2
	v_lshlrev_b64 v[4:5], 4, v[2:3]
	s_waitcnt lgkmcnt(0)
	s_mul_i32 s1, s39, s8
	s_mul_hi_u32 s2, s38, s8
	s_mul_i32 s0, s38, s8
	s_add_i32 s1, s2, s1
	s_lshl_b64 s[0:1], s[0:1], 4
	s_add_u32 s2, s28, s0
	s_addc_u32 s3, s29, s1
	s_lshl_b64 s[0:1], s[30:31], 4
	s_add_u32 s2, s2, s0
	s_load_dword s58, s[4:5], 0x8c
	v_add_co_u32_e32 v6, vcc, s2, v4
	buffer_store_dword v4, off, s[64:67], 0 offset:52 ; 4-byte Folded Spill
	s_nop 0
	buffer_store_dword v5, off, s[64:67], 0 offset:56 ; 4-byte Folded Spill
	s_addc_u32 s3, s3, s1
	v_mov_b32_e32 v1, s3
	s_mul_i32 s0, s55, s8
	s_mul_hi_u32 s1, s54, s8
	s_add_i32 s1, s1, s0
	s_mul_i32 s0, s54, s8
	s_lshl_b64 s[0:1], s[0:1], 4
	s_add_u32 s4, s40, s0
	s_addc_u32 s5, s41, s1
	s_lshl_b64 s[0:1], s[42:43], 4
	s_add_u32 s59, s4, s0
	s_addc_u32 s60, s5, s1
	s_cmpk_eq_i32 s48, 0x84
	s_cselect_b64 s[28:29], -1, 0
	s_ashr_i32 s51, s50, 31
	s_ashr_i32 s0, s49, 31
	s_lshl_b64 s[30:31], s[24:25], 9
	s_lshl_b64 s[34:35], s[36:37], 9
	s_add_u32 s38, s50, -16
	s_addc_u32 s39, s51, -1
	s_lshl_b32 s9, s7, 5
	v_add_u32_e32 v30, s9, v0
	s_mul_hi_u32 s10, s26, s8
	s_waitcnt lgkmcnt(0)
	s_lshl_b32 s61, s58, 5
	s_lshl_b64 s[40:41], s[36:37], 4
	v_cmp_gt_i32_e64 s[4:5], s49, v2
	s_movk_i32 s6, 0x100
	v_addc_co_u32_e32 v7, vcc, v1, v5, vcc
	buffer_store_dword v6, off, s[64:67], 0 offset:68 ; 4-byte Folded Spill
	s_nop 0
	buffer_store_dword v7, off, s[64:67], 0 offset:72 ; 4-byte Folded Spill
	buffer_load_dword v7, off, s[64:67], 0 offset:48 ; 4-byte Folded Reload
	v_mov_b32_e32 v5, s0
	v_sub_co_u32_e32 v4, vcc, s49, v2
	v_add_u32_e32 v2, 16, v2
	v_subb_co_u32_e32 v5, vcc, v5, v3, vcc
	v_ashrrev_i32_e32 v3, 31, v2
	v_lshlrev_b32_e32 v6, 4, v0
	v_cmp_gt_i64_e64 s[0:1], 1, v[4:5]
	v_cmp_gt_i64_e64 s[2:3], 17, v[4:5]
	v_cmp_gt_i32_e64 s[16:17], s49, v2
	buffer_store_dword v2, off, s[64:67], 0 offset:60 ; 4-byte Folded Spill
	s_nop 0
	buffer_store_dword v3, off, s[64:67], 0 offset:64 ; 4-byte Folded Spill
	v_or_b32_e32 v55, 0x4000, v6
	v_mov_b32_e32 v2, 0
	v_mov_b32_e32 v3, 0x3ff00000
	s_waitcnt vmcnt(2)
	v_add_u32_e32 v32, s9, v7
	s_mul_i32 s9, s27, s8
	s_add_i32 s9, s10, s9
	s_mul_i32 s8, s26, s8
	s_lshl_b64 s[8:9], s[8:9], 4
	s_lshl_b64 s[10:11], s[22:23], 4
	s_add_u32 s8, s8, s10
	s_addc_u32 s9, s9, s11
	v_lshlrev_b32_e32 v1, 9, v7
	s_add_u32 s22, s20, s8
	v_add_u32_e32 v54, v1, v6
	s_addc_u32 s23, s21, s9
	s_lshl_b64 s[26:27], s[24:25], 4
	s_branch .LBB130_4
.LBB130_3:                              ;   in Loop: Header=BB130_4 Depth=1
	s_or_b64 exec, exec, s[8:9]
	s_add_i32 s7, s58, s7
	v_add_u32_e32 v30, s61, v30
	s_cmp_le_i32 s7, s33
	v_add_u32_e32 v32, s61, v32
	s_cbranch_scc0 .LBB130_64
.LBB130_4:                              ; =>This Loop Header: Depth=1
                                        ;     Child Loop BB130_7 Depth 2
	buffer_load_dword v0, off, s[64:67], 0 offset:48 ; 4-byte Folded Reload
	s_lshl_b32 s8, s7, 5
	s_sub_i32 s62, s50, s8
	v_ashrrev_i32_e32 v31, 31, v30
	v_ashrrev_i32_e32 v33, 31, v32
	s_cmp_lt_i32 s62, 1
	s_waitcnt vmcnt(0)
	v_add_u32_e32 v36, s8, v0
	v_ashrrev_i32_e32 v37, 31, v36
	s_cbranch_scc1 .LBB130_55
; %bb.5:                                ;   in Loop: Header=BB130_4 Depth=1
	v_sub_co_u32_e32 v14, vcc, v32, v30
	v_lshlrev_b64 v[4:5], 4, v[32:33]
	v_subb_co_u32_e32 v15, vcc, v33, v31, vcc
	v_mov_b32_e32 v6, 0x100
	v_mov_b32_e32 v7, 0
	v_add_co_u32_e32 v4, vcc, 0x100, v4
	v_mad_u64_u32 v[16:17], s[8:9], s40, v32, v[6:7]
	v_addc_co_u32_e32 v5, vcc, 0, v5, vcc
	v_mad_u64_u32 v[18:19], s[8:9], s36, v4, v[6:7]
	v_lshlrev_b64 v[6:7], 4, v[30:31]
	v_mul_lo_u32 v0, s40, v33
	v_mul_lo_u32 v8, s41, v32
	;; [unrolled: 1-line block ×4, first 2 shown]
	v_mov_b32_e32 v4, s22
	v_mov_b32_e32 v5, s23
	v_add_co_u32_e32 v6, vcc, s6, v6
	v_mad_u64_u32 v[46:47], s[8:9], s26, v30, v[4:5]
	v_mad_u64_u32 v[48:49], s[8:9], s24, v6, v[4:5]
	v_add_co_u32_e64 v4, s[8:9], 16, v36
	v_add3_u32 v17, v8, v17, v0
	v_add3_u32 v19, v10, v19, v9
	v_addc_co_u32_e64 v5, s[8:9], 0, v37, s[8:9]
	buffer_store_dword v16, off, s[64:67], 0 offset:8 ; 4-byte Folded Spill
	s_nop 0
	buffer_store_dword v17, off, s[64:67], 0 offset:12 ; 4-byte Folded Spill
	buffer_store_dword v18, off, s[64:67], 0 offset:16 ; 4-byte Folded Spill
	s_nop 0
	buffer_store_dword v19, off, s[64:67], 0 offset:20 ; 4-byte Folded Spill
	;; [unrolled: 3-line block ×3, first 2 shown]
	v_addc_co_u32_e32 v7, vcc, 0, v7, vcc
	v_mul_lo_u32 v11, s26, v31
	v_mul_lo_u32 v12, s27, v30
	;; [unrolled: 1-line block ×4, first 2 shown]
	v_mov_b32_e32 v34, 0
	v_add3_u32 v47, v12, v47, v11
	v_mov_b32_e32 v62, 0
	v_add3_u32 v49, v13, v49, v7
	v_mov_b32_e32 v12, 0
	v_mov_b32_e32 v18, 0
	;; [unrolled: 1-line block ×5, first 2 shown]
	v_cmp_le_i32_e32 vcc, s50, v36
	v_mov_b32_e32 v13, 0
	s_mov_b64 s[42:43], 0
	v_mov_b32_e32 v35, 0
	v_mov_b32_e32 v63, 0
	;; [unrolled: 1-line block ×6, first 2 shown]
	v_cmp_le_i64_e64 s[8:9], s[50:51], v[4:5]
	v_add_co_u32_e64 v4, s[10:11], 16, v14
	v_addc_co_u32_e64 v5, s[10:11], 0, v15, s[10:11]
	buffer_store_dword v4, off, s[64:67], 0 offset:32 ; 4-byte Folded Spill
	s_nop 0
	buffer_store_dword v5, off, s[64:67], 0 offset:36 ; 4-byte Folded Spill
	v_add_co_u32_e64 v4, s[10:11], -16, v14
	buffer_store_dword v14, off, s[64:67], 0 ; 4-byte Folded Spill
	s_nop 0
	buffer_store_dword v15, off, s[64:67], 0 offset:4 ; 4-byte Folded Spill
	v_addc_co_u32_e64 v5, s[10:11], -1, v15, s[10:11]
	buffer_store_dword v4, off, s[64:67], 0 offset:40 ; 4-byte Folded Spill
	s_nop 0
	buffer_store_dword v5, off, s[64:67], 0 offset:44 ; 4-byte Folded Spill
	buffer_load_dword v56, off, s[64:67], 0 offset:68 ; 4-byte Folded Reload
	buffer_load_dword v57, off, s[64:67], 0 offset:72 ; 4-byte Folded Reload
	v_mov_b32_e32 v14, 0
	v_mov_b32_e32 v15, 0
	s_branch .LBB130_7
.LBB130_6:                              ;   in Loop: Header=BB130_7 Depth=2
	s_or_b64 exec, exec, s[10:11]
	s_waitcnt lgkmcnt(0)
	s_barrier
	ds_read_b128 v[24:27], v1
	ds_read_b128 v[20:23], v1 offset:16
	ds_read_b128 v[8:11], v1 offset:32
	;; [unrolled: 1-line block ×3, first 2 shown]
	ds_read_b128 v[50:53], v55
	v_add_co_u32_e64 v56, s[10:11], s34, v56
	v_mov_b32_e32 v0, s35
	v_addc_co_u32_e64 v57, s[10:11], v57, v0, s[10:11]
	s_waitcnt lgkmcnt(0)
	v_mul_f64 v[28:29], v[26:27], v[52:53]
	v_mul_f64 v[38:39], v[24:25], v[52:53]
	v_add_co_u32_e64 v46, s[10:11], s30, v46
	v_mov_b32_e32 v0, s31
	s_add_u32 s42, s42, 32
	v_addc_co_u32_e64 v47, s[10:11], v47, v0, s[10:11]
	v_fma_f64 v[28:29], v[24:25], v[50:51], -v[28:29]
	v_fma_f64 v[38:39], v[26:27], v[50:51], v[38:39]
	s_addc_u32 s43, s43, 0
	v_add_co_u32_e64 v48, s[10:11], s30, v48
	v_addc_co_u32_e64 v49, s[10:11], v49, v0, s[10:11]
	s_cmp_ge_i32 s42, s62
	v_add_f64 v[42:43], v[58:59], v[28:29]
	v_add_f64 v[38:39], v[38:39], v[60:61]
	ds_read_b128 v[58:61], v55 offset:256
	s_waitcnt lgkmcnt(0)
	v_mul_f64 v[28:29], v[26:27], v[60:61]
	v_fma_f64 v[28:29], v[24:25], v[58:59], -v[28:29]
	v_mul_f64 v[24:25], v[24:25], v[60:61]
	v_add_f64 v[40:41], v[16:17], v[28:29]
	v_fma_f64 v[24:25], v[26:27], v[58:59], v[24:25]
	v_add_f64 v[44:45], v[24:25], v[18:19]
	ds_read_b128 v[16:19], v1 offset:8192
	s_waitcnt lgkmcnt(0)
	v_mul_f64 v[26:27], v[16:17], v[52:53]
	v_mul_f64 v[24:25], v[18:19], v[52:53]
	v_fma_f64 v[26:27], v[18:19], v[50:51], v[26:27]
	v_fma_f64 v[24:25], v[16:17], v[50:51], -v[24:25]
	v_add_f64 v[52:53], v[26:27], v[34:35]
	v_mul_f64 v[26:27], v[18:19], v[60:61]
	v_add_f64 v[24:25], v[62:63], v[24:25]
	v_fma_f64 v[26:27], v[16:17], v[58:59], -v[26:27]
	v_mul_f64 v[16:17], v[16:17], v[60:61]
	v_add_f64 v[26:27], v[14:15], v[26:27]
	v_fma_f64 v[16:17], v[18:19], v[58:59], v[16:17]
	v_add_f64 v[28:29], v[16:17], v[12:13]
	ds_read_b128 v[16:19], v55 offset:512
	s_waitcnt lgkmcnt(0)
	v_mul_f64 v[12:13], v[22:23], v[18:19]
	v_mul_f64 v[14:15], v[20:21], v[18:19]
	v_fma_f64 v[12:13], v[20:21], v[16:17], -v[12:13]
	v_fma_f64 v[14:15], v[22:23], v[16:17], v[14:15]
	v_add_f64 v[60:61], v[42:43], v[12:13]
	v_add_f64 v[62:63], v[14:15], v[38:39]
	ds_read_b128 v[12:15], v55 offset:768
	s_waitcnt lgkmcnt(0)
	v_mul_f64 v[34:35], v[22:23], v[14:15]
	v_fma_f64 v[34:35], v[20:21], v[12:13], -v[34:35]
	v_mul_f64 v[20:21], v[20:21], v[14:15]
	v_add_f64 v[34:35], v[40:41], v[34:35]
	v_fma_f64 v[20:21], v[22:23], v[12:13], v[20:21]
	v_add_f64 v[58:59], v[20:21], v[44:45]
	ds_read_b128 v[20:23], v1 offset:8208
	s_waitcnt lgkmcnt(0)
	v_mul_f64 v[38:39], v[22:23], v[18:19]
	v_mul_f64 v[18:19], v[20:21], v[18:19]
	v_fma_f64 v[38:39], v[20:21], v[16:17], -v[38:39]
	v_fma_f64 v[18:19], v[22:23], v[16:17], v[18:19]
	v_add_f64 v[16:17], v[24:25], v[38:39]
	v_mul_f64 v[24:25], v[22:23], v[14:15]
	v_mul_f64 v[14:15], v[20:21], v[14:15]
	v_add_f64 v[18:19], v[18:19], v[52:53]
	ds_read_b128 v[50:53], v1 offset:8240
	v_fma_f64 v[24:25], v[20:21], v[12:13], -v[24:25]
	v_fma_f64 v[14:15], v[22:23], v[12:13], v[14:15]
	ds_read_b128 v[20:23], v55 offset:1024
	v_add_f64 v[12:13], v[26:27], v[24:25]
	s_waitcnt lgkmcnt(0)
	v_mul_f64 v[24:25], v[10:11], v[22:23]
	v_mul_f64 v[26:27], v[8:9], v[22:23]
	v_add_f64 v[14:15], v[14:15], v[28:29]
	v_fma_f64 v[24:25], v[8:9], v[20:21], -v[24:25]
	v_fma_f64 v[26:27], v[10:11], v[20:21], v[26:27]
	v_add_f64 v[28:29], v[60:61], v[24:25]
	v_add_f64 v[38:39], v[26:27], v[62:63]
	ds_read_b128 v[24:27], v55 offset:1280
	s_waitcnt lgkmcnt(0)
	v_mul_f64 v[40:41], v[10:11], v[26:27]
	v_fma_f64 v[40:41], v[8:9], v[24:25], -v[40:41]
	v_mul_f64 v[8:9], v[8:9], v[26:27]
	v_add_f64 v[34:35], v[34:35], v[40:41]
	v_fma_f64 v[8:9], v[10:11], v[24:25], v[8:9]
	v_add_f64 v[40:41], v[8:9], v[58:59]
	ds_read_b128 v[8:11], v1 offset:8224
	s_waitcnt lgkmcnt(0)
	v_mul_f64 v[42:43], v[10:11], v[22:23]
	v_mul_f64 v[22:23], v[8:9], v[22:23]
	v_fma_f64 v[42:43], v[8:9], v[20:21], -v[42:43]
	v_fma_f64 v[22:23], v[10:11], v[20:21], v[22:23]
	v_add_f64 v[20:21], v[16:17], v[42:43]
	v_mul_f64 v[16:17], v[10:11], v[26:27]
	v_add_f64 v[22:23], v[22:23], v[18:19]
	v_fma_f64 v[16:17], v[8:9], v[24:25], -v[16:17]
	v_mul_f64 v[8:9], v[8:9], v[26:27]
	v_fma_f64 v[8:9], v[10:11], v[24:25], v[8:9]
	v_add_f64 v[24:25], v[12:13], v[16:17]
	v_add_f64 v[26:27], v[8:9], v[14:15]
	ds_read_b128 v[8:11], v55 offset:1536
	s_waitcnt lgkmcnt(0)
	v_mul_f64 v[12:13], v[6:7], v[10:11]
	v_mul_f64 v[14:15], v[4:5], v[10:11]
	v_fma_f64 v[12:13], v[4:5], v[8:9], -v[12:13]
	v_fma_f64 v[14:15], v[6:7], v[8:9], v[14:15]
	v_add_f64 v[16:17], v[28:29], v[12:13]
	v_add_f64 v[18:19], v[14:15], v[38:39]
	ds_read_b128 v[12:15], v55 offset:1792
	s_waitcnt lgkmcnt(0)
	v_mul_f64 v[28:29], v[6:7], v[14:15]
	v_fma_f64 v[28:29], v[4:5], v[12:13], -v[28:29]
	v_mul_f64 v[4:5], v[4:5], v[14:15]
	v_fma_f64 v[6:7], v[6:7], v[12:13], v[4:5]
	v_add_f64 v[4:5], v[34:35], v[28:29]
	v_mul_f64 v[28:29], v[52:53], v[10:11]
	v_mul_f64 v[10:11], v[50:51], v[10:11]
	v_add_f64 v[6:7], v[6:7], v[40:41]
	v_fma_f64 v[28:29], v[50:51], v[8:9], -v[28:29]
	v_fma_f64 v[8:9], v[52:53], v[8:9], v[10:11]
	v_mul_f64 v[10:11], v[50:51], v[14:15]
	v_add_f64 v[28:29], v[20:21], v[28:29]
	v_add_f64 v[34:35], v[8:9], v[22:23]
	v_mul_f64 v[8:9], v[52:53], v[14:15]
	v_fma_f64 v[10:11], v[52:53], v[12:13], v[10:11]
	v_fma_f64 v[8:9], v[50:51], v[12:13], -v[8:9]
	v_add_f64 v[40:41], v[10:11], v[26:27]
	v_add_f64 v[38:39], v[24:25], v[8:9]
	ds_read_b128 v[8:11], v1 offset:64
	ds_read_b128 v[12:15], v55 offset:2048
	ds_read_b128 v[24:27], v55 offset:2304
	s_waitcnt lgkmcnt(1)
	v_mul_f64 v[20:21], v[10:11], v[14:15]
	v_mul_f64 v[22:23], v[8:9], v[14:15]
	v_fma_f64 v[20:21], v[8:9], v[12:13], -v[20:21]
	v_fma_f64 v[22:23], v[10:11], v[12:13], v[22:23]
	v_add_f64 v[20:21], v[16:17], v[20:21]
	s_waitcnt lgkmcnt(0)
	v_mul_f64 v[16:17], v[10:11], v[26:27]
	v_add_f64 v[22:23], v[22:23], v[18:19]
	v_fma_f64 v[16:17], v[8:9], v[24:25], -v[16:17]
	v_mul_f64 v[8:9], v[8:9], v[26:27]
	v_add_f64 v[42:43], v[4:5], v[16:17]
	v_fma_f64 v[8:9], v[10:11], v[24:25], v[8:9]
	v_add_f64 v[44:45], v[8:9], v[6:7]
	ds_read_b128 v[4:7], v1 offset:8256
	s_waitcnt lgkmcnt(0)
	v_mul_f64 v[8:9], v[6:7], v[14:15]
	v_mul_f64 v[10:11], v[4:5], v[14:15]
	v_fma_f64 v[8:9], v[4:5], v[12:13], -v[8:9]
	v_fma_f64 v[10:11], v[6:7], v[12:13], v[10:11]
	v_add_f64 v[16:17], v[28:29], v[8:9]
	v_mul_f64 v[8:9], v[6:7], v[26:27]
	v_add_f64 v[18:19], v[10:11], v[34:35]
	v_fma_f64 v[8:9], v[4:5], v[24:25], -v[8:9]
	v_mul_f64 v[4:5], v[4:5], v[26:27]
	v_add_f64 v[12:13], v[38:39], v[8:9]
	v_fma_f64 v[4:5], v[6:7], v[24:25], v[4:5]
	ds_read_b128 v[50:53], v1 offset:80
	ds_read_b128 v[8:11], v55 offset:2560
	s_waitcnt lgkmcnt(0)
	v_mul_f64 v[6:7], v[50:51], v[10:11]
	v_add_f64 v[14:15], v[4:5], v[40:41]
	v_mul_f64 v[4:5], v[52:53], v[10:11]
	v_fma_f64 v[6:7], v[52:53], v[8:9], v[6:7]
	v_fma_f64 v[4:5], v[50:51], v[8:9], -v[4:5]
	v_add_f64 v[28:29], v[6:7], v[22:23]
	v_add_f64 v[26:27], v[20:21], v[4:5]
	ds_read_b128 v[4:7], v55 offset:2816
	s_waitcnt lgkmcnt(0)
	v_mul_f64 v[20:21], v[52:53], v[6:7]
	v_mul_f64 v[22:23], v[50:51], v[6:7]
	v_fma_f64 v[20:21], v[50:51], v[4:5], -v[20:21]
	v_fma_f64 v[22:23], v[52:53], v[4:5], v[22:23]
	ds_read_b128 v[50:53], v1 offset:8272
	s_waitcnt lgkmcnt(0)
	v_mul_f64 v[24:25], v[52:53], v[10:11]
	v_mul_f64 v[10:11], v[50:51], v[10:11]
	v_add_f64 v[22:23], v[22:23], v[44:45]
	v_add_f64 v[20:21], v[42:43], v[20:21]
	v_fma_f64 v[24:25], v[50:51], v[8:9], -v[24:25]
	v_fma_f64 v[8:9], v[52:53], v[8:9], v[10:11]
	v_add_f64 v[24:25], v[16:17], v[24:25]
	v_add_f64 v[34:35], v[8:9], v[18:19]
	v_mul_f64 v[8:9], v[52:53], v[6:7]
	v_mul_f64 v[6:7], v[50:51], v[6:7]
	v_fma_f64 v[8:9], v[50:51], v[4:5], -v[8:9]
	v_fma_f64 v[4:5], v[52:53], v[4:5], v[6:7]
	v_add_f64 v[38:39], v[12:13], v[8:9]
	v_add_f64 v[40:41], v[4:5], v[14:15]
	ds_read_b128 v[8:11], v1 offset:96
	ds_read_b128 v[12:15], v55 offset:3072
	;; [unrolled: 1-line block ×3, first 2 shown]
	s_waitcnt lgkmcnt(1)
	v_mul_f64 v[4:5], v[10:11], v[14:15]
	v_mul_f64 v[6:7], v[8:9], v[14:15]
	v_fma_f64 v[4:5], v[8:9], v[12:13], -v[4:5]
	v_fma_f64 v[6:7], v[10:11], v[12:13], v[6:7]
	v_add_f64 v[4:5], v[26:27], v[4:5]
	s_waitcnt lgkmcnt(0)
	v_mul_f64 v[26:27], v[10:11], v[18:19]
	v_add_f64 v[6:7], v[6:7], v[28:29]
	v_fma_f64 v[26:27], v[8:9], v[16:17], -v[26:27]
	v_mul_f64 v[8:9], v[8:9], v[18:19]
	v_add_f64 v[42:43], v[20:21], v[26:27]
	v_fma_f64 v[8:9], v[10:11], v[16:17], v[8:9]
	v_add_f64 v[44:45], v[8:9], v[22:23]
	ds_read_b128 v[8:11], v1 offset:8288
	s_waitcnt lgkmcnt(0)
	v_mul_f64 v[20:21], v[10:11], v[14:15]
	v_mul_f64 v[14:15], v[8:9], v[14:15]
	v_fma_f64 v[20:21], v[8:9], v[12:13], -v[20:21]
	v_fma_f64 v[12:13], v[10:11], v[12:13], v[14:15]
	v_add_f64 v[20:21], v[24:25], v[20:21]
	v_add_f64 v[22:23], v[12:13], v[34:35]
	v_mul_f64 v[12:13], v[10:11], v[18:19]
	v_fma_f64 v[12:13], v[8:9], v[16:17], -v[12:13]
	v_mul_f64 v[8:9], v[8:9], v[18:19]
	v_fma_f64 v[8:9], v[10:11], v[16:17], v[8:9]
	v_add_f64 v[16:17], v[38:39], v[12:13]
	v_add_f64 v[18:19], v[8:9], v[40:41]
	ds_read_b128 v[12:15], v1 offset:112
	ds_read_b128 v[8:11], v55 offset:3584
	s_waitcnt lgkmcnt(0)
	v_mul_f64 v[24:25], v[14:15], v[10:11]
	v_mul_f64 v[26:27], v[12:13], v[10:11]
	v_fma_f64 v[24:25], v[12:13], v[8:9], -v[24:25]
	v_fma_f64 v[28:29], v[14:15], v[8:9], v[26:27]
	v_add_f64 v[26:27], v[4:5], v[24:25]
	v_add_f64 v[28:29], v[28:29], v[6:7]
	ds_read_b128 v[4:7], v55 offset:3840
	s_waitcnt lgkmcnt(0)
	v_mul_f64 v[24:25], v[14:15], v[6:7]
	v_fma_f64 v[24:25], v[12:13], v[4:5], -v[24:25]
	v_mul_f64 v[12:13], v[12:13], v[6:7]
	v_add_f64 v[34:35], v[42:43], v[24:25]
	v_fma_f64 v[12:13], v[14:15], v[4:5], v[12:13]
	v_add_f64 v[58:59], v[12:13], v[44:45]
	ds_read_b128 v[12:15], v1 offset:8304
	s_waitcnt lgkmcnt(0)
	v_mul_f64 v[24:25], v[14:15], v[10:11]
	v_mul_f64 v[10:11], v[12:13], v[10:11]
	v_fma_f64 v[24:25], v[12:13], v[8:9], -v[24:25]
	v_fma_f64 v[8:9], v[14:15], v[8:9], v[10:11]
	v_add_f64 v[20:21], v[20:21], v[24:25]
	v_add_f64 v[22:23], v[8:9], v[22:23]
	v_mul_f64 v[8:9], v[14:15], v[6:7]
	v_mul_f64 v[6:7], v[12:13], v[6:7]
	v_fma_f64 v[8:9], v[12:13], v[4:5], -v[8:9]
	v_fma_f64 v[4:5], v[14:15], v[4:5], v[6:7]
	v_add_f64 v[24:25], v[16:17], v[8:9]
	ds_read_b128 v[8:11], v1 offset:128
	ds_read_b128 v[12:15], v55 offset:4096
	v_add_f64 v[38:39], v[4:5], v[18:19]
	ds_read_b128 v[16:19], v55 offset:4352
	s_waitcnt lgkmcnt(1)
	v_mul_f64 v[4:5], v[10:11], v[14:15]
	v_mul_f64 v[6:7], v[8:9], v[14:15]
	v_fma_f64 v[4:5], v[8:9], v[12:13], -v[4:5]
	v_fma_f64 v[6:7], v[10:11], v[12:13], v[6:7]
	v_add_f64 v[4:5], v[26:27], v[4:5]
	s_waitcnt lgkmcnt(0)
	v_mul_f64 v[26:27], v[10:11], v[18:19]
	v_add_f64 v[6:7], v[6:7], v[28:29]
	v_fma_f64 v[26:27], v[8:9], v[16:17], -v[26:27]
	v_mul_f64 v[8:9], v[8:9], v[18:19]
	v_add_f64 v[34:35], v[34:35], v[26:27]
	v_fma_f64 v[8:9], v[10:11], v[16:17], v[8:9]
	v_add_f64 v[40:41], v[8:9], v[58:59]
	ds_read_b128 v[8:11], v1 offset:8320
	s_waitcnt lgkmcnt(0)
	v_mul_f64 v[26:27], v[10:11], v[14:15]
	v_mul_f64 v[14:15], v[8:9], v[14:15]
	v_fma_f64 v[26:27], v[8:9], v[12:13], -v[26:27]
	v_fma_f64 v[12:13], v[10:11], v[12:13], v[14:15]
	v_add_f64 v[20:21], v[20:21], v[26:27]
	v_add_f64 v[22:23], v[12:13], v[22:23]
	v_mul_f64 v[12:13], v[10:11], v[18:19]
	v_fma_f64 v[12:13], v[8:9], v[16:17], -v[12:13]
	v_mul_f64 v[8:9], v[8:9], v[18:19]
	v_fma_f64 v[8:9], v[10:11], v[16:17], v[8:9]
	v_add_f64 v[16:17], v[24:25], v[12:13]
	v_add_f64 v[18:19], v[8:9], v[38:39]
	ds_read_b128 v[12:15], v1 offset:144
	ds_read_b128 v[8:11], v55 offset:4608
	s_waitcnt lgkmcnt(0)
	v_mul_f64 v[24:25], v[14:15], v[10:11]
	v_mul_f64 v[26:27], v[12:13], v[10:11]
	v_fma_f64 v[24:25], v[12:13], v[8:9], -v[24:25]
	v_fma_f64 v[28:29], v[14:15], v[8:9], v[26:27]
	v_add_f64 v[26:27], v[4:5], v[24:25]
	v_add_f64 v[28:29], v[28:29], v[6:7]
	ds_read_b128 v[4:7], v55 offset:4864
	s_waitcnt lgkmcnt(0)
	v_mul_f64 v[24:25], v[14:15], v[6:7]
	v_fma_f64 v[24:25], v[12:13], v[4:5], -v[24:25]
	v_mul_f64 v[12:13], v[12:13], v[6:7]
	v_add_f64 v[34:35], v[34:35], v[24:25]
	v_fma_f64 v[12:13], v[14:15], v[4:5], v[12:13]
	v_add_f64 v[58:59], v[12:13], v[40:41]
	ds_read_b128 v[12:15], v1 offset:8336
	s_waitcnt lgkmcnt(0)
	v_mul_f64 v[24:25], v[14:15], v[10:11]
	v_mul_f64 v[10:11], v[12:13], v[10:11]
	v_fma_f64 v[24:25], v[12:13], v[8:9], -v[24:25]
	v_fma_f64 v[8:9], v[14:15], v[8:9], v[10:11]
	v_add_f64 v[20:21], v[20:21], v[24:25]
	v_add_f64 v[22:23], v[8:9], v[22:23]
	v_mul_f64 v[8:9], v[14:15], v[6:7]
	v_mul_f64 v[6:7], v[12:13], v[6:7]
	v_fma_f64 v[8:9], v[12:13], v[4:5], -v[8:9]
	v_fma_f64 v[4:5], v[14:15], v[4:5], v[6:7]
	v_add_f64 v[24:25], v[16:17], v[8:9]
	ds_read_b128 v[8:11], v1 offset:160
	ds_read_b128 v[12:15], v55 offset:5120
	v_add_f64 v[38:39], v[4:5], v[18:19]
	ds_read_b128 v[16:19], v55 offset:5376
	s_waitcnt lgkmcnt(1)
	v_mul_f64 v[4:5], v[10:11], v[14:15]
	v_mul_f64 v[6:7], v[8:9], v[14:15]
	v_fma_f64 v[4:5], v[8:9], v[12:13], -v[4:5]
	v_fma_f64 v[6:7], v[10:11], v[12:13], v[6:7]
	v_add_f64 v[4:5], v[26:27], v[4:5]
	s_waitcnt lgkmcnt(0)
	v_mul_f64 v[26:27], v[10:11], v[18:19]
	v_add_f64 v[6:7], v[6:7], v[28:29]
	v_fma_f64 v[26:27], v[8:9], v[16:17], -v[26:27]
	v_mul_f64 v[8:9], v[8:9], v[18:19]
	v_add_f64 v[28:29], v[34:35], v[26:27]
	v_fma_f64 v[8:9], v[10:11], v[16:17], v[8:9]
	v_add_f64 v[40:41], v[8:9], v[58:59]
	ds_read_b128 v[8:11], v1 offset:8352
	s_waitcnt lgkmcnt(0)
	v_mul_f64 v[26:27], v[10:11], v[14:15]
	v_mul_f64 v[14:15], v[8:9], v[14:15]
	v_fma_f64 v[26:27], v[8:9], v[12:13], -v[26:27]
	v_fma_f64 v[12:13], v[10:11], v[12:13], v[14:15]
	v_add_f64 v[20:21], v[20:21], v[26:27]
	v_add_f64 v[22:23], v[12:13], v[22:23]
	v_mul_f64 v[12:13], v[10:11], v[18:19]
	v_fma_f64 v[12:13], v[8:9], v[16:17], -v[12:13]
	v_mul_f64 v[8:9], v[8:9], v[18:19]
	v_fma_f64 v[8:9], v[10:11], v[16:17], v[8:9]
	v_add_f64 v[16:17], v[24:25], v[12:13]
	v_add_f64 v[18:19], v[8:9], v[38:39]
	ds_read_b128 v[12:15], v1 offset:176
	ds_read_b128 v[8:11], v55 offset:5632
	s_waitcnt lgkmcnt(0)
	v_mul_f64 v[24:25], v[14:15], v[10:11]
	v_mul_f64 v[26:27], v[12:13], v[10:11]
	v_fma_f64 v[24:25], v[12:13], v[8:9], -v[24:25]
	v_fma_f64 v[26:27], v[14:15], v[8:9], v[26:27]
	v_add_f64 v[24:25], v[4:5], v[24:25]
	v_add_f64 v[26:27], v[26:27], v[6:7]
	ds_read_b128 v[4:7], v55 offset:5888
	s_waitcnt lgkmcnt(0)
	v_mul_f64 v[34:35], v[14:15], v[6:7]
	v_fma_f64 v[34:35], v[12:13], v[4:5], -v[34:35]
	v_mul_f64 v[12:13], v[12:13], v[6:7]
	v_add_f64 v[34:35], v[28:29], v[34:35]
	v_fma_f64 v[12:13], v[14:15], v[4:5], v[12:13]
	v_add_f64 v[58:59], v[12:13], v[40:41]
	ds_read_b128 v[12:15], v1 offset:8368
	s_waitcnt lgkmcnt(0)
	v_mul_f64 v[28:29], v[14:15], v[10:11]
	v_mul_f64 v[10:11], v[12:13], v[10:11]
	v_fma_f64 v[28:29], v[12:13], v[8:9], -v[28:29]
	v_fma_f64 v[8:9], v[14:15], v[8:9], v[10:11]
	v_add_f64 v[20:21], v[20:21], v[28:29]
	v_add_f64 v[22:23], v[8:9], v[22:23]
	v_mul_f64 v[8:9], v[14:15], v[6:7]
	v_mul_f64 v[6:7], v[12:13], v[6:7]
	v_fma_f64 v[8:9], v[12:13], v[4:5], -v[8:9]
	v_fma_f64 v[4:5], v[14:15], v[4:5], v[6:7]
	v_add_f64 v[28:29], v[16:17], v[8:9]
	v_add_f64 v[38:39], v[4:5], v[18:19]
	ds_read_b128 v[4:7], v1 offset:192
	ds_read_b128 v[12:15], v55 offset:6144
	;; [unrolled: 1-line block ×3, first 2 shown]
	s_waitcnt lgkmcnt(1)
	v_mul_f64 v[8:9], v[6:7], v[14:15]
	v_mul_f64 v[10:11], v[4:5], v[14:15]
	v_fma_f64 v[8:9], v[4:5], v[12:13], -v[8:9]
	v_fma_f64 v[10:11], v[6:7], v[12:13], v[10:11]
	v_add_f64 v[8:9], v[24:25], v[8:9]
	s_waitcnt lgkmcnt(0)
	v_mul_f64 v[24:25], v[6:7], v[18:19]
	v_add_f64 v[10:11], v[10:11], v[26:27]
	v_fma_f64 v[24:25], v[4:5], v[16:17], -v[24:25]
	v_mul_f64 v[4:5], v[4:5], v[18:19]
	v_add_f64 v[24:25], v[34:35], v[24:25]
	v_fma_f64 v[4:5], v[6:7], v[16:17], v[4:5]
	v_add_f64 v[34:35], v[4:5], v[58:59]
	ds_read_b128 v[4:7], v1 offset:8384
	s_waitcnt lgkmcnt(0)
	v_mul_f64 v[26:27], v[6:7], v[14:15]
	v_mul_f64 v[14:15], v[4:5], v[14:15]
	v_fma_f64 v[26:27], v[4:5], v[12:13], -v[26:27]
	v_fma_f64 v[14:15], v[6:7], v[12:13], v[14:15]
	v_add_f64 v[12:13], v[20:21], v[26:27]
	v_mul_f64 v[20:21], v[6:7], v[18:19]
	v_add_f64 v[14:15], v[14:15], v[22:23]
	v_fma_f64 v[20:21], v[4:5], v[16:17], -v[20:21]
	v_mul_f64 v[4:5], v[4:5], v[18:19]
	v_fma_f64 v[4:5], v[6:7], v[16:17], v[4:5]
	v_add_f64 v[16:17], v[28:29], v[20:21]
	v_add_f64 v[18:19], v[4:5], v[38:39]
	ds_read_b128 v[20:23], v1 offset:208
	ds_read_b128 v[4:7], v55 offset:6656
	;; [unrolled: 1-line block ×3, first 2 shown]
	s_waitcnt lgkmcnt(1)
	v_mul_f64 v[26:27], v[22:23], v[6:7]
	v_mul_f64 v[28:29], v[20:21], v[6:7]
	v_fma_f64 v[26:27], v[20:21], v[4:5], -v[26:27]
	v_fma_f64 v[28:29], v[22:23], v[4:5], v[28:29]
	v_add_f64 v[26:27], v[8:9], v[26:27]
	v_add_f64 v[28:29], v[28:29], v[10:11]
	ds_read_b128 v[8:11], v55 offset:6912
	s_waitcnt lgkmcnt(0)
	v_mul_f64 v[38:39], v[22:23], v[10:11]
	v_fma_f64 v[38:39], v[20:21], v[8:9], -v[38:39]
	v_mul_f64 v[20:21], v[20:21], v[10:11]
	v_fma_f64 v[22:23], v[22:23], v[8:9], v[20:21]
	v_add_f64 v[20:21], v[24:25], v[38:39]
	v_mul_f64 v[24:25], v[52:53], v[6:7]
	v_mul_f64 v[6:7], v[50:51], v[6:7]
	v_add_f64 v[22:23], v[22:23], v[34:35]
	v_fma_f64 v[24:25], v[50:51], v[4:5], -v[24:25]
	v_fma_f64 v[4:5], v[52:53], v[4:5], v[6:7]
	v_mul_f64 v[6:7], v[50:51], v[10:11]
	v_add_f64 v[34:35], v[12:13], v[24:25]
	v_add_f64 v[38:39], v[4:5], v[14:15]
	v_mul_f64 v[4:5], v[52:53], v[10:11]
	v_fma_f64 v[6:7], v[52:53], v[8:9], v[6:7]
	v_fma_f64 v[4:5], v[50:51], v[8:9], -v[4:5]
	ds_read_b128 v[8:11], v1 offset:224
	ds_read_b128 v[12:15], v55 offset:7168
	v_add_f64 v[42:43], v[6:7], v[18:19]
	s_waitcnt lgkmcnt(0)
	v_mul_f64 v[6:7], v[8:9], v[14:15]
	v_add_f64 v[40:41], v[16:17], v[4:5]
	v_mul_f64 v[4:5], v[10:11], v[14:15]
	v_fma_f64 v[6:7], v[10:11], v[12:13], v[6:7]
	v_fma_f64 v[4:5], v[8:9], v[12:13], -v[4:5]
	v_add_f64 v[6:7], v[6:7], v[28:29]
	v_add_f64 v[4:5], v[26:27], v[4:5]
	ds_read_b128 v[24:27], v55 offset:7424
	s_waitcnt lgkmcnt(0)
	v_mul_f64 v[16:17], v[10:11], v[26:27]
	v_fma_f64 v[16:17], v[8:9], v[24:25], -v[16:17]
	v_mul_f64 v[8:9], v[8:9], v[26:27]
	v_add_f64 v[44:45], v[20:21], v[16:17]
	v_fma_f64 v[8:9], v[10:11], v[24:25], v[8:9]
	v_add_f64 v[50:51], v[8:9], v[22:23]
	ds_read_b128 v[8:11], v1 offset:8416
	s_waitcnt lgkmcnt(0)
	v_mul_f64 v[16:17], v[10:11], v[14:15]
	v_mul_f64 v[14:15], v[8:9], v[14:15]
	v_fma_f64 v[16:17], v[8:9], v[12:13], -v[16:17]
	v_fma_f64 v[12:13], v[10:11], v[12:13], v[14:15]
	v_add_f64 v[16:17], v[34:35], v[16:17]
	v_add_f64 v[18:19], v[12:13], v[38:39]
	v_mul_f64 v[12:13], v[10:11], v[26:27]
	v_fma_f64 v[12:13], v[8:9], v[24:25], -v[12:13]
	v_mul_f64 v[8:9], v[8:9], v[26:27]
	v_add_f64 v[12:13], v[40:41], v[12:13]
	v_fma_f64 v[8:9], v[10:11], v[24:25], v[8:9]
	v_add_f64 v[14:15], v[8:9], v[42:43]
	ds_read_b128 v[20:23], v1 offset:240
	ds_read_b128 v[8:11], v55 offset:7680
	s_waitcnt lgkmcnt(0)
	v_mul_f64 v[24:25], v[22:23], v[10:11]
	v_mul_f64 v[26:27], v[20:21], v[10:11]
	v_fma_f64 v[24:25], v[20:21], v[8:9], -v[24:25]
	v_fma_f64 v[28:29], v[22:23], v[8:9], v[26:27]
	v_add_f64 v[26:27], v[4:5], v[24:25]
	v_add_f64 v[28:29], v[28:29], v[6:7]
	ds_read_b128 v[4:7], v55 offset:7936
	s_waitcnt lgkmcnt(0)
	v_mul_f64 v[24:25], v[22:23], v[6:7]
	v_fma_f64 v[24:25], v[20:21], v[4:5], -v[24:25]
	v_mul_f64 v[20:21], v[20:21], v[6:7]
	v_fma_f64 v[22:23], v[22:23], v[4:5], v[20:21]
	v_add_f64 v[20:21], v[44:45], v[24:25]
	v_add_f64 v[22:23], v[22:23], v[50:51]
	ds_read_b128 v[50:53], v1 offset:8432
	s_waitcnt lgkmcnt(0)
	v_mul_f64 v[24:25], v[52:53], v[10:11]
	v_mul_f64 v[10:11], v[50:51], v[10:11]
	v_fma_f64 v[24:25], v[50:51], v[8:9], -v[24:25]
	v_fma_f64 v[8:9], v[52:53], v[8:9], v[10:11]
	v_add_f64 v[24:25], v[16:17], v[24:25]
	v_add_f64 v[34:35], v[8:9], v[18:19]
	v_mul_f64 v[8:9], v[52:53], v[6:7]
	v_mul_f64 v[6:7], v[50:51], v[6:7]
	v_fma_f64 v[8:9], v[50:51], v[4:5], -v[8:9]
	v_fma_f64 v[4:5], v[52:53], v[4:5], v[6:7]
	v_add_f64 v[38:39], v[12:13], v[8:9]
	v_add_f64 v[40:41], v[4:5], v[14:15]
	ds_read_b128 v[8:11], v1 offset:256
	ds_read_b128 v[12:15], v55 offset:8192
	;; [unrolled: 1-line block ×3, first 2 shown]
	s_waitcnt lgkmcnt(1)
	v_mul_f64 v[4:5], v[10:11], v[14:15]
	v_mul_f64 v[6:7], v[8:9], v[14:15]
	v_fma_f64 v[4:5], v[8:9], v[12:13], -v[4:5]
	v_fma_f64 v[6:7], v[10:11], v[12:13], v[6:7]
	v_add_f64 v[4:5], v[26:27], v[4:5]
	s_waitcnt lgkmcnt(0)
	v_mul_f64 v[26:27], v[10:11], v[18:19]
	v_add_f64 v[6:7], v[6:7], v[28:29]
	v_fma_f64 v[26:27], v[8:9], v[16:17], -v[26:27]
	v_mul_f64 v[8:9], v[8:9], v[18:19]
	v_add_f64 v[42:43], v[20:21], v[26:27]
	v_fma_f64 v[8:9], v[10:11], v[16:17], v[8:9]
	v_add_f64 v[44:45], v[8:9], v[22:23]
	ds_read_b128 v[8:11], v1 offset:8448
	s_waitcnt lgkmcnt(0)
	v_mul_f64 v[20:21], v[10:11], v[14:15]
	v_mul_f64 v[14:15], v[8:9], v[14:15]
	v_fma_f64 v[20:21], v[8:9], v[12:13], -v[20:21]
	v_fma_f64 v[12:13], v[10:11], v[12:13], v[14:15]
	v_add_f64 v[20:21], v[24:25], v[20:21]
	v_add_f64 v[22:23], v[12:13], v[34:35]
	v_mul_f64 v[12:13], v[10:11], v[18:19]
	v_fma_f64 v[12:13], v[8:9], v[16:17], -v[12:13]
	v_mul_f64 v[8:9], v[8:9], v[18:19]
	v_fma_f64 v[8:9], v[10:11], v[16:17], v[8:9]
	v_add_f64 v[16:17], v[38:39], v[12:13]
	v_add_f64 v[18:19], v[8:9], v[40:41]
	ds_read_b128 v[12:15], v1 offset:272
	ds_read_b128 v[8:11], v55 offset:8704
	s_waitcnt lgkmcnt(0)
	v_mul_f64 v[24:25], v[14:15], v[10:11]
	v_mul_f64 v[26:27], v[12:13], v[10:11]
	v_fma_f64 v[24:25], v[12:13], v[8:9], -v[24:25]
	v_fma_f64 v[28:29], v[14:15], v[8:9], v[26:27]
	v_add_f64 v[26:27], v[4:5], v[24:25]
	v_add_f64 v[28:29], v[28:29], v[6:7]
	ds_read_b128 v[4:7], v55 offset:8960
	s_waitcnt lgkmcnt(0)
	v_mul_f64 v[24:25], v[14:15], v[6:7]
	v_fma_f64 v[24:25], v[12:13], v[4:5], -v[24:25]
	v_mul_f64 v[12:13], v[12:13], v[6:7]
	v_add_f64 v[34:35], v[42:43], v[24:25]
	v_fma_f64 v[12:13], v[14:15], v[4:5], v[12:13]
	v_add_f64 v[58:59], v[12:13], v[44:45]
	ds_read_b128 v[12:15], v1 offset:8464
	s_waitcnt lgkmcnt(0)
	v_mul_f64 v[24:25], v[14:15], v[10:11]
	v_mul_f64 v[10:11], v[12:13], v[10:11]
	v_fma_f64 v[24:25], v[12:13], v[8:9], -v[24:25]
	v_fma_f64 v[8:9], v[14:15], v[8:9], v[10:11]
	v_add_f64 v[20:21], v[20:21], v[24:25]
	v_add_f64 v[22:23], v[8:9], v[22:23]
	v_mul_f64 v[8:9], v[14:15], v[6:7]
	v_mul_f64 v[6:7], v[12:13], v[6:7]
	v_fma_f64 v[8:9], v[12:13], v[4:5], -v[8:9]
	v_fma_f64 v[4:5], v[14:15], v[4:5], v[6:7]
	v_add_f64 v[24:25], v[16:17], v[8:9]
	ds_read_b128 v[8:11], v1 offset:288
	ds_read_b128 v[12:15], v55 offset:9216
	v_add_f64 v[38:39], v[4:5], v[18:19]
	ds_read_b128 v[16:19], v55 offset:9472
	s_waitcnt lgkmcnt(1)
	v_mul_f64 v[4:5], v[10:11], v[14:15]
	v_mul_f64 v[6:7], v[8:9], v[14:15]
	v_fma_f64 v[4:5], v[8:9], v[12:13], -v[4:5]
	v_fma_f64 v[6:7], v[10:11], v[12:13], v[6:7]
	v_add_f64 v[4:5], v[26:27], v[4:5]
	s_waitcnt lgkmcnt(0)
	v_mul_f64 v[26:27], v[10:11], v[18:19]
	v_add_f64 v[6:7], v[6:7], v[28:29]
	v_fma_f64 v[26:27], v[8:9], v[16:17], -v[26:27]
	v_mul_f64 v[8:9], v[8:9], v[18:19]
	v_add_f64 v[34:35], v[34:35], v[26:27]
	v_fma_f64 v[8:9], v[10:11], v[16:17], v[8:9]
	v_add_f64 v[40:41], v[8:9], v[58:59]
	ds_read_b128 v[8:11], v1 offset:8480
	s_waitcnt lgkmcnt(0)
	v_mul_f64 v[26:27], v[10:11], v[14:15]
	v_mul_f64 v[14:15], v[8:9], v[14:15]
	v_fma_f64 v[26:27], v[8:9], v[12:13], -v[26:27]
	v_fma_f64 v[12:13], v[10:11], v[12:13], v[14:15]
	v_add_f64 v[20:21], v[20:21], v[26:27]
	v_add_f64 v[22:23], v[12:13], v[22:23]
	v_mul_f64 v[12:13], v[10:11], v[18:19]
	v_fma_f64 v[12:13], v[8:9], v[16:17], -v[12:13]
	v_mul_f64 v[8:9], v[8:9], v[18:19]
	v_fma_f64 v[8:9], v[10:11], v[16:17], v[8:9]
	v_add_f64 v[16:17], v[24:25], v[12:13]
	v_add_f64 v[18:19], v[8:9], v[38:39]
	ds_read_b128 v[12:15], v1 offset:304
	ds_read_b128 v[8:11], v55 offset:9728
	s_waitcnt lgkmcnt(0)
	v_mul_f64 v[24:25], v[14:15], v[10:11]
	v_mul_f64 v[26:27], v[12:13], v[10:11]
	v_fma_f64 v[24:25], v[12:13], v[8:9], -v[24:25]
	v_fma_f64 v[28:29], v[14:15], v[8:9], v[26:27]
	v_add_f64 v[26:27], v[4:5], v[24:25]
	v_add_f64 v[28:29], v[28:29], v[6:7]
	ds_read_b128 v[4:7], v55 offset:9984
	s_waitcnt lgkmcnt(0)
	v_mul_f64 v[24:25], v[14:15], v[6:7]
	v_fma_f64 v[24:25], v[12:13], v[4:5], -v[24:25]
	v_mul_f64 v[12:13], v[12:13], v[6:7]
	v_add_f64 v[34:35], v[34:35], v[24:25]
	v_fma_f64 v[12:13], v[14:15], v[4:5], v[12:13]
	v_add_f64 v[58:59], v[12:13], v[40:41]
	ds_read_b128 v[12:15], v1 offset:8496
	s_waitcnt lgkmcnt(0)
	v_mul_f64 v[24:25], v[14:15], v[10:11]
	v_mul_f64 v[10:11], v[12:13], v[10:11]
	v_fma_f64 v[24:25], v[12:13], v[8:9], -v[24:25]
	v_fma_f64 v[8:9], v[14:15], v[8:9], v[10:11]
	v_add_f64 v[20:21], v[20:21], v[24:25]
	v_add_f64 v[22:23], v[8:9], v[22:23]
	v_mul_f64 v[8:9], v[14:15], v[6:7]
	v_mul_f64 v[6:7], v[12:13], v[6:7]
	v_fma_f64 v[8:9], v[12:13], v[4:5], -v[8:9]
	v_fma_f64 v[4:5], v[14:15], v[4:5], v[6:7]
	v_add_f64 v[24:25], v[16:17], v[8:9]
	ds_read_b128 v[8:11], v1 offset:320
	ds_read_b128 v[12:15], v55 offset:10240
	v_add_f64 v[38:39], v[4:5], v[18:19]
	ds_read_b128 v[16:19], v55 offset:10496
	s_waitcnt lgkmcnt(1)
	v_mul_f64 v[4:5], v[10:11], v[14:15]
	v_mul_f64 v[6:7], v[8:9], v[14:15]
	v_fma_f64 v[4:5], v[8:9], v[12:13], -v[4:5]
	v_fma_f64 v[6:7], v[10:11], v[12:13], v[6:7]
	v_add_f64 v[4:5], v[26:27], v[4:5]
	s_waitcnt lgkmcnt(0)
	v_mul_f64 v[26:27], v[10:11], v[18:19]
	v_add_f64 v[6:7], v[6:7], v[28:29]
	v_fma_f64 v[26:27], v[8:9], v[16:17], -v[26:27]
	v_mul_f64 v[8:9], v[8:9], v[18:19]
	v_add_f64 v[28:29], v[34:35], v[26:27]
	v_fma_f64 v[8:9], v[10:11], v[16:17], v[8:9]
	v_add_f64 v[40:41], v[8:9], v[58:59]
	ds_read_b128 v[8:11], v1 offset:8512
	s_waitcnt lgkmcnt(0)
	v_mul_f64 v[26:27], v[10:11], v[14:15]
	v_mul_f64 v[14:15], v[8:9], v[14:15]
	v_fma_f64 v[26:27], v[8:9], v[12:13], -v[26:27]
	v_fma_f64 v[12:13], v[10:11], v[12:13], v[14:15]
	v_add_f64 v[20:21], v[20:21], v[26:27]
	v_add_f64 v[22:23], v[12:13], v[22:23]
	v_mul_f64 v[12:13], v[10:11], v[18:19]
	v_fma_f64 v[12:13], v[8:9], v[16:17], -v[12:13]
	v_mul_f64 v[8:9], v[8:9], v[18:19]
	v_fma_f64 v[8:9], v[10:11], v[16:17], v[8:9]
	v_add_f64 v[16:17], v[24:25], v[12:13]
	v_add_f64 v[18:19], v[8:9], v[38:39]
	ds_read_b128 v[12:15], v1 offset:336
	ds_read_b128 v[8:11], v55 offset:10752
	s_waitcnt lgkmcnt(0)
	v_mul_f64 v[24:25], v[14:15], v[10:11]
	v_mul_f64 v[26:27], v[12:13], v[10:11]
	v_fma_f64 v[24:25], v[12:13], v[8:9], -v[24:25]
	v_fma_f64 v[26:27], v[14:15], v[8:9], v[26:27]
	v_add_f64 v[24:25], v[4:5], v[24:25]
	v_add_f64 v[26:27], v[26:27], v[6:7]
	ds_read_b128 v[4:7], v55 offset:11008
	s_waitcnt lgkmcnt(0)
	v_mul_f64 v[34:35], v[14:15], v[6:7]
	v_fma_f64 v[34:35], v[12:13], v[4:5], -v[34:35]
	v_mul_f64 v[12:13], v[12:13], v[6:7]
	v_add_f64 v[34:35], v[28:29], v[34:35]
	v_fma_f64 v[12:13], v[14:15], v[4:5], v[12:13]
	v_add_f64 v[58:59], v[12:13], v[40:41]
	ds_read_b128 v[12:15], v1 offset:8528
	s_waitcnt lgkmcnt(0)
	v_mul_f64 v[28:29], v[14:15], v[10:11]
	v_mul_f64 v[10:11], v[12:13], v[10:11]
	v_fma_f64 v[28:29], v[12:13], v[8:9], -v[28:29]
	v_fma_f64 v[8:9], v[14:15], v[8:9], v[10:11]
	v_add_f64 v[20:21], v[20:21], v[28:29]
	v_add_f64 v[22:23], v[8:9], v[22:23]
	v_mul_f64 v[8:9], v[14:15], v[6:7]
	v_mul_f64 v[6:7], v[12:13], v[6:7]
	v_fma_f64 v[8:9], v[12:13], v[4:5], -v[8:9]
	v_fma_f64 v[4:5], v[14:15], v[4:5], v[6:7]
	v_add_f64 v[28:29], v[16:17], v[8:9]
	v_add_f64 v[38:39], v[4:5], v[18:19]
	ds_read_b128 v[4:7], v1 offset:352
	ds_read_b128 v[12:15], v55 offset:11264
	;; [unrolled: 1-line block ×3, first 2 shown]
	s_waitcnt lgkmcnt(1)
	v_mul_f64 v[8:9], v[6:7], v[14:15]
	v_mul_f64 v[10:11], v[4:5], v[14:15]
	v_fma_f64 v[8:9], v[4:5], v[12:13], -v[8:9]
	v_fma_f64 v[10:11], v[6:7], v[12:13], v[10:11]
	v_add_f64 v[8:9], v[24:25], v[8:9]
	s_waitcnt lgkmcnt(0)
	v_mul_f64 v[24:25], v[6:7], v[18:19]
	v_add_f64 v[10:11], v[10:11], v[26:27]
	v_fma_f64 v[24:25], v[4:5], v[16:17], -v[24:25]
	v_mul_f64 v[4:5], v[4:5], v[18:19]
	v_add_f64 v[24:25], v[34:35], v[24:25]
	v_fma_f64 v[4:5], v[6:7], v[16:17], v[4:5]
	v_add_f64 v[34:35], v[4:5], v[58:59]
	ds_read_b128 v[4:7], v1 offset:8544
	s_waitcnt lgkmcnt(0)
	v_mul_f64 v[26:27], v[6:7], v[14:15]
	v_mul_f64 v[14:15], v[4:5], v[14:15]
	v_fma_f64 v[26:27], v[4:5], v[12:13], -v[26:27]
	v_fma_f64 v[14:15], v[6:7], v[12:13], v[14:15]
	v_add_f64 v[12:13], v[20:21], v[26:27]
	v_mul_f64 v[20:21], v[6:7], v[18:19]
	v_add_f64 v[14:15], v[14:15], v[22:23]
	v_fma_f64 v[20:21], v[4:5], v[16:17], -v[20:21]
	v_mul_f64 v[4:5], v[4:5], v[18:19]
	v_fma_f64 v[4:5], v[6:7], v[16:17], v[4:5]
	v_add_f64 v[16:17], v[28:29], v[20:21]
	v_add_f64 v[18:19], v[4:5], v[38:39]
	ds_read_b128 v[20:23], v1 offset:368
	ds_read_b128 v[4:7], v55 offset:11776
	;; [unrolled: 1-line block ×3, first 2 shown]
	s_waitcnt lgkmcnt(1)
	v_mul_f64 v[26:27], v[22:23], v[6:7]
	v_mul_f64 v[28:29], v[20:21], v[6:7]
	v_fma_f64 v[26:27], v[20:21], v[4:5], -v[26:27]
	v_fma_f64 v[28:29], v[22:23], v[4:5], v[28:29]
	v_add_f64 v[26:27], v[8:9], v[26:27]
	v_add_f64 v[28:29], v[28:29], v[10:11]
	ds_read_b128 v[8:11], v55 offset:12032
	s_waitcnt lgkmcnt(0)
	v_mul_f64 v[38:39], v[22:23], v[10:11]
	v_fma_f64 v[38:39], v[20:21], v[8:9], -v[38:39]
	v_mul_f64 v[20:21], v[20:21], v[10:11]
	v_fma_f64 v[22:23], v[22:23], v[8:9], v[20:21]
	v_add_f64 v[20:21], v[24:25], v[38:39]
	v_mul_f64 v[24:25], v[52:53], v[6:7]
	v_mul_f64 v[6:7], v[50:51], v[6:7]
	v_add_f64 v[22:23], v[22:23], v[34:35]
	v_fma_f64 v[24:25], v[50:51], v[4:5], -v[24:25]
	v_fma_f64 v[4:5], v[52:53], v[4:5], v[6:7]
	v_mul_f64 v[6:7], v[50:51], v[10:11]
	v_add_f64 v[34:35], v[12:13], v[24:25]
	v_add_f64 v[38:39], v[4:5], v[14:15]
	v_mul_f64 v[4:5], v[52:53], v[10:11]
	v_fma_f64 v[6:7], v[52:53], v[8:9], v[6:7]
	v_fma_f64 v[4:5], v[50:51], v[8:9], -v[4:5]
	ds_read_b128 v[8:11], v1 offset:384
	ds_read_b128 v[12:15], v55 offset:12288
	v_add_f64 v[42:43], v[6:7], v[18:19]
	s_waitcnt lgkmcnt(0)
	v_mul_f64 v[6:7], v[8:9], v[14:15]
	v_add_f64 v[40:41], v[16:17], v[4:5]
	v_mul_f64 v[4:5], v[10:11], v[14:15]
	v_fma_f64 v[6:7], v[10:11], v[12:13], v[6:7]
	v_fma_f64 v[4:5], v[8:9], v[12:13], -v[4:5]
	v_add_f64 v[6:7], v[6:7], v[28:29]
	v_add_f64 v[4:5], v[26:27], v[4:5]
	ds_read_b128 v[24:27], v55 offset:12544
	s_waitcnt lgkmcnt(0)
	v_mul_f64 v[16:17], v[10:11], v[26:27]
	v_fma_f64 v[16:17], v[8:9], v[24:25], -v[16:17]
	v_mul_f64 v[8:9], v[8:9], v[26:27]
	v_add_f64 v[44:45], v[20:21], v[16:17]
	v_fma_f64 v[8:9], v[10:11], v[24:25], v[8:9]
	v_add_f64 v[50:51], v[8:9], v[22:23]
	ds_read_b128 v[8:11], v1 offset:8576
	s_waitcnt lgkmcnt(0)
	v_mul_f64 v[16:17], v[10:11], v[14:15]
	v_mul_f64 v[14:15], v[8:9], v[14:15]
	v_fma_f64 v[16:17], v[8:9], v[12:13], -v[16:17]
	v_fma_f64 v[12:13], v[10:11], v[12:13], v[14:15]
	v_add_f64 v[16:17], v[34:35], v[16:17]
	v_add_f64 v[18:19], v[12:13], v[38:39]
	v_mul_f64 v[12:13], v[10:11], v[26:27]
	v_fma_f64 v[12:13], v[8:9], v[24:25], -v[12:13]
	v_mul_f64 v[8:9], v[8:9], v[26:27]
	v_add_f64 v[12:13], v[40:41], v[12:13]
	v_fma_f64 v[8:9], v[10:11], v[24:25], v[8:9]
	v_add_f64 v[14:15], v[8:9], v[42:43]
	ds_read_b128 v[20:23], v1 offset:400
	ds_read_b128 v[8:11], v55 offset:12800
	s_waitcnt lgkmcnt(0)
	v_mul_f64 v[24:25], v[22:23], v[10:11]
	v_mul_f64 v[26:27], v[20:21], v[10:11]
	v_fma_f64 v[24:25], v[20:21], v[8:9], -v[24:25]
	v_fma_f64 v[28:29], v[22:23], v[8:9], v[26:27]
	v_add_f64 v[26:27], v[4:5], v[24:25]
	v_add_f64 v[28:29], v[28:29], v[6:7]
	ds_read_b128 v[4:7], v55 offset:13056
	s_waitcnt lgkmcnt(0)
	v_mul_f64 v[24:25], v[22:23], v[6:7]
	v_fma_f64 v[24:25], v[20:21], v[4:5], -v[24:25]
	v_mul_f64 v[20:21], v[20:21], v[6:7]
	v_fma_f64 v[22:23], v[22:23], v[4:5], v[20:21]
	v_add_f64 v[20:21], v[44:45], v[24:25]
	v_add_f64 v[22:23], v[22:23], v[50:51]
	ds_read_b128 v[50:53], v1 offset:8592
	s_waitcnt lgkmcnt(0)
	v_mul_f64 v[24:25], v[52:53], v[10:11]
	v_mul_f64 v[10:11], v[50:51], v[10:11]
	v_fma_f64 v[24:25], v[50:51], v[8:9], -v[24:25]
	v_fma_f64 v[8:9], v[52:53], v[8:9], v[10:11]
	v_add_f64 v[24:25], v[16:17], v[24:25]
	v_add_f64 v[34:35], v[8:9], v[18:19]
	v_mul_f64 v[8:9], v[52:53], v[6:7]
	v_mul_f64 v[6:7], v[50:51], v[6:7]
	v_fma_f64 v[8:9], v[50:51], v[4:5], -v[8:9]
	v_fma_f64 v[4:5], v[52:53], v[4:5], v[6:7]
	v_add_f64 v[38:39], v[12:13], v[8:9]
	v_add_f64 v[40:41], v[4:5], v[14:15]
	ds_read_b128 v[8:11], v1 offset:416
	ds_read_b128 v[12:15], v55 offset:13312
	ds_read_b128 v[16:19], v55 offset:13568
	s_waitcnt lgkmcnt(1)
	v_mul_f64 v[4:5], v[10:11], v[14:15]
	v_mul_f64 v[6:7], v[8:9], v[14:15]
	v_fma_f64 v[4:5], v[8:9], v[12:13], -v[4:5]
	v_fma_f64 v[6:7], v[10:11], v[12:13], v[6:7]
	v_add_f64 v[4:5], v[26:27], v[4:5]
	s_waitcnt lgkmcnt(0)
	v_mul_f64 v[26:27], v[10:11], v[18:19]
	v_add_f64 v[6:7], v[6:7], v[28:29]
	v_fma_f64 v[26:27], v[8:9], v[16:17], -v[26:27]
	v_mul_f64 v[8:9], v[8:9], v[18:19]
	v_add_f64 v[42:43], v[20:21], v[26:27]
	v_fma_f64 v[8:9], v[10:11], v[16:17], v[8:9]
	v_add_f64 v[44:45], v[8:9], v[22:23]
	ds_read_b128 v[8:11], v1 offset:8608
	s_waitcnt lgkmcnt(0)
	v_mul_f64 v[20:21], v[10:11], v[14:15]
	v_mul_f64 v[14:15], v[8:9], v[14:15]
	v_fma_f64 v[20:21], v[8:9], v[12:13], -v[20:21]
	v_fma_f64 v[12:13], v[10:11], v[12:13], v[14:15]
	v_add_f64 v[20:21], v[24:25], v[20:21]
	v_add_f64 v[22:23], v[12:13], v[34:35]
	v_mul_f64 v[12:13], v[10:11], v[18:19]
	v_fma_f64 v[12:13], v[8:9], v[16:17], -v[12:13]
	v_mul_f64 v[8:9], v[8:9], v[18:19]
	v_fma_f64 v[8:9], v[10:11], v[16:17], v[8:9]
	v_add_f64 v[16:17], v[38:39], v[12:13]
	v_add_f64 v[18:19], v[8:9], v[40:41]
	ds_read_b128 v[12:15], v1 offset:432
	ds_read_b128 v[8:11], v55 offset:13824
	s_waitcnt lgkmcnt(0)
	v_mul_f64 v[24:25], v[14:15], v[10:11]
	v_mul_f64 v[26:27], v[12:13], v[10:11]
	v_fma_f64 v[24:25], v[12:13], v[8:9], -v[24:25]
	v_fma_f64 v[28:29], v[14:15], v[8:9], v[26:27]
	v_add_f64 v[26:27], v[4:5], v[24:25]
	v_add_f64 v[28:29], v[28:29], v[6:7]
	ds_read_b128 v[4:7], v55 offset:14080
	s_waitcnt lgkmcnt(0)
	v_mul_f64 v[24:25], v[14:15], v[6:7]
	v_fma_f64 v[24:25], v[12:13], v[4:5], -v[24:25]
	v_mul_f64 v[12:13], v[12:13], v[6:7]
	v_add_f64 v[34:35], v[42:43], v[24:25]
	v_fma_f64 v[12:13], v[14:15], v[4:5], v[12:13]
	v_add_f64 v[58:59], v[12:13], v[44:45]
	ds_read_b128 v[12:15], v1 offset:8624
	s_waitcnt lgkmcnt(0)
	v_mul_f64 v[24:25], v[14:15], v[10:11]
	v_mul_f64 v[10:11], v[12:13], v[10:11]
	v_fma_f64 v[24:25], v[12:13], v[8:9], -v[24:25]
	v_fma_f64 v[8:9], v[14:15], v[8:9], v[10:11]
	v_add_f64 v[20:21], v[20:21], v[24:25]
	v_add_f64 v[22:23], v[8:9], v[22:23]
	v_mul_f64 v[8:9], v[14:15], v[6:7]
	v_mul_f64 v[6:7], v[12:13], v[6:7]
	v_fma_f64 v[8:9], v[12:13], v[4:5], -v[8:9]
	v_fma_f64 v[4:5], v[14:15], v[4:5], v[6:7]
	v_add_f64 v[24:25], v[16:17], v[8:9]
	ds_read_b128 v[8:11], v1 offset:448
	ds_read_b128 v[12:15], v55 offset:14336
	v_add_f64 v[38:39], v[4:5], v[18:19]
	ds_read_b128 v[16:19], v55 offset:14592
	s_waitcnt lgkmcnt(1)
	v_mul_f64 v[4:5], v[10:11], v[14:15]
	v_mul_f64 v[6:7], v[8:9], v[14:15]
	v_fma_f64 v[4:5], v[8:9], v[12:13], -v[4:5]
	v_fma_f64 v[6:7], v[10:11], v[12:13], v[6:7]
	v_add_f64 v[4:5], v[26:27], v[4:5]
	s_waitcnt lgkmcnt(0)
	v_mul_f64 v[26:27], v[10:11], v[18:19]
	v_add_f64 v[6:7], v[6:7], v[28:29]
	v_fma_f64 v[26:27], v[8:9], v[16:17], -v[26:27]
	v_mul_f64 v[8:9], v[8:9], v[18:19]
	v_add_f64 v[34:35], v[34:35], v[26:27]
	v_fma_f64 v[8:9], v[10:11], v[16:17], v[8:9]
	v_add_f64 v[40:41], v[8:9], v[58:59]
	ds_read_b128 v[8:11], v1 offset:8640
	s_waitcnt lgkmcnt(0)
	v_mul_f64 v[26:27], v[10:11], v[14:15]
	v_mul_f64 v[14:15], v[8:9], v[14:15]
	v_fma_f64 v[26:27], v[8:9], v[12:13], -v[26:27]
	v_fma_f64 v[12:13], v[10:11], v[12:13], v[14:15]
	v_add_f64 v[20:21], v[20:21], v[26:27]
	v_add_f64 v[22:23], v[12:13], v[22:23]
	v_mul_f64 v[12:13], v[10:11], v[18:19]
	v_fma_f64 v[12:13], v[8:9], v[16:17], -v[12:13]
	v_mul_f64 v[8:9], v[8:9], v[18:19]
	v_fma_f64 v[8:9], v[10:11], v[16:17], v[8:9]
	v_add_f64 v[16:17], v[24:25], v[12:13]
	v_add_f64 v[18:19], v[8:9], v[38:39]
	ds_read_b128 v[12:15], v1 offset:464
	ds_read_b128 v[8:11], v55 offset:14848
	s_waitcnt lgkmcnt(0)
	v_mul_f64 v[24:25], v[14:15], v[10:11]
	v_mul_f64 v[26:27], v[12:13], v[10:11]
	v_fma_f64 v[24:25], v[12:13], v[8:9], -v[24:25]
	v_fma_f64 v[28:29], v[14:15], v[8:9], v[26:27]
	v_add_f64 v[26:27], v[4:5], v[24:25]
	v_add_f64 v[28:29], v[28:29], v[6:7]
	ds_read_b128 v[4:7], v55 offset:15104
	s_waitcnt lgkmcnt(0)
	v_mul_f64 v[24:25], v[14:15], v[6:7]
	v_fma_f64 v[24:25], v[12:13], v[4:5], -v[24:25]
	v_mul_f64 v[12:13], v[12:13], v[6:7]
	v_add_f64 v[34:35], v[34:35], v[24:25]
	v_fma_f64 v[12:13], v[14:15], v[4:5], v[12:13]
	v_add_f64 v[58:59], v[12:13], v[40:41]
	ds_read_b128 v[12:15], v1 offset:8656
	s_waitcnt lgkmcnt(0)
	v_mul_f64 v[24:25], v[14:15], v[10:11]
	v_mul_f64 v[10:11], v[12:13], v[10:11]
	v_fma_f64 v[24:25], v[12:13], v[8:9], -v[24:25]
	v_fma_f64 v[8:9], v[14:15], v[8:9], v[10:11]
	v_add_f64 v[20:21], v[20:21], v[24:25]
	v_add_f64 v[22:23], v[8:9], v[22:23]
	v_mul_f64 v[8:9], v[14:15], v[6:7]
	v_mul_f64 v[6:7], v[12:13], v[6:7]
	v_fma_f64 v[8:9], v[12:13], v[4:5], -v[8:9]
	v_fma_f64 v[4:5], v[14:15], v[4:5], v[6:7]
	v_add_f64 v[24:25], v[16:17], v[8:9]
	ds_read_b128 v[8:11], v1 offset:480
	ds_read_b128 v[12:15], v55 offset:15360
	v_add_f64 v[38:39], v[4:5], v[18:19]
	ds_read_b128 v[16:19], v55 offset:15616
	s_waitcnt lgkmcnt(1)
	v_mul_f64 v[4:5], v[10:11], v[14:15]
	v_mul_f64 v[6:7], v[8:9], v[14:15]
	v_fma_f64 v[4:5], v[8:9], v[12:13], -v[4:5]
	v_fma_f64 v[6:7], v[10:11], v[12:13], v[6:7]
	v_add_f64 v[4:5], v[26:27], v[4:5]
	s_waitcnt lgkmcnt(0)
	v_mul_f64 v[26:27], v[10:11], v[18:19]
	v_add_f64 v[6:7], v[6:7], v[28:29]
	v_fma_f64 v[26:27], v[8:9], v[16:17], -v[26:27]
	v_mul_f64 v[8:9], v[8:9], v[18:19]
	v_add_f64 v[28:29], v[34:35], v[26:27]
	v_fma_f64 v[8:9], v[10:11], v[16:17], v[8:9]
	v_add_f64 v[40:41], v[8:9], v[58:59]
	ds_read_b128 v[8:11], v1 offset:8672
	s_waitcnt lgkmcnt(0)
	v_mul_f64 v[26:27], v[10:11], v[14:15]
	v_mul_f64 v[14:15], v[8:9], v[14:15]
	v_fma_f64 v[26:27], v[8:9], v[12:13], -v[26:27]
	v_fma_f64 v[12:13], v[10:11], v[12:13], v[14:15]
	v_add_f64 v[34:35], v[20:21], v[26:27]
	v_add_f64 v[26:27], v[12:13], v[22:23]
	v_mul_f64 v[12:13], v[10:11], v[18:19]
	v_fma_f64 v[12:13], v[8:9], v[16:17], -v[12:13]
	v_mul_f64 v[8:9], v[8:9], v[18:19]
	v_add_f64 v[20:21], v[24:25], v[12:13]
	v_fma_f64 v[8:9], v[10:11], v[16:17], v[8:9]
	v_add_f64 v[22:23], v[8:9], v[38:39]
	ds_read_b128 v[12:15], v1 offset:496
	ds_read_b128 v[8:11], v55 offset:15872
	s_waitcnt lgkmcnt(0)
	v_mul_f64 v[16:17], v[14:15], v[10:11]
	v_mul_f64 v[18:19], v[12:13], v[10:11]
	v_fma_f64 v[16:17], v[12:13], v[8:9], -v[16:17]
	v_fma_f64 v[18:19], v[14:15], v[8:9], v[18:19]
	v_add_f64 v[58:59], v[4:5], v[16:17]
	v_add_f64 v[60:61], v[18:19], v[6:7]
	ds_read_b128 v[4:7], v55 offset:16128
	s_waitcnt lgkmcnt(0)
	v_mul_f64 v[16:17], v[14:15], v[6:7]
	v_fma_f64 v[16:17], v[12:13], v[4:5], -v[16:17]
	v_mul_f64 v[12:13], v[12:13], v[6:7]
	v_add_f64 v[16:17], v[28:29], v[16:17]
	v_fma_f64 v[12:13], v[14:15], v[4:5], v[12:13]
	v_add_f64 v[18:19], v[12:13], v[40:41]
	ds_read_b128 v[12:15], v1 offset:8688
	s_waitcnt lgkmcnt(0)
	s_barrier
	v_mul_f64 v[24:25], v[14:15], v[10:11]
	v_mul_f64 v[10:11], v[12:13], v[10:11]
	v_fma_f64 v[24:25], v[12:13], v[8:9], -v[24:25]
	v_fma_f64 v[8:9], v[14:15], v[8:9], v[10:11]
	v_add_f64 v[62:63], v[34:35], v[24:25]
	v_add_f64 v[34:35], v[8:9], v[26:27]
	v_mul_f64 v[8:9], v[14:15], v[6:7]
	v_mul_f64 v[6:7], v[12:13], v[6:7]
	v_fma_f64 v[8:9], v[12:13], v[4:5], -v[8:9]
	v_fma_f64 v[4:5], v[14:15], v[4:5], v[6:7]
	v_add_f64 v[14:15], v[20:21], v[8:9]
	v_add_f64 v[12:13], v[4:5], v[22:23]
	s_cbranch_scc1 .LBB130_56
.LBB130_7:                              ;   Parent Loop BB130_4 Depth=1
                                        ; =>  This Inner Loop Header: Depth=2
	buffer_load_dword v4, off, s[64:67], 0  ; 4-byte Folded Reload
	buffer_load_dword v5, off, s[64:67], 0 offset:4 ; 4-byte Folded Reload
	v_mov_b32_e32 v0, s43
	v_add_co_u32_e64 v8, s[10:11], s42, v30
	v_addc_co_u32_e64 v9, s[10:11], v31, v0, s[10:11]
	s_waitcnt vmcnt(0)
	v_cmp_eq_u64_e64 s[10:11], s[42:43], v[4:5]
	v_lshlrev_b64 v[4:5], 4, v[32:33]
	s_and_b64 s[54:55], s[28:29], s[10:11]
	v_add_co_u32_e64 v6, s[12:13], v46, v4
	v_addc_co_u32_e64 v7, s[12:13], v47, v5, s[12:13]
	v_cmp_lt_i64_e64 s[10:11], v[8:9], v[36:37]
	v_cmp_le_i64_e64 s[12:13], s[50:51], v[8:9]
	s_or_b64 s[14:15], vcc, s[10:11]
	s_or_b64 s[14:15], s[12:13], s[14:15]
	s_nor_b64 s[14:15], s[14:15], s[54:55]
	s_and_saveexec_b64 s[18:19], s[14:15]
	s_xor_b64 s[14:15], exec, s[18:19]
	s_cbranch_execz .LBB130_9
; %bb.8:                                ;   in Loop: Header=BB130_7 Depth=2
	global_load_dwordx4 v[20:23], v[6:7], off
	s_waitcnt vmcnt(0)
	v_xor_b32_e32 v23, 0x80000000, v23
	ds_write_b128 v54, v[20:23]
.LBB130_9:                              ;   in Loop: Header=BB130_7 Depth=2
	s_or_saveexec_b64 s[14:15], s[14:15]
	s_xor_b64 s[48:49], s[54:55], -1
	s_xor_b64 exec, exec, s[14:15]
	s_cbranch_execz .LBB130_15
; %bb.10:                               ;   in Loop: Header=BB130_7 Depth=2
	s_and_saveexec_b64 s[18:19], s[48:49]
	s_xor_b64 s[18:19], exec, s[18:19]
; %bb.11:                               ;   in Loop: Header=BB130_7 Depth=2
	v_mov_b32_e32 v20, v2
	v_mov_b32_e32 v21, v2
	;; [unrolled: 1-line block ×4, first 2 shown]
	ds_write_b128 v54, v[20:23]
; %bb.12:                               ;   in Loop: Header=BB130_7 Depth=2
	s_andn2_saveexec_b64 s[18:19], s[18:19]
; %bb.13:                               ;   in Loop: Header=BB130_7 Depth=2
	v_mov_b32_e32 v4, v2
	v_mov_b32_e32 v5, v2
	ds_write_b128 v54, v[2:5]
; %bb.14:                               ;   in Loop: Header=BB130_7 Depth=2
	s_or_b64 exec, exec, s[18:19]
.LBB130_15:                             ;   in Loop: Header=BB130_7 Depth=2
	s_or_b64 exec, exec, s[14:15]
	buffer_load_dword v4, off, s[64:67], 0 offset:40 ; 4-byte Folded Reload
	buffer_load_dword v5, off, s[64:67], 0 offset:44 ; 4-byte Folded Reload
	s_waitcnt vmcnt(0)
	v_cmp_eq_u64_e64 s[14:15], s[42:43], v[4:5]
	v_add_co_u32_e64 v4, s[18:19], 16, v8
	v_addc_co_u32_e64 v5, s[18:19], 0, v9, s[18:19]
	v_cmp_lt_i64_e64 s[18:19], v[4:5], v[36:37]
	s_and_b64 s[20:21], s[28:29], s[14:15]
	v_cmp_le_i64_e64 s[14:15], s[50:51], v[4:5]
	s_or_b64 s[18:19], vcc, s[18:19]
	s_or_b64 s[18:19], s[14:15], s[18:19]
	s_nor_b64 s[18:19], s[18:19], s[20:21]
	s_and_saveexec_b64 s[56:57], s[18:19]
	s_xor_b64 s[56:57], exec, s[56:57]
	s_cbranch_execz .LBB130_17
; %bb.16:                               ;   in Loop: Header=BB130_7 Depth=2
	v_lshlrev_b64 v[4:5], 4, v[32:33]
	v_add_co_u32_e64 v4, s[18:19], v48, v4
	v_addc_co_u32_e64 v5, s[18:19], v49, v5, s[18:19]
	global_load_dwordx4 v[20:23], v[4:5], off
	s_waitcnt vmcnt(0)
	v_xor_b32_e32 v23, 0x80000000, v23
	ds_write_b128 v54, v[20:23] offset:256
.LBB130_17:                             ;   in Loop: Header=BB130_7 Depth=2
	s_andn2_saveexec_b64 s[18:19], s[56:57]
	s_cbranch_execz .LBB130_23
; %bb.18:                               ;   in Loop: Header=BB130_7 Depth=2
	s_xor_b64 s[20:21], s[20:21], -1
	s_and_saveexec_b64 s[56:57], s[20:21]
	s_xor_b64 s[20:21], exec, s[56:57]
; %bb.19:                               ;   in Loop: Header=BB130_7 Depth=2
	v_mov_b32_e32 v20, v2
	v_mov_b32_e32 v21, v2
	;; [unrolled: 1-line block ×4, first 2 shown]
	ds_write_b128 v54, v[20:23] offset:256
; %bb.20:                               ;   in Loop: Header=BB130_7 Depth=2
	s_andn2_saveexec_b64 s[20:21], s[20:21]
; %bb.21:                               ;   in Loop: Header=BB130_7 Depth=2
	v_mov_b32_e32 v4, v2
	v_mov_b32_e32 v5, v2
	ds_write_b128 v54, v[2:5] offset:256
; %bb.22:                               ;   in Loop: Header=BB130_7 Depth=2
	s_or_b64 exec, exec, s[20:21]
.LBB130_23:                             ;   in Loop: Header=BB130_7 Depth=2
	s_or_b64 exec, exec, s[18:19]
	buffer_load_dword v4, off, s[64:67], 0 offset:32 ; 4-byte Folded Reload
	buffer_load_dword v5, off, s[64:67], 0 offset:36 ; 4-byte Folded Reload
	s_waitcnt vmcnt(0)
	v_cmp_eq_u64_e64 s[18:19], s[42:43], v[4:5]
	buffer_load_dword v4, off, s[64:67], 0 offset:24 ; 4-byte Folded Reload
	buffer_load_dword v5, off, s[64:67], 0 offset:28 ; 4-byte Folded Reload
	s_and_b64 s[18:19], s[28:29], s[18:19]
	s_waitcnt vmcnt(0)
	v_cmp_lt_i64_e64 s[20:21], v[8:9], v[4:5]
	s_or_b64 s[20:21], s[8:9], s[20:21]
	s_or_b64 s[20:21], s[20:21], s[18:19]
	s_nor_b64 s[12:13], s[12:13], s[20:21]
	s_and_saveexec_b64 s[20:21], s[12:13]
	s_xor_b64 s[12:13], exec, s[20:21]
	s_cbranch_execz .LBB130_25
; %bb.24:                               ;   in Loop: Header=BB130_7 Depth=2
	global_load_dwordx4 v[4:7], v[6:7], off offset:256
	s_waitcnt vmcnt(0)
	v_xor_b32_e32 v7, 0x80000000, v7
	ds_write_b128 v54, v[4:7] offset:8192
.LBB130_25:                             ;   in Loop: Header=BB130_7 Depth=2
	s_andn2_saveexec_b64 s[12:13], s[12:13]
	s_cbranch_execz .LBB130_31
; %bb.26:                               ;   in Loop: Header=BB130_7 Depth=2
	s_xor_b64 s[18:19], s[18:19], -1
	s_and_saveexec_b64 s[20:21], s[18:19]
	s_xor_b64 s[18:19], exec, s[20:21]
; %bb.27:                               ;   in Loop: Header=BB130_7 Depth=2
	v_mov_b32_e32 v4, v2
	v_mov_b32_e32 v5, v2
	;; [unrolled: 1-line block ×4, first 2 shown]
	ds_write_b128 v54, v[4:7] offset:8192
; %bb.28:                               ;   in Loop: Header=BB130_7 Depth=2
	s_andn2_saveexec_b64 s[18:19], s[18:19]
; %bb.29:                               ;   in Loop: Header=BB130_7 Depth=2
	v_mov_b32_e32 v4, v2
	v_mov_b32_e32 v5, v2
	ds_write_b128 v54, v[2:5] offset:8192
; %bb.30:                               ;   in Loop: Header=BB130_7 Depth=2
	s_or_b64 exec, exec, s[18:19]
.LBB130_31:                             ;   in Loop: Header=BB130_7 Depth=2
	s_or_b64 exec, exec, s[12:13]
	s_or_b64 s[10:11], s[8:9], s[10:11]
	s_or_b64 s[10:11], s[14:15], s[10:11]
	s_nor_b64 s[10:11], s[10:11], s[54:55]
	s_and_saveexec_b64 s[12:13], s[10:11]
	s_xor_b64 s[12:13], exec, s[12:13]
	s_cbranch_execz .LBB130_33
; %bb.32:                               ;   in Loop: Header=BB130_7 Depth=2
	v_lshlrev_b64 v[4:5], 4, v[32:33]
	v_add_co_u32_e64 v4, s[10:11], v48, v4
	v_addc_co_u32_e64 v5, s[10:11], v49, v5, s[10:11]
	global_load_dwordx4 v[4:7], v[4:5], off offset:256
	s_waitcnt vmcnt(0)
	v_xor_b32_e32 v7, 0x80000000, v7
	ds_write_b128 v54, v[4:7] offset:8448
.LBB130_33:                             ;   in Loop: Header=BB130_7 Depth=2
	s_andn2_saveexec_b64 s[10:11], s[12:13]
	s_cbranch_execz .LBB130_39
; %bb.34:                               ;   in Loop: Header=BB130_7 Depth=2
	s_and_saveexec_b64 s[12:13], s[48:49]
	s_xor_b64 s[12:13], exec, s[12:13]
; %bb.35:                               ;   in Loop: Header=BB130_7 Depth=2
	v_mov_b32_e32 v4, v2
	v_mov_b32_e32 v5, v2
	;; [unrolled: 1-line block ×4, first 2 shown]
	ds_write_b128 v54, v[4:7] offset:8448
; %bb.36:                               ;   in Loop: Header=BB130_7 Depth=2
	s_andn2_saveexec_b64 s[12:13], s[12:13]
; %bb.37:                               ;   in Loop: Header=BB130_7 Depth=2
	v_mov_b32_e32 v4, v2
	v_mov_b32_e32 v5, v2
	ds_write_b128 v54, v[2:5] offset:8448
; %bb.38:                               ;   in Loop: Header=BB130_7 Depth=2
	s_or_b64 exec, exec, s[12:13]
.LBB130_39:                             ;   in Loop: Header=BB130_7 Depth=2
	s_or_b64 exec, exec, s[10:11]
	buffer_load_dword v6, off, s[64:67], 0 offset:8 ; 4-byte Folded Reload
	buffer_load_dword v7, off, s[64:67], 0 offset:12 ; 4-byte Folded Reload
	v_mov_b32_e32 v0, s43
	v_add_co_u32_e64 v4, s[10:11], s42, v32
	v_addc_co_u32_e64 v5, s[10:11], v33, v0, s[10:11]
	v_cmp_le_i64_e64 s[10:11], s[50:51], v[4:5]
	s_waitcnt vmcnt(1)
	v_add_co_u32_e64 v6, s[12:13], v56, v6
	s_waitcnt vmcnt(0)
	v_addc_co_u32_e64 v7, s[12:13], v57, v7, s[12:13]
	s_nor_b64 s[12:13], s[10:11], s[0:1]
	s_and_saveexec_b64 s[14:15], s[12:13]
	s_xor_b64 s[12:13], exec, s[14:15]
	s_cbranch_execz .LBB130_41
; %bb.40:                               ;   in Loop: Header=BB130_7 Depth=2
	global_load_dwordx4 v[8:11], v[6:7], off offset:-256
	v_add_u32_e32 v0, v55, v1
	s_waitcnt vmcnt(0)
	ds_write2_b64 v0, v[8:9], v[10:11] offset1:1
.LBB130_41:                             ;   in Loop: Header=BB130_7 Depth=2
	s_andn2_saveexec_b64 s[12:13], s[12:13]
	s_cbranch_execz .LBB130_43
; %bb.42:                               ;   in Loop: Header=BB130_7 Depth=2
	v_mov_b32_e32 v8, v2
	v_mov_b32_e32 v9, v2
	;; [unrolled: 1-line block ×4, first 2 shown]
	v_add_u32_e32 v0, v55, v1
	ds_write_b128 v0, v[8:11]
.LBB130_43:                             ;   in Loop: Header=BB130_7 Depth=2
	s_or_b64 exec, exec, s[12:13]
	s_nor_b64 s[10:11], s[10:11], s[2:3]
	s_and_saveexec_b64 s[12:13], s[10:11]
	s_xor_b64 s[10:11], exec, s[12:13]
	s_cbranch_execz .LBB130_45
; %bb.44:                               ;   in Loop: Header=BB130_7 Depth=2
	global_load_dwordx4 v[6:9], v[6:7], off
	v_add_u32_e32 v0, v55, v1
	v_add_u32_e32 v0, 0x100, v0
	s_waitcnt vmcnt(0)
	ds_write2_b64 v0, v[6:7], v[8:9] offset1:1
.LBB130_45:                             ;   in Loop: Header=BB130_7 Depth=2
	s_andn2_saveexec_b64 s[10:11], s[10:11]
	s_cbranch_execz .LBB130_47
; %bb.46:                               ;   in Loop: Header=BB130_7 Depth=2
	v_mov_b32_e32 v6, v2
	v_mov_b32_e32 v7, v2
	;; [unrolled: 1-line block ×4, first 2 shown]
	v_add_u32_e32 v0, v55, v1
	ds_write_b128 v0, v[6:9] offset:256
.LBB130_47:                             ;   in Loop: Header=BB130_7 Depth=2
	s_or_b64 exec, exec, s[10:11]
	v_cmp_le_i64_e64 s[10:11], s[38:39], v[4:5]
	buffer_load_dword v4, off, s[64:67], 0 offset:16 ; 4-byte Folded Reload
	buffer_load_dword v5, off, s[64:67], 0 offset:20 ; 4-byte Folded Reload
	s_waitcnt vmcnt(1)
	v_add_co_u32_e64 v4, s[12:13], v56, v4
	s_waitcnt vmcnt(0)
	v_addc_co_u32_e64 v5, s[12:13], v57, v5, s[12:13]
	s_nor_b64 s[12:13], s[10:11], s[0:1]
	s_and_saveexec_b64 s[14:15], s[12:13]
	s_xor_b64 s[12:13], exec, s[14:15]
	s_cbranch_execz .LBB130_49
; %bb.48:                               ;   in Loop: Header=BB130_7 Depth=2
	global_load_dwordx4 v[6:9], v[4:5], off offset:-256
	v_add_u32_e32 v0, v55, v1
	v_add_u32_e32 v0, 0x2000, v0
	s_waitcnt vmcnt(0)
	ds_write2_b64 v0, v[6:7], v[8:9] offset1:1
.LBB130_49:                             ;   in Loop: Header=BB130_7 Depth=2
	s_andn2_saveexec_b64 s[12:13], s[12:13]
	s_cbranch_execz .LBB130_51
; %bb.50:                               ;   in Loop: Header=BB130_7 Depth=2
	v_mov_b32_e32 v6, v2
	v_mov_b32_e32 v7, v2
	;; [unrolled: 1-line block ×4, first 2 shown]
	v_add_u32_e32 v0, v55, v1
	ds_write_b128 v0, v[6:9] offset:8192
.LBB130_51:                             ;   in Loop: Header=BB130_7 Depth=2
	s_or_b64 exec, exec, s[12:13]
	s_nor_b64 s[10:11], s[10:11], s[2:3]
	s_and_saveexec_b64 s[12:13], s[10:11]
	s_xor_b64 s[10:11], exec, s[12:13]
	s_cbranch_execz .LBB130_53
; %bb.52:                               ;   in Loop: Header=BB130_7 Depth=2
	global_load_dwordx4 v[4:7], v[4:5], off
	v_add_u32_e32 v0, v55, v1
	v_add_u32_e32 v0, 0x2100, v0
	s_waitcnt vmcnt(0)
	ds_write2_b64 v0, v[4:5], v[6:7] offset1:1
.LBB130_53:                             ;   in Loop: Header=BB130_7 Depth=2
	s_andn2_saveexec_b64 s[10:11], s[10:11]
	s_cbranch_execz .LBB130_6
; %bb.54:                               ;   in Loop: Header=BB130_7 Depth=2
	v_mov_b32_e32 v4, v2
	v_mov_b32_e32 v5, v2
	v_mov_b32_e32 v6, v2
	v_mov_b32_e32 v7, v2
	v_add_u32_e32 v0, v55, v1
	ds_write_b128 v0, v[4:7] offset:8448
	s_branch .LBB130_6
.LBB130_55:                             ;   in Loop: Header=BB130_4 Depth=1
	v_mov_b32_e32 v58, 0
	v_mov_b32_e32 v60, 0
	;; [unrolled: 1-line block ×16, first 2 shown]
.LBB130_56:                             ;   in Loop: Header=BB130_4 Depth=1
	v_mul_lo_u32 v0, s53, v36
	v_mul_lo_u32 v6, s52, v37
	v_mad_u64_u32 v[4:5], s[8:9], s52, v36, 0
	v_cmp_gt_i32_e32 vcc, s50, v36
	v_add3_u32 v5, v5, v6, v0
	v_lshlrev_b64 v[4:5], 4, v[4:5]
	v_mov_b32_e32 v6, s60
	v_add_co_u32_e64 v0, s[8:9], s59, v4
	v_addc_co_u32_e64 v4, s[8:9], v6, v5, s[8:9]
	s_and_b64 s[8:9], s[4:5], vcc
	s_and_saveexec_b64 s[10:11], s[8:9]
	s_cbranch_execz .LBB130_58
; %bb.57:                               ;   in Loop: Header=BB130_4 Depth=1
	buffer_load_dword v5, off, s[64:67], 0 offset:52 ; 4-byte Folded Reload
	buffer_load_dword v6, off, s[64:67], 0 offset:56 ; 4-byte Folded Reload
	v_mul_f64 v[20:21], s[46:47], v[60:61]
	v_mul_f64 v[22:23], s[44:45], v[60:61]
	v_fma_f64 v[20:21], s[44:45], v[58:59], -v[20:21]
	v_fma_f64 v[22:23], s[46:47], v[58:59], v[22:23]
	s_waitcnt vmcnt(1)
	v_add_co_u32_e64 v9, s[8:9], v0, v5
	s_waitcnt vmcnt(0)
	v_addc_co_u32_e64 v10, s[8:9], v4, v6, s[8:9]
	global_load_dwordx4 v[5:8], v[9:10], off
	s_waitcnt vmcnt(0)
	v_add_f64 v[5:6], v[5:6], v[20:21]
	v_add_f64 v[7:8], v[22:23], v[7:8]
	global_store_dwordx4 v[9:10], v[5:8], off
.LBB130_58:                             ;   in Loop: Header=BB130_4 Depth=1
	s_or_b64 exec, exec, s[10:11]
	s_and_b64 s[10:11], s[16:17], vcc
	s_and_saveexec_b64 s[8:9], s[10:11]
	s_cbranch_execz .LBB130_60
; %bb.59:                               ;   in Loop: Header=BB130_4 Depth=1
	buffer_load_dword v5, off, s[64:67], 0 offset:60 ; 4-byte Folded Reload
	buffer_load_dword v6, off, s[64:67], 0 offset:64 ; 4-byte Folded Reload
	v_mul_f64 v[10:11], s[46:47], v[18:19]
	v_mul_f64 v[18:19], s[44:45], v[18:19]
	v_fma_f64 v[10:11], s[44:45], v[16:17], -v[10:11]
	v_fma_f64 v[16:17], s[46:47], v[16:17], v[18:19]
	s_waitcnt vmcnt(0)
	v_lshlrev_b64 v[5:6], 4, v[5:6]
	v_add_co_u32_e32 v8, vcc, v0, v5
	v_addc_co_u32_e32 v9, vcc, v4, v6, vcc
	global_load_dwordx4 v[4:7], v[8:9], off
	s_waitcnt vmcnt(0)
	v_add_f64 v[4:5], v[4:5], v[10:11]
	v_add_f64 v[6:7], v[16:17], v[6:7]
	global_store_dwordx4 v[8:9], v[4:7], off
.LBB130_60:                             ;   in Loop: Header=BB130_4 Depth=1
	s_or_b64 exec, exec, s[8:9]
	v_add_u32_e32 v0, 16, v36
	v_ashrrev_i32_e32 v4, 31, v0
	v_mul_lo_u32 v6, s52, v4
	v_mul_lo_u32 v7, s53, v0
	v_mad_u64_u32 v[4:5], s[8:9], s52, v0, 0
	v_cmp_gt_i32_e32 vcc, s50, v0
	v_add3_u32 v5, v5, v6, v7
	v_lshlrev_b64 v[4:5], 4, v[4:5]
	v_mov_b32_e32 v6, s60
	v_add_co_u32_e64 v0, s[8:9], s59, v4
	v_addc_co_u32_e64 v4, s[8:9], v6, v5, s[8:9]
	s_and_b64 s[8:9], s[4:5], vcc
	s_and_saveexec_b64 s[10:11], s[8:9]
	s_cbranch_execz .LBB130_62
; %bb.61:                               ;   in Loop: Header=BB130_4 Depth=1
	buffer_load_dword v5, off, s[64:67], 0 offset:52 ; 4-byte Folded Reload
	buffer_load_dword v6, off, s[64:67], 0 offset:56 ; 4-byte Folded Reload
	v_mul_f64 v[16:17], s[46:47], v[34:35]
	v_mul_f64 v[18:19], s[44:45], v[34:35]
	v_fma_f64 v[16:17], s[44:45], v[62:63], -v[16:17]
	v_fma_f64 v[18:19], s[46:47], v[62:63], v[18:19]
	s_waitcnt vmcnt(1)
	v_add_co_u32_e64 v9, s[8:9], v0, v5
	s_waitcnt vmcnt(0)
	v_addc_co_u32_e64 v10, s[8:9], v4, v6, s[8:9]
	global_load_dwordx4 v[5:8], v[9:10], off
	s_waitcnt vmcnt(0)
	v_add_f64 v[5:6], v[5:6], v[16:17]
	v_add_f64 v[7:8], v[18:19], v[7:8]
	global_store_dwordx4 v[9:10], v[5:8], off
.LBB130_62:                             ;   in Loop: Header=BB130_4 Depth=1
	s_or_b64 exec, exec, s[10:11]
	s_and_b64 s[10:11], s[16:17], vcc
	s_and_saveexec_b64 s[8:9], s[10:11]
	s_cbranch_execz .LBB130_3
; %bb.63:                               ;   in Loop: Header=BB130_4 Depth=1
	buffer_load_dword v5, off, s[64:67], 0 offset:60 ; 4-byte Folded Reload
	buffer_load_dword v6, off, s[64:67], 0 offset:64 ; 4-byte Folded Reload
	v_mul_f64 v[10:11], s[46:47], v[12:13]
	v_mul_f64 v[12:13], s[44:45], v[12:13]
	v_fma_f64 v[10:11], s[44:45], v[14:15], -v[10:11]
	v_fma_f64 v[12:13], s[46:47], v[14:15], v[12:13]
	s_waitcnt vmcnt(0)
	v_lshlrev_b64 v[5:6], 4, v[5:6]
	v_add_co_u32_e32 v8, vcc, v0, v5
	v_addc_co_u32_e32 v9, vcc, v4, v6, vcc
	global_load_dwordx4 v[4:7], v[8:9], off
	s_waitcnt vmcnt(0)
	v_add_f64 v[4:5], v[4:5], v[10:11]
	v_add_f64 v[6:7], v[12:13], v[6:7]
	global_store_dwordx4 v[8:9], v[4:7], off
	s_branch .LBB130_3
.LBB130_64:
	s_endpgm
	.section	.rodata,"a",@progbits
	.p2align	6, 0x0
	.amdhsa_kernel _ZL30rocblas_trmm_outofplace_kernelI19rocblas_complex_numIdELi32ELi2ELb0ELb1ELb1ELb1EPKS1_S2_S1_Ev17rocblas_diagonal_iiT6_lPT7_lllS7_lllPT8_llli
		.amdhsa_group_segment_fixed_size 32768
		.amdhsa_private_segment_fixed_size 80
		.amdhsa_kernarg_size 392
		.amdhsa_user_sgpr_count 6
		.amdhsa_user_sgpr_private_segment_buffer 1
		.amdhsa_user_sgpr_dispatch_ptr 0
		.amdhsa_user_sgpr_queue_ptr 0
		.amdhsa_user_sgpr_kernarg_segment_ptr 1
		.amdhsa_user_sgpr_dispatch_id 0
		.amdhsa_user_sgpr_flat_scratch_init 0
		.amdhsa_user_sgpr_private_segment_size 0
		.amdhsa_uses_dynamic_stack 0
		.amdhsa_system_sgpr_private_segment_wavefront_offset 1
		.amdhsa_system_sgpr_workgroup_id_x 1
		.amdhsa_system_sgpr_workgroup_id_y 1
		.amdhsa_system_sgpr_workgroup_id_z 1
		.amdhsa_system_sgpr_workgroup_info 0
		.amdhsa_system_vgpr_workitem_id 1
		.amdhsa_next_free_vgpr 64
		.amdhsa_next_free_sgpr 68
		.amdhsa_reserve_vcc 1
		.amdhsa_reserve_flat_scratch 0
		.amdhsa_float_round_mode_32 0
		.amdhsa_float_round_mode_16_64 0
		.amdhsa_float_denorm_mode_32 3
		.amdhsa_float_denorm_mode_16_64 3
		.amdhsa_dx10_clamp 1
		.amdhsa_ieee_mode 1
		.amdhsa_fp16_overflow 0
		.amdhsa_exception_fp_ieee_invalid_op 0
		.amdhsa_exception_fp_denorm_src 0
		.amdhsa_exception_fp_ieee_div_zero 0
		.amdhsa_exception_fp_ieee_overflow 0
		.amdhsa_exception_fp_ieee_underflow 0
		.amdhsa_exception_fp_ieee_inexact 0
		.amdhsa_exception_int_div_zero 0
	.end_amdhsa_kernel
	.section	.text._ZL30rocblas_trmm_outofplace_kernelI19rocblas_complex_numIdELi32ELi2ELb0ELb1ELb1ELb1EPKS1_S2_S1_Ev17rocblas_diagonal_iiT6_lPT7_lllS7_lllPT8_llli,"axG",@progbits,_ZL30rocblas_trmm_outofplace_kernelI19rocblas_complex_numIdELi32ELi2ELb0ELb1ELb1ELb1EPKS1_S2_S1_Ev17rocblas_diagonal_iiT6_lPT7_lllS7_lllPT8_llli,comdat
.Lfunc_end130:
	.size	_ZL30rocblas_trmm_outofplace_kernelI19rocblas_complex_numIdELi32ELi2ELb0ELb1ELb1ELb1EPKS1_S2_S1_Ev17rocblas_diagonal_iiT6_lPT7_lllS7_lllPT8_llli, .Lfunc_end130-_ZL30rocblas_trmm_outofplace_kernelI19rocblas_complex_numIdELi32ELi2ELb0ELb1ELb1ELb1EPKS1_S2_S1_Ev17rocblas_diagonal_iiT6_lPT7_lllS7_lllPT8_llli
                                        ; -- End function
	.set _ZL30rocblas_trmm_outofplace_kernelI19rocblas_complex_numIdELi32ELi2ELb0ELb1ELb1ELb1EPKS1_S2_S1_Ev17rocblas_diagonal_iiT6_lPT7_lllS7_lllPT8_llli.num_vgpr, 64
	.set _ZL30rocblas_trmm_outofplace_kernelI19rocblas_complex_numIdELi32ELi2ELb0ELb1ELb1ELb1EPKS1_S2_S1_Ev17rocblas_diagonal_iiT6_lPT7_lllS7_lllPT8_llli.num_agpr, 0
	.set _ZL30rocblas_trmm_outofplace_kernelI19rocblas_complex_numIdELi32ELi2ELb0ELb1ELb1ELb1EPKS1_S2_S1_Ev17rocblas_diagonal_iiT6_lPT7_lllS7_lllPT8_llli.numbered_sgpr, 68
	.set _ZL30rocblas_trmm_outofplace_kernelI19rocblas_complex_numIdELi32ELi2ELb0ELb1ELb1ELb1EPKS1_S2_S1_Ev17rocblas_diagonal_iiT6_lPT7_lllS7_lllPT8_llli.num_named_barrier, 0
	.set _ZL30rocblas_trmm_outofplace_kernelI19rocblas_complex_numIdELi32ELi2ELb0ELb1ELb1ELb1EPKS1_S2_S1_Ev17rocblas_diagonal_iiT6_lPT7_lllS7_lllPT8_llli.private_seg_size, 80
	.set _ZL30rocblas_trmm_outofplace_kernelI19rocblas_complex_numIdELi32ELi2ELb0ELb1ELb1ELb1EPKS1_S2_S1_Ev17rocblas_diagonal_iiT6_lPT7_lllS7_lllPT8_llli.uses_vcc, 1
	.set _ZL30rocblas_trmm_outofplace_kernelI19rocblas_complex_numIdELi32ELi2ELb0ELb1ELb1ELb1EPKS1_S2_S1_Ev17rocblas_diagonal_iiT6_lPT7_lllS7_lllPT8_llli.uses_flat_scratch, 0
	.set _ZL30rocblas_trmm_outofplace_kernelI19rocblas_complex_numIdELi32ELi2ELb0ELb1ELb1ELb1EPKS1_S2_S1_Ev17rocblas_diagonal_iiT6_lPT7_lllS7_lllPT8_llli.has_dyn_sized_stack, 0
	.set _ZL30rocblas_trmm_outofplace_kernelI19rocblas_complex_numIdELi32ELi2ELb0ELb1ELb1ELb1EPKS1_S2_S1_Ev17rocblas_diagonal_iiT6_lPT7_lllS7_lllPT8_llli.has_recursion, 0
	.set _ZL30rocblas_trmm_outofplace_kernelI19rocblas_complex_numIdELi32ELi2ELb0ELb1ELb1ELb1EPKS1_S2_S1_Ev17rocblas_diagonal_iiT6_lPT7_lllS7_lllPT8_llli.has_indirect_call, 0
	.section	.AMDGPU.csdata,"",@progbits
; Kernel info:
; codeLenInByte = 10616
; TotalNumSgprs: 72
; NumVgprs: 64
; ScratchSize: 80
; MemoryBound: 0
; FloatMode: 240
; IeeeMode: 1
; LDSByteSize: 32768 bytes/workgroup (compile time only)
; SGPRBlocks: 8
; VGPRBlocks: 15
; NumSGPRsForWavesPerEU: 72
; NumVGPRsForWavesPerEU: 64
; Occupancy: 4
; WaveLimiterHint : 0
; COMPUTE_PGM_RSRC2:SCRATCH_EN: 1
; COMPUTE_PGM_RSRC2:USER_SGPR: 6
; COMPUTE_PGM_RSRC2:TRAP_HANDLER: 0
; COMPUTE_PGM_RSRC2:TGID_X_EN: 1
; COMPUTE_PGM_RSRC2:TGID_Y_EN: 1
; COMPUTE_PGM_RSRC2:TGID_Z_EN: 1
; COMPUTE_PGM_RSRC2:TIDIG_COMP_CNT: 1
	.section	.text._ZL30rocblas_trmm_outofplace_kernelI19rocblas_complex_numIdELi32ELi2ELb0ELb1ELb1ELb1ES1_KS1_S1_Ev17rocblas_diagonal_iiT6_lPT7_lllS6_lllPT8_llli,"axG",@progbits,_ZL30rocblas_trmm_outofplace_kernelI19rocblas_complex_numIdELi32ELi2ELb0ELb1ELb1ELb1ES1_KS1_S1_Ev17rocblas_diagonal_iiT6_lPT7_lllS6_lllPT8_llli,comdat
	.globl	_ZL30rocblas_trmm_outofplace_kernelI19rocblas_complex_numIdELi32ELi2ELb0ELb1ELb1ELb1ES1_KS1_S1_Ev17rocblas_diagonal_iiT6_lPT7_lllS6_lllPT8_llli ; -- Begin function _ZL30rocblas_trmm_outofplace_kernelI19rocblas_complex_numIdELi32ELi2ELb0ELb1ELb1ELb1ES1_KS1_S1_Ev17rocblas_diagonal_iiT6_lPT7_lllS6_lllPT8_llli
	.p2align	8
	.type	_ZL30rocblas_trmm_outofplace_kernelI19rocblas_complex_numIdELi32ELi2ELb0ELb1ELb1ELb1ES1_KS1_S1_Ev17rocblas_diagonal_iiT6_lPT7_lllS6_lllPT8_llli,@function
_ZL30rocblas_trmm_outofplace_kernelI19rocblas_complex_numIdELi32ELi2ELb0ELb1ELb1ELb1ES1_KS1_S1_Ev17rocblas_diagonal_iiT6_lPT7_lllS6_lllPT8_llli: ; @_ZL30rocblas_trmm_outofplace_kernelI19rocblas_complex_numIdELi32ELi2ELb0ELb1ELb1ELb1ES1_KS1_S1_Ev17rocblas_diagonal_iiT6_lPT7_lllS6_lllPT8_llli
; %bb.0:
	s_load_dwordx4 s[28:31], s[4:5], 0x10
	s_mov_b64 s[66:67], s[2:3]
	s_mov_b64 s[64:65], s[0:1]
	s_add_u32 s64, s64, s9
	s_addc_u32 s65, s65, 0
	s_waitcnt lgkmcnt(0)
	v_cmp_eq_f64_e64 s[0:1], s[28:29], 0
	v_cmp_eq_f64_e64 s[2:3], s[30:31], 0
	buffer_store_dword v1, off, s[64:67], 0 offset:48 ; 4-byte Folded Spill
	s_and_b64 s[0:1], s[0:1], s[2:3]
	s_and_b64 vcc, exec, s[0:1]
	s_cbranch_vccnz .LBB131_64
; %bb.1:
	s_load_dwordx4 s[52:55], s[4:5], 0x0
	s_waitcnt lgkmcnt(0)
	s_add_i32 s0, s54, -1
	s_ashr_i32 s1, s0, 31
	s_lshr_b32 s1, s1, 27
	s_add_i32 s0, s0, s1
	s_ashr_i32 s33, s0, 5
	s_cmp_gt_i32 s7, s33
	s_cbranch_scc1 .LBB131_64
; %bb.2:
	s_load_dwordx16 s[36:51], s[4:5], 0x28
	s_load_dwordx8 s[20:27], s[4:5], 0x68
	v_lshl_add_u32 v2, s6, 5, v0
	v_ashrrev_i32_e32 v3, 31, v2
	v_lshlrev_b64 v[4:5], 4, v[2:3]
	s_waitcnt lgkmcnt(0)
	s_mul_i32 s1, s51, s8
	s_mul_hi_u32 s2, s50, s8
	s_mul_i32 s0, s50, s8
	s_add_i32 s1, s2, s1
	s_lshl_b64 s[0:1], s[0:1], 4
	s_add_u32 s2, s44, s0
	s_addc_u32 s3, s45, s1
	s_lshl_b64 s[0:1], s[46:47], 4
	s_add_u32 s2, s2, s0
	v_add_co_u32_e32 v6, vcc, s2, v4
	buffer_store_dword v4, off, s[64:67], 0 offset:52 ; 4-byte Folded Spill
	s_nop 0
	buffer_store_dword v5, off, s[64:67], 0 offset:56 ; 4-byte Folded Spill
	s_addc_u32 s3, s3, s1
	v_mov_b32_e32 v1, s3
	s_mul_i32 s0, s27, s8
	s_mul_hi_u32 s1, s26, s8
	s_add_i32 s1, s1, s0
	s_mul_i32 s0, s26, s8
	s_lshl_b64 s[0:1], s[0:1], 4
	s_add_u32 s9, s20, s0
	s_addc_u32 s10, s21, s1
	s_lshl_b64 s[0:1], s[22:23], 4
	s_add_u32 s58, s9, s0
	s_addc_u32 s59, s10, s1
	s_cmpk_eq_i32 s52, 0x84
	s_cselect_b64 s[22:23], -1, 0
	s_ashr_i32 s55, s54, 31
	s_ashr_i32 s0, s53, 31
	s_lshl_b64 s[26:27], s[40:41], 9
	s_lshl_b64 s[34:35], s[48:49], 9
	s_add_u32 s44, s54, -16
	s_addc_u32 s45, s55, -1
	s_lshl_b32 s9, s7, 5
	v_add_u32_e32 v30, s9, v0
	s_mul_hi_u32 s10, s42, s8
	s_lshl_b64 s[46:47], s[48:49], 4
	s_movk_i32 s60, 0x100
	v_addc_co_u32_e32 v7, vcc, v1, v5, vcc
	buffer_store_dword v6, off, s[64:67], 0 offset:68 ; 4-byte Folded Spill
	s_nop 0
	buffer_store_dword v7, off, s[64:67], 0 offset:72 ; 4-byte Folded Spill
	buffer_load_dword v7, off, s[64:67], 0 offset:48 ; 4-byte Folded Reload
	s_load_dword s6, s[4:5], 0x94
	v_mov_b32_e32 v5, s0
	v_sub_co_u32_e32 v4, vcc, s53, v2
	v_cmp_gt_i32_e64 s[4:5], s53, v2
	s_waitcnt lgkmcnt(0)
	s_lshl_b32 s61, s6, 5
	v_add_u32_e32 v2, 16, v2
	v_subb_co_u32_e32 v5, vcc, v5, v3, vcc
	v_ashrrev_i32_e32 v3, 31, v2
	v_lshlrev_b32_e32 v6, 4, v0
	v_cmp_gt_i64_e64 s[0:1], 1, v[4:5]
	v_cmp_gt_i64_e64 s[2:3], 17, v[4:5]
	v_cmp_gt_i32_e64 s[16:17], s53, v2
	buffer_store_dword v2, off, s[64:67], 0 offset:60 ; 4-byte Folded Spill
	s_nop 0
	buffer_store_dword v3, off, s[64:67], 0 offset:64 ; 4-byte Folded Spill
	v_or_b32_e32 v55, 0x4000, v6
	v_mov_b32_e32 v2, 0
	v_mov_b32_e32 v3, 0x3ff00000
	s_waitcnt vmcnt(2)
	v_add_u32_e32 v32, s9, v7
	s_mul_i32 s9, s43, s8
	s_add_i32 s9, s10, s9
	s_mul_i32 s8, s42, s8
	s_lshl_b64 s[8:9], s[8:9], 4
	s_lshl_b64 s[10:11], s[38:39], 4
	s_add_u32 s8, s8, s10
	s_addc_u32 s9, s9, s11
	v_lshlrev_b32_e32 v1, 9, v7
	s_add_u32 s36, s36, s8
	v_add_u32_e32 v54, v1, v6
	s_addc_u32 s37, s37, s9
	s_lshl_b64 s[38:39], s[40:41], 4
	s_branch .LBB131_4
.LBB131_3:                              ;   in Loop: Header=BB131_4 Depth=1
	s_or_b64 exec, exec, s[8:9]
	s_add_i32 s7, s6, s7
	v_add_u32_e32 v30, s61, v30
	s_cmp_le_i32 s7, s33
	v_add_u32_e32 v32, s61, v32
	s_cbranch_scc0 .LBB131_64
.LBB131_4:                              ; =>This Loop Header: Depth=1
                                        ;     Child Loop BB131_7 Depth 2
	buffer_load_dword v0, off, s[64:67], 0 offset:48 ; 4-byte Folded Reload
	s_lshl_b32 s8, s7, 5
	s_sub_i32 s62, s54, s8
	v_ashrrev_i32_e32 v31, 31, v30
	v_ashrrev_i32_e32 v33, 31, v32
	s_cmp_lt_i32 s62, 1
	s_waitcnt vmcnt(0)
	v_add_u32_e32 v36, s8, v0
	v_ashrrev_i32_e32 v37, 31, v36
	s_cbranch_scc1 .LBB131_55
; %bb.5:                                ;   in Loop: Header=BB131_4 Depth=1
	v_sub_co_u32_e32 v14, vcc, v32, v30
	v_lshlrev_b64 v[4:5], 4, v[32:33]
	v_subb_co_u32_e32 v15, vcc, v33, v31, vcc
	v_mov_b32_e32 v6, 0x100
	v_mov_b32_e32 v7, 0
	v_add_co_u32_e32 v4, vcc, 0x100, v4
	v_mad_u64_u32 v[16:17], s[8:9], s46, v32, v[6:7]
	v_addc_co_u32_e32 v5, vcc, 0, v5, vcc
	v_mad_u64_u32 v[18:19], s[8:9], s48, v4, v[6:7]
	v_lshlrev_b64 v[6:7], 4, v[30:31]
	v_mul_lo_u32 v0, s46, v33
	v_mul_lo_u32 v8, s47, v32
	;; [unrolled: 1-line block ×4, first 2 shown]
	v_mov_b32_e32 v4, s36
	v_mov_b32_e32 v5, s37
	v_add_co_u32_e32 v6, vcc, s60, v6
	v_mad_u64_u32 v[46:47], s[8:9], s38, v30, v[4:5]
	v_mad_u64_u32 v[48:49], s[8:9], s40, v6, v[4:5]
	v_add_co_u32_e64 v4, s[8:9], 16, v36
	v_add3_u32 v17, v8, v17, v0
	v_add3_u32 v19, v10, v19, v9
	v_addc_co_u32_e64 v5, s[8:9], 0, v37, s[8:9]
	buffer_store_dword v16, off, s[64:67], 0 offset:8 ; 4-byte Folded Spill
	s_nop 0
	buffer_store_dword v17, off, s[64:67], 0 offset:12 ; 4-byte Folded Spill
	buffer_store_dword v18, off, s[64:67], 0 offset:16 ; 4-byte Folded Spill
	s_nop 0
	buffer_store_dword v19, off, s[64:67], 0 offset:20 ; 4-byte Folded Spill
	;; [unrolled: 3-line block ×3, first 2 shown]
	v_addc_co_u32_e32 v7, vcc, 0, v7, vcc
	v_mul_lo_u32 v11, s38, v31
	v_mul_lo_u32 v12, s39, v30
	v_mul_lo_u32 v7, s40, v7
	v_mul_lo_u32 v13, s41, v6
	v_mov_b32_e32 v34, 0
	v_add3_u32 v47, v12, v47, v11
	v_mov_b32_e32 v62, 0
	v_add3_u32 v49, v13, v49, v7
	v_mov_b32_e32 v12, 0
	v_mov_b32_e32 v18, 0
	;; [unrolled: 1-line block ×5, first 2 shown]
	v_cmp_le_i32_e32 vcc, s54, v36
	v_mov_b32_e32 v13, 0
	s_mov_b64 s[42:43], 0
	v_mov_b32_e32 v35, 0
	v_mov_b32_e32 v63, 0
	;; [unrolled: 1-line block ×6, first 2 shown]
	v_cmp_le_i64_e64 s[8:9], s[54:55], v[4:5]
	v_add_co_u32_e64 v4, s[10:11], 16, v14
	v_addc_co_u32_e64 v5, s[10:11], 0, v15, s[10:11]
	buffer_store_dword v4, off, s[64:67], 0 offset:32 ; 4-byte Folded Spill
	s_nop 0
	buffer_store_dword v5, off, s[64:67], 0 offset:36 ; 4-byte Folded Spill
	v_add_co_u32_e64 v4, s[10:11], -16, v14
	buffer_store_dword v14, off, s[64:67], 0 ; 4-byte Folded Spill
	s_nop 0
	buffer_store_dword v15, off, s[64:67], 0 offset:4 ; 4-byte Folded Spill
	v_addc_co_u32_e64 v5, s[10:11], -1, v15, s[10:11]
	buffer_store_dword v4, off, s[64:67], 0 offset:40 ; 4-byte Folded Spill
	s_nop 0
	buffer_store_dword v5, off, s[64:67], 0 offset:44 ; 4-byte Folded Spill
	buffer_load_dword v56, off, s[64:67], 0 offset:68 ; 4-byte Folded Reload
	buffer_load_dword v57, off, s[64:67], 0 offset:72 ; 4-byte Folded Reload
	v_mov_b32_e32 v14, 0
	v_mov_b32_e32 v15, 0
	s_branch .LBB131_7
.LBB131_6:                              ;   in Loop: Header=BB131_7 Depth=2
	s_or_b64 exec, exec, s[10:11]
	s_waitcnt lgkmcnt(0)
	s_barrier
	ds_read_b128 v[24:27], v1
	ds_read_b128 v[20:23], v1 offset:16
	ds_read_b128 v[8:11], v1 offset:32
	;; [unrolled: 1-line block ×3, first 2 shown]
	ds_read_b128 v[50:53], v55
	v_add_co_u32_e64 v56, s[10:11], s34, v56
	v_mov_b32_e32 v0, s35
	v_addc_co_u32_e64 v57, s[10:11], v57, v0, s[10:11]
	s_waitcnt lgkmcnt(0)
	v_mul_f64 v[28:29], v[26:27], v[52:53]
	v_mul_f64 v[38:39], v[24:25], v[52:53]
	v_add_co_u32_e64 v46, s[10:11], s26, v46
	v_mov_b32_e32 v0, s27
	s_add_u32 s42, s42, 32
	v_addc_co_u32_e64 v47, s[10:11], v47, v0, s[10:11]
	v_fma_f64 v[28:29], v[24:25], v[50:51], -v[28:29]
	v_fma_f64 v[38:39], v[26:27], v[50:51], v[38:39]
	s_addc_u32 s43, s43, 0
	v_add_co_u32_e64 v48, s[10:11], s26, v48
	v_addc_co_u32_e64 v49, s[10:11], v49, v0, s[10:11]
	s_cmp_ge_i32 s42, s62
	v_add_f64 v[42:43], v[58:59], v[28:29]
	v_add_f64 v[38:39], v[38:39], v[60:61]
	ds_read_b128 v[58:61], v55 offset:256
	s_waitcnt lgkmcnt(0)
	v_mul_f64 v[28:29], v[26:27], v[60:61]
	v_fma_f64 v[28:29], v[24:25], v[58:59], -v[28:29]
	v_mul_f64 v[24:25], v[24:25], v[60:61]
	v_add_f64 v[40:41], v[16:17], v[28:29]
	v_fma_f64 v[24:25], v[26:27], v[58:59], v[24:25]
	v_add_f64 v[44:45], v[24:25], v[18:19]
	ds_read_b128 v[16:19], v1 offset:8192
	s_waitcnt lgkmcnt(0)
	v_mul_f64 v[26:27], v[16:17], v[52:53]
	v_mul_f64 v[24:25], v[18:19], v[52:53]
	v_fma_f64 v[26:27], v[18:19], v[50:51], v[26:27]
	v_fma_f64 v[24:25], v[16:17], v[50:51], -v[24:25]
	v_add_f64 v[52:53], v[26:27], v[34:35]
	v_mul_f64 v[26:27], v[18:19], v[60:61]
	v_add_f64 v[24:25], v[62:63], v[24:25]
	v_fma_f64 v[26:27], v[16:17], v[58:59], -v[26:27]
	v_mul_f64 v[16:17], v[16:17], v[60:61]
	v_add_f64 v[26:27], v[14:15], v[26:27]
	v_fma_f64 v[16:17], v[18:19], v[58:59], v[16:17]
	v_add_f64 v[28:29], v[16:17], v[12:13]
	ds_read_b128 v[16:19], v55 offset:512
	s_waitcnt lgkmcnt(0)
	v_mul_f64 v[12:13], v[22:23], v[18:19]
	v_mul_f64 v[14:15], v[20:21], v[18:19]
	v_fma_f64 v[12:13], v[20:21], v[16:17], -v[12:13]
	v_fma_f64 v[14:15], v[22:23], v[16:17], v[14:15]
	v_add_f64 v[60:61], v[42:43], v[12:13]
	v_add_f64 v[62:63], v[14:15], v[38:39]
	ds_read_b128 v[12:15], v55 offset:768
	s_waitcnt lgkmcnt(0)
	v_mul_f64 v[34:35], v[22:23], v[14:15]
	v_fma_f64 v[34:35], v[20:21], v[12:13], -v[34:35]
	v_mul_f64 v[20:21], v[20:21], v[14:15]
	v_add_f64 v[34:35], v[40:41], v[34:35]
	v_fma_f64 v[20:21], v[22:23], v[12:13], v[20:21]
	v_add_f64 v[58:59], v[20:21], v[44:45]
	ds_read_b128 v[20:23], v1 offset:8208
	s_waitcnt lgkmcnt(0)
	v_mul_f64 v[38:39], v[22:23], v[18:19]
	v_mul_f64 v[18:19], v[20:21], v[18:19]
	v_fma_f64 v[38:39], v[20:21], v[16:17], -v[38:39]
	v_fma_f64 v[18:19], v[22:23], v[16:17], v[18:19]
	v_add_f64 v[16:17], v[24:25], v[38:39]
	v_mul_f64 v[24:25], v[22:23], v[14:15]
	v_mul_f64 v[14:15], v[20:21], v[14:15]
	v_add_f64 v[18:19], v[18:19], v[52:53]
	ds_read_b128 v[50:53], v1 offset:8240
	v_fma_f64 v[24:25], v[20:21], v[12:13], -v[24:25]
	v_fma_f64 v[14:15], v[22:23], v[12:13], v[14:15]
	ds_read_b128 v[20:23], v55 offset:1024
	v_add_f64 v[12:13], v[26:27], v[24:25]
	s_waitcnt lgkmcnt(0)
	v_mul_f64 v[24:25], v[10:11], v[22:23]
	v_mul_f64 v[26:27], v[8:9], v[22:23]
	v_add_f64 v[14:15], v[14:15], v[28:29]
	v_fma_f64 v[24:25], v[8:9], v[20:21], -v[24:25]
	v_fma_f64 v[26:27], v[10:11], v[20:21], v[26:27]
	v_add_f64 v[28:29], v[60:61], v[24:25]
	v_add_f64 v[38:39], v[26:27], v[62:63]
	ds_read_b128 v[24:27], v55 offset:1280
	s_waitcnt lgkmcnt(0)
	v_mul_f64 v[40:41], v[10:11], v[26:27]
	v_fma_f64 v[40:41], v[8:9], v[24:25], -v[40:41]
	v_mul_f64 v[8:9], v[8:9], v[26:27]
	v_add_f64 v[34:35], v[34:35], v[40:41]
	v_fma_f64 v[8:9], v[10:11], v[24:25], v[8:9]
	v_add_f64 v[40:41], v[8:9], v[58:59]
	ds_read_b128 v[8:11], v1 offset:8224
	s_waitcnt lgkmcnt(0)
	v_mul_f64 v[42:43], v[10:11], v[22:23]
	v_mul_f64 v[22:23], v[8:9], v[22:23]
	v_fma_f64 v[42:43], v[8:9], v[20:21], -v[42:43]
	v_fma_f64 v[22:23], v[10:11], v[20:21], v[22:23]
	v_add_f64 v[20:21], v[16:17], v[42:43]
	v_mul_f64 v[16:17], v[10:11], v[26:27]
	v_add_f64 v[22:23], v[22:23], v[18:19]
	v_fma_f64 v[16:17], v[8:9], v[24:25], -v[16:17]
	v_mul_f64 v[8:9], v[8:9], v[26:27]
	v_fma_f64 v[8:9], v[10:11], v[24:25], v[8:9]
	v_add_f64 v[24:25], v[12:13], v[16:17]
	v_add_f64 v[26:27], v[8:9], v[14:15]
	ds_read_b128 v[8:11], v55 offset:1536
	s_waitcnt lgkmcnt(0)
	v_mul_f64 v[12:13], v[6:7], v[10:11]
	v_mul_f64 v[14:15], v[4:5], v[10:11]
	v_fma_f64 v[12:13], v[4:5], v[8:9], -v[12:13]
	v_fma_f64 v[14:15], v[6:7], v[8:9], v[14:15]
	v_add_f64 v[16:17], v[28:29], v[12:13]
	v_add_f64 v[18:19], v[14:15], v[38:39]
	ds_read_b128 v[12:15], v55 offset:1792
	s_waitcnt lgkmcnt(0)
	v_mul_f64 v[28:29], v[6:7], v[14:15]
	v_fma_f64 v[28:29], v[4:5], v[12:13], -v[28:29]
	v_mul_f64 v[4:5], v[4:5], v[14:15]
	v_fma_f64 v[6:7], v[6:7], v[12:13], v[4:5]
	v_add_f64 v[4:5], v[34:35], v[28:29]
	v_mul_f64 v[28:29], v[52:53], v[10:11]
	v_mul_f64 v[10:11], v[50:51], v[10:11]
	v_add_f64 v[6:7], v[6:7], v[40:41]
	v_fma_f64 v[28:29], v[50:51], v[8:9], -v[28:29]
	v_fma_f64 v[8:9], v[52:53], v[8:9], v[10:11]
	v_mul_f64 v[10:11], v[50:51], v[14:15]
	v_add_f64 v[28:29], v[20:21], v[28:29]
	v_add_f64 v[34:35], v[8:9], v[22:23]
	v_mul_f64 v[8:9], v[52:53], v[14:15]
	v_fma_f64 v[10:11], v[52:53], v[12:13], v[10:11]
	v_fma_f64 v[8:9], v[50:51], v[12:13], -v[8:9]
	v_add_f64 v[40:41], v[10:11], v[26:27]
	v_add_f64 v[38:39], v[24:25], v[8:9]
	ds_read_b128 v[8:11], v1 offset:64
	ds_read_b128 v[12:15], v55 offset:2048
	;; [unrolled: 1-line block ×3, first 2 shown]
	s_waitcnt lgkmcnt(1)
	v_mul_f64 v[20:21], v[10:11], v[14:15]
	v_mul_f64 v[22:23], v[8:9], v[14:15]
	v_fma_f64 v[20:21], v[8:9], v[12:13], -v[20:21]
	v_fma_f64 v[22:23], v[10:11], v[12:13], v[22:23]
	v_add_f64 v[20:21], v[16:17], v[20:21]
	s_waitcnt lgkmcnt(0)
	v_mul_f64 v[16:17], v[10:11], v[26:27]
	v_add_f64 v[22:23], v[22:23], v[18:19]
	v_fma_f64 v[16:17], v[8:9], v[24:25], -v[16:17]
	v_mul_f64 v[8:9], v[8:9], v[26:27]
	v_add_f64 v[42:43], v[4:5], v[16:17]
	v_fma_f64 v[8:9], v[10:11], v[24:25], v[8:9]
	v_add_f64 v[44:45], v[8:9], v[6:7]
	ds_read_b128 v[4:7], v1 offset:8256
	s_waitcnt lgkmcnt(0)
	v_mul_f64 v[8:9], v[6:7], v[14:15]
	v_mul_f64 v[10:11], v[4:5], v[14:15]
	v_fma_f64 v[8:9], v[4:5], v[12:13], -v[8:9]
	v_fma_f64 v[10:11], v[6:7], v[12:13], v[10:11]
	v_add_f64 v[16:17], v[28:29], v[8:9]
	v_mul_f64 v[8:9], v[6:7], v[26:27]
	v_add_f64 v[18:19], v[10:11], v[34:35]
	v_fma_f64 v[8:9], v[4:5], v[24:25], -v[8:9]
	v_mul_f64 v[4:5], v[4:5], v[26:27]
	v_add_f64 v[12:13], v[38:39], v[8:9]
	v_fma_f64 v[4:5], v[6:7], v[24:25], v[4:5]
	ds_read_b128 v[50:53], v1 offset:80
	ds_read_b128 v[8:11], v55 offset:2560
	s_waitcnt lgkmcnt(0)
	v_mul_f64 v[6:7], v[50:51], v[10:11]
	v_add_f64 v[14:15], v[4:5], v[40:41]
	v_mul_f64 v[4:5], v[52:53], v[10:11]
	v_fma_f64 v[6:7], v[52:53], v[8:9], v[6:7]
	v_fma_f64 v[4:5], v[50:51], v[8:9], -v[4:5]
	v_add_f64 v[28:29], v[6:7], v[22:23]
	v_add_f64 v[26:27], v[20:21], v[4:5]
	ds_read_b128 v[4:7], v55 offset:2816
	s_waitcnt lgkmcnt(0)
	v_mul_f64 v[20:21], v[52:53], v[6:7]
	v_mul_f64 v[22:23], v[50:51], v[6:7]
	v_fma_f64 v[20:21], v[50:51], v[4:5], -v[20:21]
	v_fma_f64 v[22:23], v[52:53], v[4:5], v[22:23]
	ds_read_b128 v[50:53], v1 offset:8272
	s_waitcnt lgkmcnt(0)
	v_mul_f64 v[24:25], v[52:53], v[10:11]
	v_mul_f64 v[10:11], v[50:51], v[10:11]
	v_add_f64 v[22:23], v[22:23], v[44:45]
	v_add_f64 v[20:21], v[42:43], v[20:21]
	v_fma_f64 v[24:25], v[50:51], v[8:9], -v[24:25]
	v_fma_f64 v[8:9], v[52:53], v[8:9], v[10:11]
	v_add_f64 v[24:25], v[16:17], v[24:25]
	v_add_f64 v[34:35], v[8:9], v[18:19]
	v_mul_f64 v[8:9], v[52:53], v[6:7]
	v_mul_f64 v[6:7], v[50:51], v[6:7]
	v_fma_f64 v[8:9], v[50:51], v[4:5], -v[8:9]
	v_fma_f64 v[4:5], v[52:53], v[4:5], v[6:7]
	v_add_f64 v[38:39], v[12:13], v[8:9]
	v_add_f64 v[40:41], v[4:5], v[14:15]
	ds_read_b128 v[8:11], v1 offset:96
	ds_read_b128 v[12:15], v55 offset:3072
	;; [unrolled: 1-line block ×3, first 2 shown]
	s_waitcnt lgkmcnt(1)
	v_mul_f64 v[4:5], v[10:11], v[14:15]
	v_mul_f64 v[6:7], v[8:9], v[14:15]
	v_fma_f64 v[4:5], v[8:9], v[12:13], -v[4:5]
	v_fma_f64 v[6:7], v[10:11], v[12:13], v[6:7]
	v_add_f64 v[4:5], v[26:27], v[4:5]
	s_waitcnt lgkmcnt(0)
	v_mul_f64 v[26:27], v[10:11], v[18:19]
	v_add_f64 v[6:7], v[6:7], v[28:29]
	v_fma_f64 v[26:27], v[8:9], v[16:17], -v[26:27]
	v_mul_f64 v[8:9], v[8:9], v[18:19]
	v_add_f64 v[42:43], v[20:21], v[26:27]
	v_fma_f64 v[8:9], v[10:11], v[16:17], v[8:9]
	v_add_f64 v[44:45], v[8:9], v[22:23]
	ds_read_b128 v[8:11], v1 offset:8288
	s_waitcnt lgkmcnt(0)
	v_mul_f64 v[20:21], v[10:11], v[14:15]
	v_mul_f64 v[14:15], v[8:9], v[14:15]
	v_fma_f64 v[20:21], v[8:9], v[12:13], -v[20:21]
	v_fma_f64 v[12:13], v[10:11], v[12:13], v[14:15]
	v_add_f64 v[20:21], v[24:25], v[20:21]
	v_add_f64 v[22:23], v[12:13], v[34:35]
	v_mul_f64 v[12:13], v[10:11], v[18:19]
	v_fma_f64 v[12:13], v[8:9], v[16:17], -v[12:13]
	v_mul_f64 v[8:9], v[8:9], v[18:19]
	v_fma_f64 v[8:9], v[10:11], v[16:17], v[8:9]
	v_add_f64 v[16:17], v[38:39], v[12:13]
	v_add_f64 v[18:19], v[8:9], v[40:41]
	ds_read_b128 v[12:15], v1 offset:112
	ds_read_b128 v[8:11], v55 offset:3584
	s_waitcnt lgkmcnt(0)
	v_mul_f64 v[24:25], v[14:15], v[10:11]
	v_mul_f64 v[26:27], v[12:13], v[10:11]
	v_fma_f64 v[24:25], v[12:13], v[8:9], -v[24:25]
	v_fma_f64 v[28:29], v[14:15], v[8:9], v[26:27]
	v_add_f64 v[26:27], v[4:5], v[24:25]
	v_add_f64 v[28:29], v[28:29], v[6:7]
	ds_read_b128 v[4:7], v55 offset:3840
	s_waitcnt lgkmcnt(0)
	v_mul_f64 v[24:25], v[14:15], v[6:7]
	v_fma_f64 v[24:25], v[12:13], v[4:5], -v[24:25]
	v_mul_f64 v[12:13], v[12:13], v[6:7]
	v_add_f64 v[34:35], v[42:43], v[24:25]
	v_fma_f64 v[12:13], v[14:15], v[4:5], v[12:13]
	v_add_f64 v[58:59], v[12:13], v[44:45]
	ds_read_b128 v[12:15], v1 offset:8304
	s_waitcnt lgkmcnt(0)
	v_mul_f64 v[24:25], v[14:15], v[10:11]
	v_mul_f64 v[10:11], v[12:13], v[10:11]
	v_fma_f64 v[24:25], v[12:13], v[8:9], -v[24:25]
	v_fma_f64 v[8:9], v[14:15], v[8:9], v[10:11]
	v_add_f64 v[20:21], v[20:21], v[24:25]
	v_add_f64 v[22:23], v[8:9], v[22:23]
	v_mul_f64 v[8:9], v[14:15], v[6:7]
	v_mul_f64 v[6:7], v[12:13], v[6:7]
	v_fma_f64 v[8:9], v[12:13], v[4:5], -v[8:9]
	v_fma_f64 v[4:5], v[14:15], v[4:5], v[6:7]
	v_add_f64 v[24:25], v[16:17], v[8:9]
	ds_read_b128 v[8:11], v1 offset:128
	ds_read_b128 v[12:15], v55 offset:4096
	v_add_f64 v[38:39], v[4:5], v[18:19]
	ds_read_b128 v[16:19], v55 offset:4352
	s_waitcnt lgkmcnt(1)
	v_mul_f64 v[4:5], v[10:11], v[14:15]
	v_mul_f64 v[6:7], v[8:9], v[14:15]
	v_fma_f64 v[4:5], v[8:9], v[12:13], -v[4:5]
	v_fma_f64 v[6:7], v[10:11], v[12:13], v[6:7]
	v_add_f64 v[4:5], v[26:27], v[4:5]
	s_waitcnt lgkmcnt(0)
	v_mul_f64 v[26:27], v[10:11], v[18:19]
	v_add_f64 v[6:7], v[6:7], v[28:29]
	v_fma_f64 v[26:27], v[8:9], v[16:17], -v[26:27]
	v_mul_f64 v[8:9], v[8:9], v[18:19]
	v_add_f64 v[34:35], v[34:35], v[26:27]
	v_fma_f64 v[8:9], v[10:11], v[16:17], v[8:9]
	v_add_f64 v[40:41], v[8:9], v[58:59]
	ds_read_b128 v[8:11], v1 offset:8320
	s_waitcnt lgkmcnt(0)
	v_mul_f64 v[26:27], v[10:11], v[14:15]
	v_mul_f64 v[14:15], v[8:9], v[14:15]
	v_fma_f64 v[26:27], v[8:9], v[12:13], -v[26:27]
	v_fma_f64 v[12:13], v[10:11], v[12:13], v[14:15]
	v_add_f64 v[20:21], v[20:21], v[26:27]
	v_add_f64 v[22:23], v[12:13], v[22:23]
	v_mul_f64 v[12:13], v[10:11], v[18:19]
	v_fma_f64 v[12:13], v[8:9], v[16:17], -v[12:13]
	v_mul_f64 v[8:9], v[8:9], v[18:19]
	v_fma_f64 v[8:9], v[10:11], v[16:17], v[8:9]
	v_add_f64 v[16:17], v[24:25], v[12:13]
	v_add_f64 v[18:19], v[8:9], v[38:39]
	ds_read_b128 v[12:15], v1 offset:144
	ds_read_b128 v[8:11], v55 offset:4608
	s_waitcnt lgkmcnt(0)
	v_mul_f64 v[24:25], v[14:15], v[10:11]
	v_mul_f64 v[26:27], v[12:13], v[10:11]
	v_fma_f64 v[24:25], v[12:13], v[8:9], -v[24:25]
	v_fma_f64 v[28:29], v[14:15], v[8:9], v[26:27]
	v_add_f64 v[26:27], v[4:5], v[24:25]
	v_add_f64 v[28:29], v[28:29], v[6:7]
	ds_read_b128 v[4:7], v55 offset:4864
	s_waitcnt lgkmcnt(0)
	v_mul_f64 v[24:25], v[14:15], v[6:7]
	v_fma_f64 v[24:25], v[12:13], v[4:5], -v[24:25]
	v_mul_f64 v[12:13], v[12:13], v[6:7]
	v_add_f64 v[34:35], v[34:35], v[24:25]
	v_fma_f64 v[12:13], v[14:15], v[4:5], v[12:13]
	v_add_f64 v[58:59], v[12:13], v[40:41]
	ds_read_b128 v[12:15], v1 offset:8336
	s_waitcnt lgkmcnt(0)
	v_mul_f64 v[24:25], v[14:15], v[10:11]
	v_mul_f64 v[10:11], v[12:13], v[10:11]
	v_fma_f64 v[24:25], v[12:13], v[8:9], -v[24:25]
	v_fma_f64 v[8:9], v[14:15], v[8:9], v[10:11]
	v_add_f64 v[20:21], v[20:21], v[24:25]
	v_add_f64 v[22:23], v[8:9], v[22:23]
	v_mul_f64 v[8:9], v[14:15], v[6:7]
	v_mul_f64 v[6:7], v[12:13], v[6:7]
	v_fma_f64 v[8:9], v[12:13], v[4:5], -v[8:9]
	v_fma_f64 v[4:5], v[14:15], v[4:5], v[6:7]
	v_add_f64 v[24:25], v[16:17], v[8:9]
	ds_read_b128 v[8:11], v1 offset:160
	ds_read_b128 v[12:15], v55 offset:5120
	v_add_f64 v[38:39], v[4:5], v[18:19]
	ds_read_b128 v[16:19], v55 offset:5376
	s_waitcnt lgkmcnt(1)
	v_mul_f64 v[4:5], v[10:11], v[14:15]
	v_mul_f64 v[6:7], v[8:9], v[14:15]
	v_fma_f64 v[4:5], v[8:9], v[12:13], -v[4:5]
	v_fma_f64 v[6:7], v[10:11], v[12:13], v[6:7]
	v_add_f64 v[4:5], v[26:27], v[4:5]
	s_waitcnt lgkmcnt(0)
	v_mul_f64 v[26:27], v[10:11], v[18:19]
	v_add_f64 v[6:7], v[6:7], v[28:29]
	v_fma_f64 v[26:27], v[8:9], v[16:17], -v[26:27]
	v_mul_f64 v[8:9], v[8:9], v[18:19]
	v_add_f64 v[28:29], v[34:35], v[26:27]
	v_fma_f64 v[8:9], v[10:11], v[16:17], v[8:9]
	v_add_f64 v[40:41], v[8:9], v[58:59]
	ds_read_b128 v[8:11], v1 offset:8352
	s_waitcnt lgkmcnt(0)
	v_mul_f64 v[26:27], v[10:11], v[14:15]
	v_mul_f64 v[14:15], v[8:9], v[14:15]
	v_fma_f64 v[26:27], v[8:9], v[12:13], -v[26:27]
	v_fma_f64 v[12:13], v[10:11], v[12:13], v[14:15]
	v_add_f64 v[20:21], v[20:21], v[26:27]
	v_add_f64 v[22:23], v[12:13], v[22:23]
	v_mul_f64 v[12:13], v[10:11], v[18:19]
	v_fma_f64 v[12:13], v[8:9], v[16:17], -v[12:13]
	v_mul_f64 v[8:9], v[8:9], v[18:19]
	v_fma_f64 v[8:9], v[10:11], v[16:17], v[8:9]
	v_add_f64 v[16:17], v[24:25], v[12:13]
	v_add_f64 v[18:19], v[8:9], v[38:39]
	ds_read_b128 v[12:15], v1 offset:176
	ds_read_b128 v[8:11], v55 offset:5632
	s_waitcnt lgkmcnt(0)
	v_mul_f64 v[24:25], v[14:15], v[10:11]
	v_mul_f64 v[26:27], v[12:13], v[10:11]
	v_fma_f64 v[24:25], v[12:13], v[8:9], -v[24:25]
	v_fma_f64 v[26:27], v[14:15], v[8:9], v[26:27]
	v_add_f64 v[24:25], v[4:5], v[24:25]
	v_add_f64 v[26:27], v[26:27], v[6:7]
	ds_read_b128 v[4:7], v55 offset:5888
	s_waitcnt lgkmcnt(0)
	v_mul_f64 v[34:35], v[14:15], v[6:7]
	v_fma_f64 v[34:35], v[12:13], v[4:5], -v[34:35]
	v_mul_f64 v[12:13], v[12:13], v[6:7]
	v_add_f64 v[34:35], v[28:29], v[34:35]
	v_fma_f64 v[12:13], v[14:15], v[4:5], v[12:13]
	v_add_f64 v[58:59], v[12:13], v[40:41]
	ds_read_b128 v[12:15], v1 offset:8368
	s_waitcnt lgkmcnt(0)
	v_mul_f64 v[28:29], v[14:15], v[10:11]
	v_mul_f64 v[10:11], v[12:13], v[10:11]
	v_fma_f64 v[28:29], v[12:13], v[8:9], -v[28:29]
	v_fma_f64 v[8:9], v[14:15], v[8:9], v[10:11]
	v_add_f64 v[20:21], v[20:21], v[28:29]
	v_add_f64 v[22:23], v[8:9], v[22:23]
	v_mul_f64 v[8:9], v[14:15], v[6:7]
	v_mul_f64 v[6:7], v[12:13], v[6:7]
	v_fma_f64 v[8:9], v[12:13], v[4:5], -v[8:9]
	v_fma_f64 v[4:5], v[14:15], v[4:5], v[6:7]
	v_add_f64 v[28:29], v[16:17], v[8:9]
	v_add_f64 v[38:39], v[4:5], v[18:19]
	ds_read_b128 v[4:7], v1 offset:192
	ds_read_b128 v[12:15], v55 offset:6144
	;; [unrolled: 1-line block ×3, first 2 shown]
	s_waitcnt lgkmcnt(1)
	v_mul_f64 v[8:9], v[6:7], v[14:15]
	v_mul_f64 v[10:11], v[4:5], v[14:15]
	v_fma_f64 v[8:9], v[4:5], v[12:13], -v[8:9]
	v_fma_f64 v[10:11], v[6:7], v[12:13], v[10:11]
	v_add_f64 v[8:9], v[24:25], v[8:9]
	s_waitcnt lgkmcnt(0)
	v_mul_f64 v[24:25], v[6:7], v[18:19]
	v_add_f64 v[10:11], v[10:11], v[26:27]
	v_fma_f64 v[24:25], v[4:5], v[16:17], -v[24:25]
	v_mul_f64 v[4:5], v[4:5], v[18:19]
	v_add_f64 v[24:25], v[34:35], v[24:25]
	v_fma_f64 v[4:5], v[6:7], v[16:17], v[4:5]
	v_add_f64 v[34:35], v[4:5], v[58:59]
	ds_read_b128 v[4:7], v1 offset:8384
	s_waitcnt lgkmcnt(0)
	v_mul_f64 v[26:27], v[6:7], v[14:15]
	v_mul_f64 v[14:15], v[4:5], v[14:15]
	v_fma_f64 v[26:27], v[4:5], v[12:13], -v[26:27]
	v_fma_f64 v[14:15], v[6:7], v[12:13], v[14:15]
	v_add_f64 v[12:13], v[20:21], v[26:27]
	v_mul_f64 v[20:21], v[6:7], v[18:19]
	v_add_f64 v[14:15], v[14:15], v[22:23]
	v_fma_f64 v[20:21], v[4:5], v[16:17], -v[20:21]
	v_mul_f64 v[4:5], v[4:5], v[18:19]
	v_fma_f64 v[4:5], v[6:7], v[16:17], v[4:5]
	v_add_f64 v[16:17], v[28:29], v[20:21]
	v_add_f64 v[18:19], v[4:5], v[38:39]
	ds_read_b128 v[20:23], v1 offset:208
	ds_read_b128 v[4:7], v55 offset:6656
	;; [unrolled: 1-line block ×3, first 2 shown]
	s_waitcnt lgkmcnt(1)
	v_mul_f64 v[26:27], v[22:23], v[6:7]
	v_mul_f64 v[28:29], v[20:21], v[6:7]
	v_fma_f64 v[26:27], v[20:21], v[4:5], -v[26:27]
	v_fma_f64 v[28:29], v[22:23], v[4:5], v[28:29]
	v_add_f64 v[26:27], v[8:9], v[26:27]
	v_add_f64 v[28:29], v[28:29], v[10:11]
	ds_read_b128 v[8:11], v55 offset:6912
	s_waitcnt lgkmcnt(0)
	v_mul_f64 v[38:39], v[22:23], v[10:11]
	v_fma_f64 v[38:39], v[20:21], v[8:9], -v[38:39]
	v_mul_f64 v[20:21], v[20:21], v[10:11]
	v_fma_f64 v[22:23], v[22:23], v[8:9], v[20:21]
	v_add_f64 v[20:21], v[24:25], v[38:39]
	v_mul_f64 v[24:25], v[52:53], v[6:7]
	v_mul_f64 v[6:7], v[50:51], v[6:7]
	v_add_f64 v[22:23], v[22:23], v[34:35]
	v_fma_f64 v[24:25], v[50:51], v[4:5], -v[24:25]
	v_fma_f64 v[4:5], v[52:53], v[4:5], v[6:7]
	v_mul_f64 v[6:7], v[50:51], v[10:11]
	v_add_f64 v[34:35], v[12:13], v[24:25]
	v_add_f64 v[38:39], v[4:5], v[14:15]
	v_mul_f64 v[4:5], v[52:53], v[10:11]
	v_fma_f64 v[6:7], v[52:53], v[8:9], v[6:7]
	v_fma_f64 v[4:5], v[50:51], v[8:9], -v[4:5]
	ds_read_b128 v[8:11], v1 offset:224
	ds_read_b128 v[12:15], v55 offset:7168
	v_add_f64 v[42:43], v[6:7], v[18:19]
	s_waitcnt lgkmcnt(0)
	v_mul_f64 v[6:7], v[8:9], v[14:15]
	v_add_f64 v[40:41], v[16:17], v[4:5]
	v_mul_f64 v[4:5], v[10:11], v[14:15]
	v_fma_f64 v[6:7], v[10:11], v[12:13], v[6:7]
	v_fma_f64 v[4:5], v[8:9], v[12:13], -v[4:5]
	v_add_f64 v[6:7], v[6:7], v[28:29]
	v_add_f64 v[4:5], v[26:27], v[4:5]
	ds_read_b128 v[24:27], v55 offset:7424
	s_waitcnt lgkmcnt(0)
	v_mul_f64 v[16:17], v[10:11], v[26:27]
	v_fma_f64 v[16:17], v[8:9], v[24:25], -v[16:17]
	v_mul_f64 v[8:9], v[8:9], v[26:27]
	v_add_f64 v[44:45], v[20:21], v[16:17]
	v_fma_f64 v[8:9], v[10:11], v[24:25], v[8:9]
	v_add_f64 v[50:51], v[8:9], v[22:23]
	ds_read_b128 v[8:11], v1 offset:8416
	s_waitcnt lgkmcnt(0)
	v_mul_f64 v[16:17], v[10:11], v[14:15]
	v_mul_f64 v[14:15], v[8:9], v[14:15]
	v_fma_f64 v[16:17], v[8:9], v[12:13], -v[16:17]
	v_fma_f64 v[12:13], v[10:11], v[12:13], v[14:15]
	v_add_f64 v[16:17], v[34:35], v[16:17]
	v_add_f64 v[18:19], v[12:13], v[38:39]
	v_mul_f64 v[12:13], v[10:11], v[26:27]
	v_fma_f64 v[12:13], v[8:9], v[24:25], -v[12:13]
	v_mul_f64 v[8:9], v[8:9], v[26:27]
	v_add_f64 v[12:13], v[40:41], v[12:13]
	v_fma_f64 v[8:9], v[10:11], v[24:25], v[8:9]
	v_add_f64 v[14:15], v[8:9], v[42:43]
	ds_read_b128 v[20:23], v1 offset:240
	ds_read_b128 v[8:11], v55 offset:7680
	s_waitcnt lgkmcnt(0)
	v_mul_f64 v[24:25], v[22:23], v[10:11]
	v_mul_f64 v[26:27], v[20:21], v[10:11]
	v_fma_f64 v[24:25], v[20:21], v[8:9], -v[24:25]
	v_fma_f64 v[28:29], v[22:23], v[8:9], v[26:27]
	v_add_f64 v[26:27], v[4:5], v[24:25]
	v_add_f64 v[28:29], v[28:29], v[6:7]
	ds_read_b128 v[4:7], v55 offset:7936
	s_waitcnt lgkmcnt(0)
	v_mul_f64 v[24:25], v[22:23], v[6:7]
	v_fma_f64 v[24:25], v[20:21], v[4:5], -v[24:25]
	v_mul_f64 v[20:21], v[20:21], v[6:7]
	v_fma_f64 v[22:23], v[22:23], v[4:5], v[20:21]
	v_add_f64 v[20:21], v[44:45], v[24:25]
	v_add_f64 v[22:23], v[22:23], v[50:51]
	ds_read_b128 v[50:53], v1 offset:8432
	s_waitcnt lgkmcnt(0)
	v_mul_f64 v[24:25], v[52:53], v[10:11]
	v_mul_f64 v[10:11], v[50:51], v[10:11]
	v_fma_f64 v[24:25], v[50:51], v[8:9], -v[24:25]
	v_fma_f64 v[8:9], v[52:53], v[8:9], v[10:11]
	v_add_f64 v[24:25], v[16:17], v[24:25]
	v_add_f64 v[34:35], v[8:9], v[18:19]
	v_mul_f64 v[8:9], v[52:53], v[6:7]
	v_mul_f64 v[6:7], v[50:51], v[6:7]
	v_fma_f64 v[8:9], v[50:51], v[4:5], -v[8:9]
	v_fma_f64 v[4:5], v[52:53], v[4:5], v[6:7]
	v_add_f64 v[38:39], v[12:13], v[8:9]
	v_add_f64 v[40:41], v[4:5], v[14:15]
	ds_read_b128 v[8:11], v1 offset:256
	ds_read_b128 v[12:15], v55 offset:8192
	;; [unrolled: 1-line block ×3, first 2 shown]
	s_waitcnt lgkmcnt(1)
	v_mul_f64 v[4:5], v[10:11], v[14:15]
	v_mul_f64 v[6:7], v[8:9], v[14:15]
	v_fma_f64 v[4:5], v[8:9], v[12:13], -v[4:5]
	v_fma_f64 v[6:7], v[10:11], v[12:13], v[6:7]
	v_add_f64 v[4:5], v[26:27], v[4:5]
	s_waitcnt lgkmcnt(0)
	v_mul_f64 v[26:27], v[10:11], v[18:19]
	v_add_f64 v[6:7], v[6:7], v[28:29]
	v_fma_f64 v[26:27], v[8:9], v[16:17], -v[26:27]
	v_mul_f64 v[8:9], v[8:9], v[18:19]
	v_add_f64 v[42:43], v[20:21], v[26:27]
	v_fma_f64 v[8:9], v[10:11], v[16:17], v[8:9]
	v_add_f64 v[44:45], v[8:9], v[22:23]
	ds_read_b128 v[8:11], v1 offset:8448
	s_waitcnt lgkmcnt(0)
	v_mul_f64 v[20:21], v[10:11], v[14:15]
	v_mul_f64 v[14:15], v[8:9], v[14:15]
	v_fma_f64 v[20:21], v[8:9], v[12:13], -v[20:21]
	v_fma_f64 v[12:13], v[10:11], v[12:13], v[14:15]
	v_add_f64 v[20:21], v[24:25], v[20:21]
	v_add_f64 v[22:23], v[12:13], v[34:35]
	v_mul_f64 v[12:13], v[10:11], v[18:19]
	v_fma_f64 v[12:13], v[8:9], v[16:17], -v[12:13]
	v_mul_f64 v[8:9], v[8:9], v[18:19]
	v_fma_f64 v[8:9], v[10:11], v[16:17], v[8:9]
	v_add_f64 v[16:17], v[38:39], v[12:13]
	v_add_f64 v[18:19], v[8:9], v[40:41]
	ds_read_b128 v[12:15], v1 offset:272
	ds_read_b128 v[8:11], v55 offset:8704
	s_waitcnt lgkmcnt(0)
	v_mul_f64 v[24:25], v[14:15], v[10:11]
	v_mul_f64 v[26:27], v[12:13], v[10:11]
	v_fma_f64 v[24:25], v[12:13], v[8:9], -v[24:25]
	v_fma_f64 v[28:29], v[14:15], v[8:9], v[26:27]
	v_add_f64 v[26:27], v[4:5], v[24:25]
	v_add_f64 v[28:29], v[28:29], v[6:7]
	ds_read_b128 v[4:7], v55 offset:8960
	s_waitcnt lgkmcnt(0)
	v_mul_f64 v[24:25], v[14:15], v[6:7]
	v_fma_f64 v[24:25], v[12:13], v[4:5], -v[24:25]
	v_mul_f64 v[12:13], v[12:13], v[6:7]
	v_add_f64 v[34:35], v[42:43], v[24:25]
	v_fma_f64 v[12:13], v[14:15], v[4:5], v[12:13]
	v_add_f64 v[58:59], v[12:13], v[44:45]
	ds_read_b128 v[12:15], v1 offset:8464
	s_waitcnt lgkmcnt(0)
	v_mul_f64 v[24:25], v[14:15], v[10:11]
	v_mul_f64 v[10:11], v[12:13], v[10:11]
	v_fma_f64 v[24:25], v[12:13], v[8:9], -v[24:25]
	v_fma_f64 v[8:9], v[14:15], v[8:9], v[10:11]
	v_add_f64 v[20:21], v[20:21], v[24:25]
	v_add_f64 v[22:23], v[8:9], v[22:23]
	v_mul_f64 v[8:9], v[14:15], v[6:7]
	v_mul_f64 v[6:7], v[12:13], v[6:7]
	v_fma_f64 v[8:9], v[12:13], v[4:5], -v[8:9]
	v_fma_f64 v[4:5], v[14:15], v[4:5], v[6:7]
	v_add_f64 v[24:25], v[16:17], v[8:9]
	ds_read_b128 v[8:11], v1 offset:288
	ds_read_b128 v[12:15], v55 offset:9216
	v_add_f64 v[38:39], v[4:5], v[18:19]
	ds_read_b128 v[16:19], v55 offset:9472
	s_waitcnt lgkmcnt(1)
	v_mul_f64 v[4:5], v[10:11], v[14:15]
	v_mul_f64 v[6:7], v[8:9], v[14:15]
	v_fma_f64 v[4:5], v[8:9], v[12:13], -v[4:5]
	v_fma_f64 v[6:7], v[10:11], v[12:13], v[6:7]
	v_add_f64 v[4:5], v[26:27], v[4:5]
	s_waitcnt lgkmcnt(0)
	v_mul_f64 v[26:27], v[10:11], v[18:19]
	v_add_f64 v[6:7], v[6:7], v[28:29]
	v_fma_f64 v[26:27], v[8:9], v[16:17], -v[26:27]
	v_mul_f64 v[8:9], v[8:9], v[18:19]
	v_add_f64 v[34:35], v[34:35], v[26:27]
	v_fma_f64 v[8:9], v[10:11], v[16:17], v[8:9]
	v_add_f64 v[40:41], v[8:9], v[58:59]
	ds_read_b128 v[8:11], v1 offset:8480
	s_waitcnt lgkmcnt(0)
	v_mul_f64 v[26:27], v[10:11], v[14:15]
	v_mul_f64 v[14:15], v[8:9], v[14:15]
	v_fma_f64 v[26:27], v[8:9], v[12:13], -v[26:27]
	v_fma_f64 v[12:13], v[10:11], v[12:13], v[14:15]
	v_add_f64 v[20:21], v[20:21], v[26:27]
	v_add_f64 v[22:23], v[12:13], v[22:23]
	v_mul_f64 v[12:13], v[10:11], v[18:19]
	v_fma_f64 v[12:13], v[8:9], v[16:17], -v[12:13]
	v_mul_f64 v[8:9], v[8:9], v[18:19]
	v_fma_f64 v[8:9], v[10:11], v[16:17], v[8:9]
	v_add_f64 v[16:17], v[24:25], v[12:13]
	v_add_f64 v[18:19], v[8:9], v[38:39]
	ds_read_b128 v[12:15], v1 offset:304
	ds_read_b128 v[8:11], v55 offset:9728
	s_waitcnt lgkmcnt(0)
	v_mul_f64 v[24:25], v[14:15], v[10:11]
	v_mul_f64 v[26:27], v[12:13], v[10:11]
	v_fma_f64 v[24:25], v[12:13], v[8:9], -v[24:25]
	v_fma_f64 v[28:29], v[14:15], v[8:9], v[26:27]
	v_add_f64 v[26:27], v[4:5], v[24:25]
	v_add_f64 v[28:29], v[28:29], v[6:7]
	ds_read_b128 v[4:7], v55 offset:9984
	s_waitcnt lgkmcnt(0)
	v_mul_f64 v[24:25], v[14:15], v[6:7]
	v_fma_f64 v[24:25], v[12:13], v[4:5], -v[24:25]
	v_mul_f64 v[12:13], v[12:13], v[6:7]
	v_add_f64 v[34:35], v[34:35], v[24:25]
	v_fma_f64 v[12:13], v[14:15], v[4:5], v[12:13]
	v_add_f64 v[58:59], v[12:13], v[40:41]
	ds_read_b128 v[12:15], v1 offset:8496
	s_waitcnt lgkmcnt(0)
	v_mul_f64 v[24:25], v[14:15], v[10:11]
	v_mul_f64 v[10:11], v[12:13], v[10:11]
	v_fma_f64 v[24:25], v[12:13], v[8:9], -v[24:25]
	v_fma_f64 v[8:9], v[14:15], v[8:9], v[10:11]
	v_add_f64 v[20:21], v[20:21], v[24:25]
	v_add_f64 v[22:23], v[8:9], v[22:23]
	v_mul_f64 v[8:9], v[14:15], v[6:7]
	v_mul_f64 v[6:7], v[12:13], v[6:7]
	v_fma_f64 v[8:9], v[12:13], v[4:5], -v[8:9]
	v_fma_f64 v[4:5], v[14:15], v[4:5], v[6:7]
	v_add_f64 v[24:25], v[16:17], v[8:9]
	ds_read_b128 v[8:11], v1 offset:320
	ds_read_b128 v[12:15], v55 offset:10240
	v_add_f64 v[38:39], v[4:5], v[18:19]
	ds_read_b128 v[16:19], v55 offset:10496
	s_waitcnt lgkmcnt(1)
	v_mul_f64 v[4:5], v[10:11], v[14:15]
	v_mul_f64 v[6:7], v[8:9], v[14:15]
	v_fma_f64 v[4:5], v[8:9], v[12:13], -v[4:5]
	v_fma_f64 v[6:7], v[10:11], v[12:13], v[6:7]
	v_add_f64 v[4:5], v[26:27], v[4:5]
	s_waitcnt lgkmcnt(0)
	v_mul_f64 v[26:27], v[10:11], v[18:19]
	v_add_f64 v[6:7], v[6:7], v[28:29]
	v_fma_f64 v[26:27], v[8:9], v[16:17], -v[26:27]
	v_mul_f64 v[8:9], v[8:9], v[18:19]
	v_add_f64 v[28:29], v[34:35], v[26:27]
	v_fma_f64 v[8:9], v[10:11], v[16:17], v[8:9]
	v_add_f64 v[40:41], v[8:9], v[58:59]
	ds_read_b128 v[8:11], v1 offset:8512
	s_waitcnt lgkmcnt(0)
	v_mul_f64 v[26:27], v[10:11], v[14:15]
	v_mul_f64 v[14:15], v[8:9], v[14:15]
	v_fma_f64 v[26:27], v[8:9], v[12:13], -v[26:27]
	v_fma_f64 v[12:13], v[10:11], v[12:13], v[14:15]
	v_add_f64 v[20:21], v[20:21], v[26:27]
	v_add_f64 v[22:23], v[12:13], v[22:23]
	v_mul_f64 v[12:13], v[10:11], v[18:19]
	v_fma_f64 v[12:13], v[8:9], v[16:17], -v[12:13]
	v_mul_f64 v[8:9], v[8:9], v[18:19]
	v_fma_f64 v[8:9], v[10:11], v[16:17], v[8:9]
	v_add_f64 v[16:17], v[24:25], v[12:13]
	v_add_f64 v[18:19], v[8:9], v[38:39]
	ds_read_b128 v[12:15], v1 offset:336
	ds_read_b128 v[8:11], v55 offset:10752
	s_waitcnt lgkmcnt(0)
	v_mul_f64 v[24:25], v[14:15], v[10:11]
	v_mul_f64 v[26:27], v[12:13], v[10:11]
	v_fma_f64 v[24:25], v[12:13], v[8:9], -v[24:25]
	v_fma_f64 v[26:27], v[14:15], v[8:9], v[26:27]
	v_add_f64 v[24:25], v[4:5], v[24:25]
	v_add_f64 v[26:27], v[26:27], v[6:7]
	ds_read_b128 v[4:7], v55 offset:11008
	s_waitcnt lgkmcnt(0)
	v_mul_f64 v[34:35], v[14:15], v[6:7]
	v_fma_f64 v[34:35], v[12:13], v[4:5], -v[34:35]
	v_mul_f64 v[12:13], v[12:13], v[6:7]
	v_add_f64 v[34:35], v[28:29], v[34:35]
	v_fma_f64 v[12:13], v[14:15], v[4:5], v[12:13]
	v_add_f64 v[58:59], v[12:13], v[40:41]
	ds_read_b128 v[12:15], v1 offset:8528
	s_waitcnt lgkmcnt(0)
	v_mul_f64 v[28:29], v[14:15], v[10:11]
	v_mul_f64 v[10:11], v[12:13], v[10:11]
	v_fma_f64 v[28:29], v[12:13], v[8:9], -v[28:29]
	v_fma_f64 v[8:9], v[14:15], v[8:9], v[10:11]
	v_add_f64 v[20:21], v[20:21], v[28:29]
	v_add_f64 v[22:23], v[8:9], v[22:23]
	v_mul_f64 v[8:9], v[14:15], v[6:7]
	v_mul_f64 v[6:7], v[12:13], v[6:7]
	v_fma_f64 v[8:9], v[12:13], v[4:5], -v[8:9]
	v_fma_f64 v[4:5], v[14:15], v[4:5], v[6:7]
	v_add_f64 v[28:29], v[16:17], v[8:9]
	v_add_f64 v[38:39], v[4:5], v[18:19]
	ds_read_b128 v[4:7], v1 offset:352
	ds_read_b128 v[12:15], v55 offset:11264
	;; [unrolled: 1-line block ×3, first 2 shown]
	s_waitcnt lgkmcnt(1)
	v_mul_f64 v[8:9], v[6:7], v[14:15]
	v_mul_f64 v[10:11], v[4:5], v[14:15]
	v_fma_f64 v[8:9], v[4:5], v[12:13], -v[8:9]
	v_fma_f64 v[10:11], v[6:7], v[12:13], v[10:11]
	v_add_f64 v[8:9], v[24:25], v[8:9]
	s_waitcnt lgkmcnt(0)
	v_mul_f64 v[24:25], v[6:7], v[18:19]
	v_add_f64 v[10:11], v[10:11], v[26:27]
	v_fma_f64 v[24:25], v[4:5], v[16:17], -v[24:25]
	v_mul_f64 v[4:5], v[4:5], v[18:19]
	v_add_f64 v[24:25], v[34:35], v[24:25]
	v_fma_f64 v[4:5], v[6:7], v[16:17], v[4:5]
	v_add_f64 v[34:35], v[4:5], v[58:59]
	ds_read_b128 v[4:7], v1 offset:8544
	s_waitcnt lgkmcnt(0)
	v_mul_f64 v[26:27], v[6:7], v[14:15]
	v_mul_f64 v[14:15], v[4:5], v[14:15]
	v_fma_f64 v[26:27], v[4:5], v[12:13], -v[26:27]
	v_fma_f64 v[14:15], v[6:7], v[12:13], v[14:15]
	v_add_f64 v[12:13], v[20:21], v[26:27]
	v_mul_f64 v[20:21], v[6:7], v[18:19]
	v_add_f64 v[14:15], v[14:15], v[22:23]
	v_fma_f64 v[20:21], v[4:5], v[16:17], -v[20:21]
	v_mul_f64 v[4:5], v[4:5], v[18:19]
	v_fma_f64 v[4:5], v[6:7], v[16:17], v[4:5]
	v_add_f64 v[16:17], v[28:29], v[20:21]
	v_add_f64 v[18:19], v[4:5], v[38:39]
	ds_read_b128 v[20:23], v1 offset:368
	ds_read_b128 v[4:7], v55 offset:11776
	;; [unrolled: 1-line block ×3, first 2 shown]
	s_waitcnt lgkmcnt(1)
	v_mul_f64 v[26:27], v[22:23], v[6:7]
	v_mul_f64 v[28:29], v[20:21], v[6:7]
	v_fma_f64 v[26:27], v[20:21], v[4:5], -v[26:27]
	v_fma_f64 v[28:29], v[22:23], v[4:5], v[28:29]
	v_add_f64 v[26:27], v[8:9], v[26:27]
	v_add_f64 v[28:29], v[28:29], v[10:11]
	ds_read_b128 v[8:11], v55 offset:12032
	s_waitcnt lgkmcnt(0)
	v_mul_f64 v[38:39], v[22:23], v[10:11]
	v_fma_f64 v[38:39], v[20:21], v[8:9], -v[38:39]
	v_mul_f64 v[20:21], v[20:21], v[10:11]
	v_fma_f64 v[22:23], v[22:23], v[8:9], v[20:21]
	v_add_f64 v[20:21], v[24:25], v[38:39]
	v_mul_f64 v[24:25], v[52:53], v[6:7]
	v_mul_f64 v[6:7], v[50:51], v[6:7]
	v_add_f64 v[22:23], v[22:23], v[34:35]
	v_fma_f64 v[24:25], v[50:51], v[4:5], -v[24:25]
	v_fma_f64 v[4:5], v[52:53], v[4:5], v[6:7]
	v_mul_f64 v[6:7], v[50:51], v[10:11]
	v_add_f64 v[34:35], v[12:13], v[24:25]
	v_add_f64 v[38:39], v[4:5], v[14:15]
	v_mul_f64 v[4:5], v[52:53], v[10:11]
	v_fma_f64 v[6:7], v[52:53], v[8:9], v[6:7]
	v_fma_f64 v[4:5], v[50:51], v[8:9], -v[4:5]
	ds_read_b128 v[8:11], v1 offset:384
	ds_read_b128 v[12:15], v55 offset:12288
	v_add_f64 v[42:43], v[6:7], v[18:19]
	s_waitcnt lgkmcnt(0)
	v_mul_f64 v[6:7], v[8:9], v[14:15]
	v_add_f64 v[40:41], v[16:17], v[4:5]
	v_mul_f64 v[4:5], v[10:11], v[14:15]
	v_fma_f64 v[6:7], v[10:11], v[12:13], v[6:7]
	v_fma_f64 v[4:5], v[8:9], v[12:13], -v[4:5]
	v_add_f64 v[6:7], v[6:7], v[28:29]
	v_add_f64 v[4:5], v[26:27], v[4:5]
	ds_read_b128 v[24:27], v55 offset:12544
	s_waitcnt lgkmcnt(0)
	v_mul_f64 v[16:17], v[10:11], v[26:27]
	v_fma_f64 v[16:17], v[8:9], v[24:25], -v[16:17]
	v_mul_f64 v[8:9], v[8:9], v[26:27]
	v_add_f64 v[44:45], v[20:21], v[16:17]
	v_fma_f64 v[8:9], v[10:11], v[24:25], v[8:9]
	v_add_f64 v[50:51], v[8:9], v[22:23]
	ds_read_b128 v[8:11], v1 offset:8576
	s_waitcnt lgkmcnt(0)
	v_mul_f64 v[16:17], v[10:11], v[14:15]
	v_mul_f64 v[14:15], v[8:9], v[14:15]
	v_fma_f64 v[16:17], v[8:9], v[12:13], -v[16:17]
	v_fma_f64 v[12:13], v[10:11], v[12:13], v[14:15]
	v_add_f64 v[16:17], v[34:35], v[16:17]
	v_add_f64 v[18:19], v[12:13], v[38:39]
	v_mul_f64 v[12:13], v[10:11], v[26:27]
	v_fma_f64 v[12:13], v[8:9], v[24:25], -v[12:13]
	v_mul_f64 v[8:9], v[8:9], v[26:27]
	v_add_f64 v[12:13], v[40:41], v[12:13]
	v_fma_f64 v[8:9], v[10:11], v[24:25], v[8:9]
	v_add_f64 v[14:15], v[8:9], v[42:43]
	ds_read_b128 v[20:23], v1 offset:400
	ds_read_b128 v[8:11], v55 offset:12800
	s_waitcnt lgkmcnt(0)
	v_mul_f64 v[24:25], v[22:23], v[10:11]
	v_mul_f64 v[26:27], v[20:21], v[10:11]
	v_fma_f64 v[24:25], v[20:21], v[8:9], -v[24:25]
	v_fma_f64 v[28:29], v[22:23], v[8:9], v[26:27]
	v_add_f64 v[26:27], v[4:5], v[24:25]
	v_add_f64 v[28:29], v[28:29], v[6:7]
	ds_read_b128 v[4:7], v55 offset:13056
	s_waitcnt lgkmcnt(0)
	v_mul_f64 v[24:25], v[22:23], v[6:7]
	v_fma_f64 v[24:25], v[20:21], v[4:5], -v[24:25]
	v_mul_f64 v[20:21], v[20:21], v[6:7]
	v_fma_f64 v[22:23], v[22:23], v[4:5], v[20:21]
	v_add_f64 v[20:21], v[44:45], v[24:25]
	v_add_f64 v[22:23], v[22:23], v[50:51]
	ds_read_b128 v[50:53], v1 offset:8592
	s_waitcnt lgkmcnt(0)
	v_mul_f64 v[24:25], v[52:53], v[10:11]
	v_mul_f64 v[10:11], v[50:51], v[10:11]
	v_fma_f64 v[24:25], v[50:51], v[8:9], -v[24:25]
	v_fma_f64 v[8:9], v[52:53], v[8:9], v[10:11]
	v_add_f64 v[24:25], v[16:17], v[24:25]
	v_add_f64 v[34:35], v[8:9], v[18:19]
	v_mul_f64 v[8:9], v[52:53], v[6:7]
	v_mul_f64 v[6:7], v[50:51], v[6:7]
	v_fma_f64 v[8:9], v[50:51], v[4:5], -v[8:9]
	v_fma_f64 v[4:5], v[52:53], v[4:5], v[6:7]
	v_add_f64 v[38:39], v[12:13], v[8:9]
	v_add_f64 v[40:41], v[4:5], v[14:15]
	ds_read_b128 v[8:11], v1 offset:416
	ds_read_b128 v[12:15], v55 offset:13312
	;; [unrolled: 1-line block ×3, first 2 shown]
	s_waitcnt lgkmcnt(1)
	v_mul_f64 v[4:5], v[10:11], v[14:15]
	v_mul_f64 v[6:7], v[8:9], v[14:15]
	v_fma_f64 v[4:5], v[8:9], v[12:13], -v[4:5]
	v_fma_f64 v[6:7], v[10:11], v[12:13], v[6:7]
	v_add_f64 v[4:5], v[26:27], v[4:5]
	s_waitcnt lgkmcnt(0)
	v_mul_f64 v[26:27], v[10:11], v[18:19]
	v_add_f64 v[6:7], v[6:7], v[28:29]
	v_fma_f64 v[26:27], v[8:9], v[16:17], -v[26:27]
	v_mul_f64 v[8:9], v[8:9], v[18:19]
	v_add_f64 v[42:43], v[20:21], v[26:27]
	v_fma_f64 v[8:9], v[10:11], v[16:17], v[8:9]
	v_add_f64 v[44:45], v[8:9], v[22:23]
	ds_read_b128 v[8:11], v1 offset:8608
	s_waitcnt lgkmcnt(0)
	v_mul_f64 v[20:21], v[10:11], v[14:15]
	v_mul_f64 v[14:15], v[8:9], v[14:15]
	v_fma_f64 v[20:21], v[8:9], v[12:13], -v[20:21]
	v_fma_f64 v[12:13], v[10:11], v[12:13], v[14:15]
	v_add_f64 v[20:21], v[24:25], v[20:21]
	v_add_f64 v[22:23], v[12:13], v[34:35]
	v_mul_f64 v[12:13], v[10:11], v[18:19]
	v_fma_f64 v[12:13], v[8:9], v[16:17], -v[12:13]
	v_mul_f64 v[8:9], v[8:9], v[18:19]
	v_fma_f64 v[8:9], v[10:11], v[16:17], v[8:9]
	v_add_f64 v[16:17], v[38:39], v[12:13]
	v_add_f64 v[18:19], v[8:9], v[40:41]
	ds_read_b128 v[12:15], v1 offset:432
	ds_read_b128 v[8:11], v55 offset:13824
	s_waitcnt lgkmcnt(0)
	v_mul_f64 v[24:25], v[14:15], v[10:11]
	v_mul_f64 v[26:27], v[12:13], v[10:11]
	v_fma_f64 v[24:25], v[12:13], v[8:9], -v[24:25]
	v_fma_f64 v[28:29], v[14:15], v[8:9], v[26:27]
	v_add_f64 v[26:27], v[4:5], v[24:25]
	v_add_f64 v[28:29], v[28:29], v[6:7]
	ds_read_b128 v[4:7], v55 offset:14080
	s_waitcnt lgkmcnt(0)
	v_mul_f64 v[24:25], v[14:15], v[6:7]
	v_fma_f64 v[24:25], v[12:13], v[4:5], -v[24:25]
	v_mul_f64 v[12:13], v[12:13], v[6:7]
	v_add_f64 v[34:35], v[42:43], v[24:25]
	v_fma_f64 v[12:13], v[14:15], v[4:5], v[12:13]
	v_add_f64 v[58:59], v[12:13], v[44:45]
	ds_read_b128 v[12:15], v1 offset:8624
	s_waitcnt lgkmcnt(0)
	v_mul_f64 v[24:25], v[14:15], v[10:11]
	v_mul_f64 v[10:11], v[12:13], v[10:11]
	v_fma_f64 v[24:25], v[12:13], v[8:9], -v[24:25]
	v_fma_f64 v[8:9], v[14:15], v[8:9], v[10:11]
	v_add_f64 v[20:21], v[20:21], v[24:25]
	v_add_f64 v[22:23], v[8:9], v[22:23]
	v_mul_f64 v[8:9], v[14:15], v[6:7]
	v_mul_f64 v[6:7], v[12:13], v[6:7]
	v_fma_f64 v[8:9], v[12:13], v[4:5], -v[8:9]
	v_fma_f64 v[4:5], v[14:15], v[4:5], v[6:7]
	v_add_f64 v[24:25], v[16:17], v[8:9]
	ds_read_b128 v[8:11], v1 offset:448
	ds_read_b128 v[12:15], v55 offset:14336
	v_add_f64 v[38:39], v[4:5], v[18:19]
	ds_read_b128 v[16:19], v55 offset:14592
	s_waitcnt lgkmcnt(1)
	v_mul_f64 v[4:5], v[10:11], v[14:15]
	v_mul_f64 v[6:7], v[8:9], v[14:15]
	v_fma_f64 v[4:5], v[8:9], v[12:13], -v[4:5]
	v_fma_f64 v[6:7], v[10:11], v[12:13], v[6:7]
	v_add_f64 v[4:5], v[26:27], v[4:5]
	s_waitcnt lgkmcnt(0)
	v_mul_f64 v[26:27], v[10:11], v[18:19]
	v_add_f64 v[6:7], v[6:7], v[28:29]
	v_fma_f64 v[26:27], v[8:9], v[16:17], -v[26:27]
	v_mul_f64 v[8:9], v[8:9], v[18:19]
	v_add_f64 v[34:35], v[34:35], v[26:27]
	v_fma_f64 v[8:9], v[10:11], v[16:17], v[8:9]
	v_add_f64 v[40:41], v[8:9], v[58:59]
	ds_read_b128 v[8:11], v1 offset:8640
	s_waitcnt lgkmcnt(0)
	v_mul_f64 v[26:27], v[10:11], v[14:15]
	v_mul_f64 v[14:15], v[8:9], v[14:15]
	v_fma_f64 v[26:27], v[8:9], v[12:13], -v[26:27]
	v_fma_f64 v[12:13], v[10:11], v[12:13], v[14:15]
	v_add_f64 v[20:21], v[20:21], v[26:27]
	v_add_f64 v[22:23], v[12:13], v[22:23]
	v_mul_f64 v[12:13], v[10:11], v[18:19]
	v_fma_f64 v[12:13], v[8:9], v[16:17], -v[12:13]
	v_mul_f64 v[8:9], v[8:9], v[18:19]
	v_fma_f64 v[8:9], v[10:11], v[16:17], v[8:9]
	v_add_f64 v[16:17], v[24:25], v[12:13]
	v_add_f64 v[18:19], v[8:9], v[38:39]
	ds_read_b128 v[12:15], v1 offset:464
	ds_read_b128 v[8:11], v55 offset:14848
	s_waitcnt lgkmcnt(0)
	v_mul_f64 v[24:25], v[14:15], v[10:11]
	v_mul_f64 v[26:27], v[12:13], v[10:11]
	v_fma_f64 v[24:25], v[12:13], v[8:9], -v[24:25]
	v_fma_f64 v[28:29], v[14:15], v[8:9], v[26:27]
	v_add_f64 v[26:27], v[4:5], v[24:25]
	v_add_f64 v[28:29], v[28:29], v[6:7]
	ds_read_b128 v[4:7], v55 offset:15104
	s_waitcnt lgkmcnt(0)
	v_mul_f64 v[24:25], v[14:15], v[6:7]
	v_fma_f64 v[24:25], v[12:13], v[4:5], -v[24:25]
	v_mul_f64 v[12:13], v[12:13], v[6:7]
	v_add_f64 v[34:35], v[34:35], v[24:25]
	v_fma_f64 v[12:13], v[14:15], v[4:5], v[12:13]
	v_add_f64 v[58:59], v[12:13], v[40:41]
	ds_read_b128 v[12:15], v1 offset:8656
	s_waitcnt lgkmcnt(0)
	v_mul_f64 v[24:25], v[14:15], v[10:11]
	v_mul_f64 v[10:11], v[12:13], v[10:11]
	v_fma_f64 v[24:25], v[12:13], v[8:9], -v[24:25]
	v_fma_f64 v[8:9], v[14:15], v[8:9], v[10:11]
	v_add_f64 v[20:21], v[20:21], v[24:25]
	v_add_f64 v[22:23], v[8:9], v[22:23]
	v_mul_f64 v[8:9], v[14:15], v[6:7]
	v_mul_f64 v[6:7], v[12:13], v[6:7]
	v_fma_f64 v[8:9], v[12:13], v[4:5], -v[8:9]
	v_fma_f64 v[4:5], v[14:15], v[4:5], v[6:7]
	v_add_f64 v[24:25], v[16:17], v[8:9]
	ds_read_b128 v[8:11], v1 offset:480
	ds_read_b128 v[12:15], v55 offset:15360
	v_add_f64 v[38:39], v[4:5], v[18:19]
	ds_read_b128 v[16:19], v55 offset:15616
	s_waitcnt lgkmcnt(1)
	v_mul_f64 v[4:5], v[10:11], v[14:15]
	v_mul_f64 v[6:7], v[8:9], v[14:15]
	v_fma_f64 v[4:5], v[8:9], v[12:13], -v[4:5]
	v_fma_f64 v[6:7], v[10:11], v[12:13], v[6:7]
	v_add_f64 v[4:5], v[26:27], v[4:5]
	s_waitcnt lgkmcnt(0)
	v_mul_f64 v[26:27], v[10:11], v[18:19]
	v_add_f64 v[6:7], v[6:7], v[28:29]
	v_fma_f64 v[26:27], v[8:9], v[16:17], -v[26:27]
	v_mul_f64 v[8:9], v[8:9], v[18:19]
	v_add_f64 v[28:29], v[34:35], v[26:27]
	v_fma_f64 v[8:9], v[10:11], v[16:17], v[8:9]
	v_add_f64 v[40:41], v[8:9], v[58:59]
	ds_read_b128 v[8:11], v1 offset:8672
	s_waitcnt lgkmcnt(0)
	v_mul_f64 v[26:27], v[10:11], v[14:15]
	v_mul_f64 v[14:15], v[8:9], v[14:15]
	v_fma_f64 v[26:27], v[8:9], v[12:13], -v[26:27]
	v_fma_f64 v[12:13], v[10:11], v[12:13], v[14:15]
	v_add_f64 v[34:35], v[20:21], v[26:27]
	v_add_f64 v[26:27], v[12:13], v[22:23]
	v_mul_f64 v[12:13], v[10:11], v[18:19]
	v_fma_f64 v[12:13], v[8:9], v[16:17], -v[12:13]
	v_mul_f64 v[8:9], v[8:9], v[18:19]
	v_add_f64 v[20:21], v[24:25], v[12:13]
	v_fma_f64 v[8:9], v[10:11], v[16:17], v[8:9]
	v_add_f64 v[22:23], v[8:9], v[38:39]
	ds_read_b128 v[12:15], v1 offset:496
	ds_read_b128 v[8:11], v55 offset:15872
	s_waitcnt lgkmcnt(0)
	v_mul_f64 v[16:17], v[14:15], v[10:11]
	v_mul_f64 v[18:19], v[12:13], v[10:11]
	v_fma_f64 v[16:17], v[12:13], v[8:9], -v[16:17]
	v_fma_f64 v[18:19], v[14:15], v[8:9], v[18:19]
	v_add_f64 v[58:59], v[4:5], v[16:17]
	v_add_f64 v[60:61], v[18:19], v[6:7]
	ds_read_b128 v[4:7], v55 offset:16128
	s_waitcnt lgkmcnt(0)
	v_mul_f64 v[16:17], v[14:15], v[6:7]
	v_fma_f64 v[16:17], v[12:13], v[4:5], -v[16:17]
	v_mul_f64 v[12:13], v[12:13], v[6:7]
	v_add_f64 v[16:17], v[28:29], v[16:17]
	v_fma_f64 v[12:13], v[14:15], v[4:5], v[12:13]
	v_add_f64 v[18:19], v[12:13], v[40:41]
	ds_read_b128 v[12:15], v1 offset:8688
	s_waitcnt lgkmcnt(0)
	s_barrier
	v_mul_f64 v[24:25], v[14:15], v[10:11]
	v_mul_f64 v[10:11], v[12:13], v[10:11]
	v_fma_f64 v[24:25], v[12:13], v[8:9], -v[24:25]
	v_fma_f64 v[8:9], v[14:15], v[8:9], v[10:11]
	v_add_f64 v[62:63], v[34:35], v[24:25]
	v_add_f64 v[34:35], v[8:9], v[26:27]
	v_mul_f64 v[8:9], v[14:15], v[6:7]
	v_mul_f64 v[6:7], v[12:13], v[6:7]
	v_fma_f64 v[8:9], v[12:13], v[4:5], -v[8:9]
	v_fma_f64 v[4:5], v[14:15], v[4:5], v[6:7]
	v_add_f64 v[14:15], v[20:21], v[8:9]
	v_add_f64 v[12:13], v[4:5], v[22:23]
	s_cbranch_scc1 .LBB131_56
.LBB131_7:                              ;   Parent Loop BB131_4 Depth=1
                                        ; =>  This Inner Loop Header: Depth=2
	buffer_load_dword v4, off, s[64:67], 0  ; 4-byte Folded Reload
	buffer_load_dword v5, off, s[64:67], 0 offset:4 ; 4-byte Folded Reload
	v_mov_b32_e32 v0, s43
	v_add_co_u32_e64 v8, s[10:11], s42, v30
	v_addc_co_u32_e64 v9, s[10:11], v31, v0, s[10:11]
	s_waitcnt vmcnt(0)
	v_cmp_eq_u64_e64 s[10:11], s[42:43], v[4:5]
	v_lshlrev_b64 v[4:5], 4, v[32:33]
	s_and_b64 s[52:53], s[22:23], s[10:11]
	v_add_co_u32_e64 v6, s[12:13], v46, v4
	v_addc_co_u32_e64 v7, s[12:13], v47, v5, s[12:13]
	v_cmp_lt_i64_e64 s[10:11], v[8:9], v[36:37]
	v_cmp_le_i64_e64 s[12:13], s[54:55], v[8:9]
	s_or_b64 s[14:15], vcc, s[10:11]
	s_or_b64 s[14:15], s[12:13], s[14:15]
	s_nor_b64 s[14:15], s[14:15], s[52:53]
	s_and_saveexec_b64 s[18:19], s[14:15]
	s_xor_b64 s[14:15], exec, s[18:19]
	s_cbranch_execz .LBB131_9
; %bb.8:                                ;   in Loop: Header=BB131_7 Depth=2
	global_load_dwordx4 v[20:23], v[6:7], off
	s_waitcnt vmcnt(0)
	v_xor_b32_e32 v23, 0x80000000, v23
	ds_write_b128 v54, v[20:23]
.LBB131_9:                              ;   in Loop: Header=BB131_7 Depth=2
	s_or_saveexec_b64 s[14:15], s[14:15]
	s_xor_b64 s[50:51], s[52:53], -1
	s_xor_b64 exec, exec, s[14:15]
	s_cbranch_execz .LBB131_15
; %bb.10:                               ;   in Loop: Header=BB131_7 Depth=2
	s_and_saveexec_b64 s[18:19], s[50:51]
	s_xor_b64 s[18:19], exec, s[18:19]
; %bb.11:                               ;   in Loop: Header=BB131_7 Depth=2
	v_mov_b32_e32 v20, v2
	v_mov_b32_e32 v21, v2
	;; [unrolled: 1-line block ×4, first 2 shown]
	ds_write_b128 v54, v[20:23]
; %bb.12:                               ;   in Loop: Header=BB131_7 Depth=2
	s_andn2_saveexec_b64 s[18:19], s[18:19]
; %bb.13:                               ;   in Loop: Header=BB131_7 Depth=2
	v_mov_b32_e32 v4, v2
	v_mov_b32_e32 v5, v2
	ds_write_b128 v54, v[2:5]
; %bb.14:                               ;   in Loop: Header=BB131_7 Depth=2
	s_or_b64 exec, exec, s[18:19]
.LBB131_15:                             ;   in Loop: Header=BB131_7 Depth=2
	s_or_b64 exec, exec, s[14:15]
	buffer_load_dword v4, off, s[64:67], 0 offset:40 ; 4-byte Folded Reload
	buffer_load_dword v5, off, s[64:67], 0 offset:44 ; 4-byte Folded Reload
	s_waitcnt vmcnt(0)
	v_cmp_eq_u64_e64 s[14:15], s[42:43], v[4:5]
	v_add_co_u32_e64 v4, s[18:19], 16, v8
	v_addc_co_u32_e64 v5, s[18:19], 0, v9, s[18:19]
	v_cmp_lt_i64_e64 s[18:19], v[4:5], v[36:37]
	s_and_b64 s[20:21], s[22:23], s[14:15]
	v_cmp_le_i64_e64 s[14:15], s[54:55], v[4:5]
	s_or_b64 s[18:19], vcc, s[18:19]
	s_or_b64 s[18:19], s[14:15], s[18:19]
	s_nor_b64 s[18:19], s[18:19], s[20:21]
	s_and_saveexec_b64 s[56:57], s[18:19]
	s_xor_b64 s[56:57], exec, s[56:57]
	s_cbranch_execz .LBB131_17
; %bb.16:                               ;   in Loop: Header=BB131_7 Depth=2
	v_lshlrev_b64 v[4:5], 4, v[32:33]
	v_add_co_u32_e64 v4, s[18:19], v48, v4
	v_addc_co_u32_e64 v5, s[18:19], v49, v5, s[18:19]
	global_load_dwordx4 v[20:23], v[4:5], off
	s_waitcnt vmcnt(0)
	v_xor_b32_e32 v23, 0x80000000, v23
	ds_write_b128 v54, v[20:23] offset:256
.LBB131_17:                             ;   in Loop: Header=BB131_7 Depth=2
	s_andn2_saveexec_b64 s[18:19], s[56:57]
	s_cbranch_execz .LBB131_23
; %bb.18:                               ;   in Loop: Header=BB131_7 Depth=2
	s_xor_b64 s[20:21], s[20:21], -1
	s_and_saveexec_b64 s[56:57], s[20:21]
	s_xor_b64 s[20:21], exec, s[56:57]
; %bb.19:                               ;   in Loop: Header=BB131_7 Depth=2
	v_mov_b32_e32 v20, v2
	v_mov_b32_e32 v21, v2
	;; [unrolled: 1-line block ×4, first 2 shown]
	ds_write_b128 v54, v[20:23] offset:256
; %bb.20:                               ;   in Loop: Header=BB131_7 Depth=2
	s_andn2_saveexec_b64 s[20:21], s[20:21]
; %bb.21:                               ;   in Loop: Header=BB131_7 Depth=2
	v_mov_b32_e32 v4, v2
	v_mov_b32_e32 v5, v2
	ds_write_b128 v54, v[2:5] offset:256
; %bb.22:                               ;   in Loop: Header=BB131_7 Depth=2
	s_or_b64 exec, exec, s[20:21]
.LBB131_23:                             ;   in Loop: Header=BB131_7 Depth=2
	s_or_b64 exec, exec, s[18:19]
	buffer_load_dword v4, off, s[64:67], 0 offset:32 ; 4-byte Folded Reload
	buffer_load_dword v5, off, s[64:67], 0 offset:36 ; 4-byte Folded Reload
	s_waitcnt vmcnt(0)
	v_cmp_eq_u64_e64 s[18:19], s[42:43], v[4:5]
	buffer_load_dword v4, off, s[64:67], 0 offset:24 ; 4-byte Folded Reload
	buffer_load_dword v5, off, s[64:67], 0 offset:28 ; 4-byte Folded Reload
	s_and_b64 s[18:19], s[22:23], s[18:19]
	s_waitcnt vmcnt(0)
	v_cmp_lt_i64_e64 s[20:21], v[8:9], v[4:5]
	s_or_b64 s[20:21], s[8:9], s[20:21]
	s_or_b64 s[20:21], s[20:21], s[18:19]
	s_nor_b64 s[12:13], s[12:13], s[20:21]
	s_and_saveexec_b64 s[20:21], s[12:13]
	s_xor_b64 s[12:13], exec, s[20:21]
	s_cbranch_execz .LBB131_25
; %bb.24:                               ;   in Loop: Header=BB131_7 Depth=2
	global_load_dwordx4 v[4:7], v[6:7], off offset:256
	s_waitcnt vmcnt(0)
	v_xor_b32_e32 v7, 0x80000000, v7
	ds_write_b128 v54, v[4:7] offset:8192
.LBB131_25:                             ;   in Loop: Header=BB131_7 Depth=2
	s_andn2_saveexec_b64 s[12:13], s[12:13]
	s_cbranch_execz .LBB131_31
; %bb.26:                               ;   in Loop: Header=BB131_7 Depth=2
	s_xor_b64 s[18:19], s[18:19], -1
	s_and_saveexec_b64 s[20:21], s[18:19]
	s_xor_b64 s[18:19], exec, s[20:21]
; %bb.27:                               ;   in Loop: Header=BB131_7 Depth=2
	v_mov_b32_e32 v4, v2
	v_mov_b32_e32 v5, v2
	v_mov_b32_e32 v6, v2
	v_mov_b32_e32 v7, v2
	ds_write_b128 v54, v[4:7] offset:8192
; %bb.28:                               ;   in Loop: Header=BB131_7 Depth=2
	s_andn2_saveexec_b64 s[18:19], s[18:19]
; %bb.29:                               ;   in Loop: Header=BB131_7 Depth=2
	v_mov_b32_e32 v4, v2
	v_mov_b32_e32 v5, v2
	ds_write_b128 v54, v[2:5] offset:8192
; %bb.30:                               ;   in Loop: Header=BB131_7 Depth=2
	s_or_b64 exec, exec, s[18:19]
.LBB131_31:                             ;   in Loop: Header=BB131_7 Depth=2
	s_or_b64 exec, exec, s[12:13]
	s_or_b64 s[10:11], s[8:9], s[10:11]
	s_or_b64 s[10:11], s[14:15], s[10:11]
	s_nor_b64 s[10:11], s[10:11], s[52:53]
	s_and_saveexec_b64 s[12:13], s[10:11]
	s_xor_b64 s[12:13], exec, s[12:13]
	s_cbranch_execz .LBB131_33
; %bb.32:                               ;   in Loop: Header=BB131_7 Depth=2
	v_lshlrev_b64 v[4:5], 4, v[32:33]
	v_add_co_u32_e64 v4, s[10:11], v48, v4
	v_addc_co_u32_e64 v5, s[10:11], v49, v5, s[10:11]
	global_load_dwordx4 v[4:7], v[4:5], off offset:256
	s_waitcnt vmcnt(0)
	v_xor_b32_e32 v7, 0x80000000, v7
	ds_write_b128 v54, v[4:7] offset:8448
.LBB131_33:                             ;   in Loop: Header=BB131_7 Depth=2
	s_andn2_saveexec_b64 s[10:11], s[12:13]
	s_cbranch_execz .LBB131_39
; %bb.34:                               ;   in Loop: Header=BB131_7 Depth=2
	s_and_saveexec_b64 s[12:13], s[50:51]
	s_xor_b64 s[12:13], exec, s[12:13]
; %bb.35:                               ;   in Loop: Header=BB131_7 Depth=2
	v_mov_b32_e32 v4, v2
	v_mov_b32_e32 v5, v2
	;; [unrolled: 1-line block ×4, first 2 shown]
	ds_write_b128 v54, v[4:7] offset:8448
; %bb.36:                               ;   in Loop: Header=BB131_7 Depth=2
	s_andn2_saveexec_b64 s[12:13], s[12:13]
; %bb.37:                               ;   in Loop: Header=BB131_7 Depth=2
	v_mov_b32_e32 v4, v2
	v_mov_b32_e32 v5, v2
	ds_write_b128 v54, v[2:5] offset:8448
; %bb.38:                               ;   in Loop: Header=BB131_7 Depth=2
	s_or_b64 exec, exec, s[12:13]
.LBB131_39:                             ;   in Loop: Header=BB131_7 Depth=2
	s_or_b64 exec, exec, s[10:11]
	buffer_load_dword v6, off, s[64:67], 0 offset:8 ; 4-byte Folded Reload
	buffer_load_dword v7, off, s[64:67], 0 offset:12 ; 4-byte Folded Reload
	v_mov_b32_e32 v0, s43
	v_add_co_u32_e64 v4, s[10:11], s42, v32
	v_addc_co_u32_e64 v5, s[10:11], v33, v0, s[10:11]
	v_cmp_le_i64_e64 s[10:11], s[54:55], v[4:5]
	s_waitcnt vmcnt(1)
	v_add_co_u32_e64 v6, s[12:13], v56, v6
	s_waitcnt vmcnt(0)
	v_addc_co_u32_e64 v7, s[12:13], v57, v7, s[12:13]
	s_nor_b64 s[12:13], s[10:11], s[0:1]
	s_and_saveexec_b64 s[14:15], s[12:13]
	s_xor_b64 s[12:13], exec, s[14:15]
	s_cbranch_execz .LBB131_41
; %bb.40:                               ;   in Loop: Header=BB131_7 Depth=2
	global_load_dwordx4 v[8:11], v[6:7], off offset:-256
	v_add_u32_e32 v0, v55, v1
	s_waitcnt vmcnt(0)
	ds_write2_b64 v0, v[8:9], v[10:11] offset1:1
.LBB131_41:                             ;   in Loop: Header=BB131_7 Depth=2
	s_andn2_saveexec_b64 s[12:13], s[12:13]
	s_cbranch_execz .LBB131_43
; %bb.42:                               ;   in Loop: Header=BB131_7 Depth=2
	v_mov_b32_e32 v8, v2
	v_mov_b32_e32 v9, v2
	;; [unrolled: 1-line block ×4, first 2 shown]
	v_add_u32_e32 v0, v55, v1
	ds_write_b128 v0, v[8:11]
.LBB131_43:                             ;   in Loop: Header=BB131_7 Depth=2
	s_or_b64 exec, exec, s[12:13]
	s_nor_b64 s[10:11], s[10:11], s[2:3]
	s_and_saveexec_b64 s[12:13], s[10:11]
	s_xor_b64 s[10:11], exec, s[12:13]
	s_cbranch_execz .LBB131_45
; %bb.44:                               ;   in Loop: Header=BB131_7 Depth=2
	global_load_dwordx4 v[6:9], v[6:7], off
	v_add_u32_e32 v0, v55, v1
	v_add_u32_e32 v0, 0x100, v0
	s_waitcnt vmcnt(0)
	ds_write2_b64 v0, v[6:7], v[8:9] offset1:1
.LBB131_45:                             ;   in Loop: Header=BB131_7 Depth=2
	s_andn2_saveexec_b64 s[10:11], s[10:11]
	s_cbranch_execz .LBB131_47
; %bb.46:                               ;   in Loop: Header=BB131_7 Depth=2
	v_mov_b32_e32 v6, v2
	v_mov_b32_e32 v7, v2
	;; [unrolled: 1-line block ×4, first 2 shown]
	v_add_u32_e32 v0, v55, v1
	ds_write_b128 v0, v[6:9] offset:256
.LBB131_47:                             ;   in Loop: Header=BB131_7 Depth=2
	s_or_b64 exec, exec, s[10:11]
	v_cmp_le_i64_e64 s[10:11], s[44:45], v[4:5]
	buffer_load_dword v4, off, s[64:67], 0 offset:16 ; 4-byte Folded Reload
	buffer_load_dword v5, off, s[64:67], 0 offset:20 ; 4-byte Folded Reload
	s_waitcnt vmcnt(1)
	v_add_co_u32_e64 v4, s[12:13], v56, v4
	s_waitcnt vmcnt(0)
	v_addc_co_u32_e64 v5, s[12:13], v57, v5, s[12:13]
	s_nor_b64 s[12:13], s[10:11], s[0:1]
	s_and_saveexec_b64 s[14:15], s[12:13]
	s_xor_b64 s[12:13], exec, s[14:15]
	s_cbranch_execz .LBB131_49
; %bb.48:                               ;   in Loop: Header=BB131_7 Depth=2
	global_load_dwordx4 v[6:9], v[4:5], off offset:-256
	v_add_u32_e32 v0, v55, v1
	v_add_u32_e32 v0, 0x2000, v0
	s_waitcnt vmcnt(0)
	ds_write2_b64 v0, v[6:7], v[8:9] offset1:1
.LBB131_49:                             ;   in Loop: Header=BB131_7 Depth=2
	s_andn2_saveexec_b64 s[12:13], s[12:13]
	s_cbranch_execz .LBB131_51
; %bb.50:                               ;   in Loop: Header=BB131_7 Depth=2
	v_mov_b32_e32 v6, v2
	v_mov_b32_e32 v7, v2
	;; [unrolled: 1-line block ×4, first 2 shown]
	v_add_u32_e32 v0, v55, v1
	ds_write_b128 v0, v[6:9] offset:8192
.LBB131_51:                             ;   in Loop: Header=BB131_7 Depth=2
	s_or_b64 exec, exec, s[12:13]
	s_nor_b64 s[10:11], s[10:11], s[2:3]
	s_and_saveexec_b64 s[12:13], s[10:11]
	s_xor_b64 s[10:11], exec, s[12:13]
	s_cbranch_execz .LBB131_53
; %bb.52:                               ;   in Loop: Header=BB131_7 Depth=2
	global_load_dwordx4 v[4:7], v[4:5], off
	v_add_u32_e32 v0, v55, v1
	v_add_u32_e32 v0, 0x2100, v0
	s_waitcnt vmcnt(0)
	ds_write2_b64 v0, v[4:5], v[6:7] offset1:1
.LBB131_53:                             ;   in Loop: Header=BB131_7 Depth=2
	s_andn2_saveexec_b64 s[10:11], s[10:11]
	s_cbranch_execz .LBB131_6
; %bb.54:                               ;   in Loop: Header=BB131_7 Depth=2
	v_mov_b32_e32 v4, v2
	v_mov_b32_e32 v5, v2
	;; [unrolled: 1-line block ×4, first 2 shown]
	v_add_u32_e32 v0, v55, v1
	ds_write_b128 v0, v[4:7] offset:8448
	s_branch .LBB131_6
.LBB131_55:                             ;   in Loop: Header=BB131_4 Depth=1
	v_mov_b32_e32 v58, 0
	v_mov_b32_e32 v60, 0
	;; [unrolled: 1-line block ×16, first 2 shown]
.LBB131_56:                             ;   in Loop: Header=BB131_4 Depth=1
	v_mul_lo_u32 v0, s25, v36
	v_mul_lo_u32 v6, s24, v37
	v_mad_u64_u32 v[4:5], s[8:9], s24, v36, 0
	v_cmp_gt_i32_e32 vcc, s54, v36
	v_add3_u32 v5, v5, v6, v0
	v_lshlrev_b64 v[4:5], 4, v[4:5]
	v_mov_b32_e32 v6, s59
	v_add_co_u32_e64 v0, s[8:9], s58, v4
	v_addc_co_u32_e64 v4, s[8:9], v6, v5, s[8:9]
	s_and_b64 s[8:9], s[4:5], vcc
	s_and_saveexec_b64 s[10:11], s[8:9]
	s_cbranch_execz .LBB131_58
; %bb.57:                               ;   in Loop: Header=BB131_4 Depth=1
	buffer_load_dword v5, off, s[64:67], 0 offset:52 ; 4-byte Folded Reload
	buffer_load_dword v6, off, s[64:67], 0 offset:56 ; 4-byte Folded Reload
	v_mul_f64 v[20:21], s[30:31], v[60:61]
	v_mul_f64 v[22:23], s[28:29], v[60:61]
	v_fma_f64 v[20:21], s[28:29], v[58:59], -v[20:21]
	v_fma_f64 v[22:23], s[30:31], v[58:59], v[22:23]
	s_waitcnt vmcnt(1)
	v_add_co_u32_e64 v9, s[8:9], v0, v5
	s_waitcnt vmcnt(0)
	v_addc_co_u32_e64 v10, s[8:9], v4, v6, s[8:9]
	global_load_dwordx4 v[5:8], v[9:10], off
	s_waitcnt vmcnt(0)
	v_add_f64 v[5:6], v[5:6], v[20:21]
	v_add_f64 v[7:8], v[22:23], v[7:8]
	global_store_dwordx4 v[9:10], v[5:8], off
.LBB131_58:                             ;   in Loop: Header=BB131_4 Depth=1
	s_or_b64 exec, exec, s[10:11]
	s_and_b64 s[10:11], s[16:17], vcc
	s_and_saveexec_b64 s[8:9], s[10:11]
	s_cbranch_execz .LBB131_60
; %bb.59:                               ;   in Loop: Header=BB131_4 Depth=1
	buffer_load_dword v5, off, s[64:67], 0 offset:60 ; 4-byte Folded Reload
	buffer_load_dword v6, off, s[64:67], 0 offset:64 ; 4-byte Folded Reload
	v_mul_f64 v[10:11], s[30:31], v[18:19]
	v_mul_f64 v[18:19], s[28:29], v[18:19]
	v_fma_f64 v[10:11], s[28:29], v[16:17], -v[10:11]
	v_fma_f64 v[16:17], s[30:31], v[16:17], v[18:19]
	s_waitcnt vmcnt(0)
	v_lshlrev_b64 v[5:6], 4, v[5:6]
	v_add_co_u32_e32 v8, vcc, v0, v5
	v_addc_co_u32_e32 v9, vcc, v4, v6, vcc
	global_load_dwordx4 v[4:7], v[8:9], off
	s_waitcnt vmcnt(0)
	v_add_f64 v[4:5], v[4:5], v[10:11]
	v_add_f64 v[6:7], v[16:17], v[6:7]
	global_store_dwordx4 v[8:9], v[4:7], off
.LBB131_60:                             ;   in Loop: Header=BB131_4 Depth=1
	s_or_b64 exec, exec, s[8:9]
	v_add_u32_e32 v0, 16, v36
	v_ashrrev_i32_e32 v4, 31, v0
	v_mul_lo_u32 v6, s24, v4
	v_mul_lo_u32 v7, s25, v0
	v_mad_u64_u32 v[4:5], s[8:9], s24, v0, 0
	v_cmp_gt_i32_e32 vcc, s54, v0
	v_add3_u32 v5, v5, v6, v7
	v_lshlrev_b64 v[4:5], 4, v[4:5]
	v_mov_b32_e32 v6, s59
	v_add_co_u32_e64 v0, s[8:9], s58, v4
	v_addc_co_u32_e64 v4, s[8:9], v6, v5, s[8:9]
	s_and_b64 s[8:9], s[4:5], vcc
	s_and_saveexec_b64 s[10:11], s[8:9]
	s_cbranch_execz .LBB131_62
; %bb.61:                               ;   in Loop: Header=BB131_4 Depth=1
	buffer_load_dword v5, off, s[64:67], 0 offset:52 ; 4-byte Folded Reload
	buffer_load_dword v6, off, s[64:67], 0 offset:56 ; 4-byte Folded Reload
	v_mul_f64 v[16:17], s[30:31], v[34:35]
	v_mul_f64 v[18:19], s[28:29], v[34:35]
	v_fma_f64 v[16:17], s[28:29], v[62:63], -v[16:17]
	v_fma_f64 v[18:19], s[30:31], v[62:63], v[18:19]
	s_waitcnt vmcnt(1)
	v_add_co_u32_e64 v9, s[8:9], v0, v5
	s_waitcnt vmcnt(0)
	v_addc_co_u32_e64 v10, s[8:9], v4, v6, s[8:9]
	global_load_dwordx4 v[5:8], v[9:10], off
	s_waitcnt vmcnt(0)
	v_add_f64 v[5:6], v[5:6], v[16:17]
	v_add_f64 v[7:8], v[18:19], v[7:8]
	global_store_dwordx4 v[9:10], v[5:8], off
.LBB131_62:                             ;   in Loop: Header=BB131_4 Depth=1
	s_or_b64 exec, exec, s[10:11]
	s_and_b64 s[10:11], s[16:17], vcc
	s_and_saveexec_b64 s[8:9], s[10:11]
	s_cbranch_execz .LBB131_3
; %bb.63:                               ;   in Loop: Header=BB131_4 Depth=1
	buffer_load_dword v5, off, s[64:67], 0 offset:60 ; 4-byte Folded Reload
	buffer_load_dword v6, off, s[64:67], 0 offset:64 ; 4-byte Folded Reload
	v_mul_f64 v[10:11], s[30:31], v[12:13]
	v_mul_f64 v[12:13], s[28:29], v[12:13]
	v_fma_f64 v[10:11], s[28:29], v[14:15], -v[10:11]
	v_fma_f64 v[12:13], s[30:31], v[14:15], v[12:13]
	s_waitcnt vmcnt(0)
	v_lshlrev_b64 v[5:6], 4, v[5:6]
	v_add_co_u32_e32 v8, vcc, v0, v5
	v_addc_co_u32_e32 v9, vcc, v4, v6, vcc
	global_load_dwordx4 v[4:7], v[8:9], off
	s_waitcnt vmcnt(0)
	v_add_f64 v[4:5], v[4:5], v[10:11]
	v_add_f64 v[6:7], v[12:13], v[6:7]
	global_store_dwordx4 v[8:9], v[4:7], off
	s_branch .LBB131_3
.LBB131_64:
	s_endpgm
	.section	.rodata,"a",@progbits
	.p2align	6, 0x0
	.amdhsa_kernel _ZL30rocblas_trmm_outofplace_kernelI19rocblas_complex_numIdELi32ELi2ELb0ELb1ELb1ELb1ES1_KS1_S1_Ev17rocblas_diagonal_iiT6_lPT7_lllS6_lllPT8_llli
		.amdhsa_group_segment_fixed_size 32768
		.amdhsa_private_segment_fixed_size 80
		.amdhsa_kernarg_size 400
		.amdhsa_user_sgpr_count 6
		.amdhsa_user_sgpr_private_segment_buffer 1
		.amdhsa_user_sgpr_dispatch_ptr 0
		.amdhsa_user_sgpr_queue_ptr 0
		.amdhsa_user_sgpr_kernarg_segment_ptr 1
		.amdhsa_user_sgpr_dispatch_id 0
		.amdhsa_user_sgpr_flat_scratch_init 0
		.amdhsa_user_sgpr_private_segment_size 0
		.amdhsa_uses_dynamic_stack 0
		.amdhsa_system_sgpr_private_segment_wavefront_offset 1
		.amdhsa_system_sgpr_workgroup_id_x 1
		.amdhsa_system_sgpr_workgroup_id_y 1
		.amdhsa_system_sgpr_workgroup_id_z 1
		.amdhsa_system_sgpr_workgroup_info 0
		.amdhsa_system_vgpr_workitem_id 1
		.amdhsa_next_free_vgpr 64
		.amdhsa_next_free_sgpr 68
		.amdhsa_reserve_vcc 1
		.amdhsa_reserve_flat_scratch 0
		.amdhsa_float_round_mode_32 0
		.amdhsa_float_round_mode_16_64 0
		.amdhsa_float_denorm_mode_32 3
		.amdhsa_float_denorm_mode_16_64 3
		.amdhsa_dx10_clamp 1
		.amdhsa_ieee_mode 1
		.amdhsa_fp16_overflow 0
		.amdhsa_exception_fp_ieee_invalid_op 0
		.amdhsa_exception_fp_denorm_src 0
		.amdhsa_exception_fp_ieee_div_zero 0
		.amdhsa_exception_fp_ieee_overflow 0
		.amdhsa_exception_fp_ieee_underflow 0
		.amdhsa_exception_fp_ieee_inexact 0
		.amdhsa_exception_int_div_zero 0
	.end_amdhsa_kernel
	.section	.text._ZL30rocblas_trmm_outofplace_kernelI19rocblas_complex_numIdELi32ELi2ELb0ELb1ELb1ELb1ES1_KS1_S1_Ev17rocblas_diagonal_iiT6_lPT7_lllS6_lllPT8_llli,"axG",@progbits,_ZL30rocblas_trmm_outofplace_kernelI19rocblas_complex_numIdELi32ELi2ELb0ELb1ELb1ELb1ES1_KS1_S1_Ev17rocblas_diagonal_iiT6_lPT7_lllS6_lllPT8_llli,comdat
.Lfunc_end131:
	.size	_ZL30rocblas_trmm_outofplace_kernelI19rocblas_complex_numIdELi32ELi2ELb0ELb1ELb1ELb1ES1_KS1_S1_Ev17rocblas_diagonal_iiT6_lPT7_lllS6_lllPT8_llli, .Lfunc_end131-_ZL30rocblas_trmm_outofplace_kernelI19rocblas_complex_numIdELi32ELi2ELb0ELb1ELb1ELb1ES1_KS1_S1_Ev17rocblas_diagonal_iiT6_lPT7_lllS6_lllPT8_llli
                                        ; -- End function
	.set _ZL30rocblas_trmm_outofplace_kernelI19rocblas_complex_numIdELi32ELi2ELb0ELb1ELb1ELb1ES1_KS1_S1_Ev17rocblas_diagonal_iiT6_lPT7_lllS6_lllPT8_llli.num_vgpr, 64
	.set _ZL30rocblas_trmm_outofplace_kernelI19rocblas_complex_numIdELi32ELi2ELb0ELb1ELb1ELb1ES1_KS1_S1_Ev17rocblas_diagonal_iiT6_lPT7_lllS6_lllPT8_llli.num_agpr, 0
	.set _ZL30rocblas_trmm_outofplace_kernelI19rocblas_complex_numIdELi32ELi2ELb0ELb1ELb1ELb1ES1_KS1_S1_Ev17rocblas_diagonal_iiT6_lPT7_lllS6_lllPT8_llli.numbered_sgpr, 68
	.set _ZL30rocblas_trmm_outofplace_kernelI19rocblas_complex_numIdELi32ELi2ELb0ELb1ELb1ELb1ES1_KS1_S1_Ev17rocblas_diagonal_iiT6_lPT7_lllS6_lllPT8_llli.num_named_barrier, 0
	.set _ZL30rocblas_trmm_outofplace_kernelI19rocblas_complex_numIdELi32ELi2ELb0ELb1ELb1ELb1ES1_KS1_S1_Ev17rocblas_diagonal_iiT6_lPT7_lllS6_lllPT8_llli.private_seg_size, 80
	.set _ZL30rocblas_trmm_outofplace_kernelI19rocblas_complex_numIdELi32ELi2ELb0ELb1ELb1ELb1ES1_KS1_S1_Ev17rocblas_diagonal_iiT6_lPT7_lllS6_lllPT8_llli.uses_vcc, 1
	.set _ZL30rocblas_trmm_outofplace_kernelI19rocblas_complex_numIdELi32ELi2ELb0ELb1ELb1ELb1ES1_KS1_S1_Ev17rocblas_diagonal_iiT6_lPT7_lllS6_lllPT8_llli.uses_flat_scratch, 0
	.set _ZL30rocblas_trmm_outofplace_kernelI19rocblas_complex_numIdELi32ELi2ELb0ELb1ELb1ELb1ES1_KS1_S1_Ev17rocblas_diagonal_iiT6_lPT7_lllS6_lllPT8_llli.has_dyn_sized_stack, 0
	.set _ZL30rocblas_trmm_outofplace_kernelI19rocblas_complex_numIdELi32ELi2ELb0ELb1ELb1ELb1ES1_KS1_S1_Ev17rocblas_diagonal_iiT6_lPT7_lllS6_lllPT8_llli.has_recursion, 0
	.set _ZL30rocblas_trmm_outofplace_kernelI19rocblas_complex_numIdELi32ELi2ELb0ELb1ELb1ELb1ES1_KS1_S1_Ev17rocblas_diagonal_iiT6_lPT7_lllS6_lllPT8_llli.has_indirect_call, 0
	.section	.AMDGPU.csdata,"",@progbits
; Kernel info:
; codeLenInByte = 10576
; TotalNumSgprs: 72
; NumVgprs: 64
; ScratchSize: 80
; MemoryBound: 0
; FloatMode: 240
; IeeeMode: 1
; LDSByteSize: 32768 bytes/workgroup (compile time only)
; SGPRBlocks: 8
; VGPRBlocks: 15
; NumSGPRsForWavesPerEU: 72
; NumVGPRsForWavesPerEU: 64
; Occupancy: 4
; WaveLimiterHint : 0
; COMPUTE_PGM_RSRC2:SCRATCH_EN: 1
; COMPUTE_PGM_RSRC2:USER_SGPR: 6
; COMPUTE_PGM_RSRC2:TRAP_HANDLER: 0
; COMPUTE_PGM_RSRC2:TGID_X_EN: 1
; COMPUTE_PGM_RSRC2:TGID_Y_EN: 1
; COMPUTE_PGM_RSRC2:TGID_Z_EN: 1
; COMPUTE_PGM_RSRC2:TIDIG_COMP_CNT: 1
	.section	.text._ZL23rocblas_trmm_lNx_kernelILi16E19rocblas_complex_numIdEPKS1_S2_S1_Ev13rocblas_fill_17rocblas_diagonal_iiT1_lPT2_llS8_llPT3_lli,"axG",@progbits,_ZL23rocblas_trmm_lNx_kernelILi16E19rocblas_complex_numIdEPKS1_S2_S1_Ev13rocblas_fill_17rocblas_diagonal_iiT1_lPT2_llS8_llPT3_lli,comdat
	.globl	_ZL23rocblas_trmm_lNx_kernelILi16E19rocblas_complex_numIdEPKS1_S2_S1_Ev13rocblas_fill_17rocblas_diagonal_iiT1_lPT2_llS8_llPT3_lli ; -- Begin function _ZL23rocblas_trmm_lNx_kernelILi16E19rocblas_complex_numIdEPKS1_S2_S1_Ev13rocblas_fill_17rocblas_diagonal_iiT1_lPT2_llS8_llPT3_lli
	.p2align	8
	.type	_ZL23rocblas_trmm_lNx_kernelILi16E19rocblas_complex_numIdEPKS1_S2_S1_Ev13rocblas_fill_17rocblas_diagonal_iiT1_lPT2_llS8_llPT3_lli,@function
_ZL23rocblas_trmm_lNx_kernelILi16E19rocblas_complex_numIdEPKS1_S2_S1_Ev13rocblas_fill_17rocblas_diagonal_iiT1_lPT2_llS8_llPT3_lli: ; @_ZL23rocblas_trmm_lNx_kernelILi16E19rocblas_complex_numIdEPKS1_S2_S1_Ev13rocblas_fill_17rocblas_diagonal_iiT1_lPT2_llS8_llPT3_lli
; %bb.0:
	s_load_dwordx16 s[8:23], s[4:5], 0x10
	s_waitcnt lgkmcnt(0)
	s_mul_i32 s0, s11, s7
	s_mul_hi_u32 s1, s10, s7
	s_add_i32 s1, s1, s0
	s_mul_i32 s0, s10, s7
	s_lshl_b64 s[0:1], s[0:1], 4
	s_add_u32 s0, s8, s0
	s_addc_u32 s1, s9, s1
	s_load_dwordx4 s[8:11], s[0:1], 0x0
	s_waitcnt lgkmcnt(0)
	v_cmp_neq_f64_e64 s[0:1], s[8:9], 0
	v_cmp_neq_f64_e64 s[2:3], s[10:11], 0
	s_or_b64 s[0:1], s[0:1], s[2:3]
	s_andn2_b64 vcc, exec, s[0:1]
	s_cbranch_vccnz .LBB132_15
; %bb.1:
	s_load_dwordx4 s[24:27], s[4:5], 0x0
	s_mov_b32 s0, 0
	s_mov_b32 s3, s0
	;; [unrolled: 1-line block ×4, first 2 shown]
	v_mov_b32_e32 v8, s3
	v_lshlrev_b32_e32 v3, 4, v1
	v_mov_b32_e32 v7, s2
	v_mov_b32_e32 v6, s1
	;; [unrolled: 1-line block ×3, first 2 shown]
	s_waitcnt lgkmcnt(0)
	v_cmp_gt_i32_e64 s[0:1], s26, v1
	v_cmp_gt_i32_e32 vcc, s26, v0
	v_add_lshl_u32 v4, v3, v0, 4
	s_and_b64 s[0:1], s[0:1], vcc
	v_lshlrev_b32_e32 v2, 4, v0
	ds_write_b128 v4, v[5:8]
	ds_write_b128 v4, v[5:8] offset:4096
	s_and_saveexec_b64 s[2:3], s[0:1]
	s_cbranch_execz .LBB132_3
; %bb.2:
	v_mad_u64_u32 v[5:6], s[0:1], s14, v1, 0
	s_mul_i32 s17, s17, s7
	s_mul_hi_u32 s0, s16, s7
	v_mad_u64_u32 v[6:7], s[14:15], s15, v1, v[6:7]
	s_add_i32 s1, s0, s17
	s_mul_i32 s0, s16, s7
	s_lshl_b64 s[0:1], s[0:1], 4
	s_add_u32 s0, s12, s0
	v_lshlrev_b64 v[5:6], 4, v[5:6]
	s_addc_u32 s1, s13, s1
	v_mov_b32_e32 v7, s1
	v_add_co_u32_e64 v5, s[0:1], s0, v5
	v_addc_co_u32_e64 v6, s[0:1], v7, v6, s[0:1]
	v_add_co_u32_e64 v5, s[0:1], v5, v2
	v_addc_co_u32_e64 v6, s[0:1], 0, v6, s[0:1]
	global_load_dwordx4 v[5:8], v[5:6], off
	s_waitcnt vmcnt(0)
	ds_write2_b64 v4, v[5:6], v[7:8] offset1:1
.LBB132_3:
	s_or_b64 exec, exec, s[2:3]
	s_add_i32 s0, s27, -1
	s_ashr_i32 s1, s0, 31
	s_lshr_b32 s1, s1, 28
	s_add_i32 s0, s0, s1
	s_ashr_i32 s1, s0, 4
	s_and_b32 s0, s0, -16
	s_sub_i32 s0, s27, s0
	s_cmp_ge_i32 s6, s1
	s_cselect_b32 s0, s0, 16
	s_lshl_b32 s6, s6, 4
	v_cmp_gt_i32_e64 s[0:1], s0, v1
	s_ashr_i32 s14, s6, 31
	s_and_b64 s[0:1], vcc, s[0:1]
	s_and_saveexec_b64 s[2:3], s[0:1]
	s_cbranch_execz .LBB132_5
; %bb.4:
	s_mul_i32 s12, s23, s7
	s_mul_hi_u32 s13, s22, s7
	s_add_i32 s13, s13, s12
	s_mul_i32 s12, s22, s7
	s_lshl_b64 s[12:13], s[12:13], 4
	s_add_u32 s15, s18, s12
	s_addc_u32 s18, s19, s13
	s_mul_i32 s12, s20, s14
	s_mul_hi_u32 s13, s20, s6
	s_add_i32 s16, s13, s12
	v_mad_u64_u32 v[5:6], s[12:13], s20, v1, 0
	s_mul_i32 s12, s21, s6
	s_add_i32 s13, s16, s12
	v_mad_u64_u32 v[6:7], s[16:17], s21, v1, v[6:7]
	s_mul_i32 s12, s20, s6
	s_lshl_b64 s[12:13], s[12:13], 4
	s_add_u32 s12, s15, s12
	v_lshlrev_b64 v[5:6], 4, v[5:6]
	s_addc_u32 s13, s18, s13
	v_mov_b32_e32 v7, s13
	v_add_co_u32_e32 v5, vcc, s12, v5
	v_addc_co_u32_e32 v6, vcc, v7, v6, vcc
	v_add_co_u32_e32 v5, vcc, v5, v2
	v_addc_co_u32_e32 v6, vcc, 0, v6, vcc
	global_load_dwordx4 v[5:8], v[5:6], off
	v_add_u32_e32 v9, 0x1000, v4
	s_waitcnt vmcnt(0)
	ds_write2_b64 v9, v[5:6], v[7:8] offset1:1
.LBB132_5:
	s_or_b64 exec, exec, s[2:3]
	s_cmpk_eq_i32 s25, 0x84
	s_cselect_b64 s[2:3], -1, 0
	v_cmp_eq_u32_e32 vcc, v1, v0
	s_and_b64 s[12:13], vcc, s[2:3]
	s_and_saveexec_b64 s[2:3], s[12:13]
; %bb.6:
	v_mov_b32_e32 v5, 0
	v_mov_b32_e32 v6, 0x3ff00000
	;; [unrolled: 1-line block ×4, first 2 shown]
	ds_write_b128 v4, v[5:8]
; %bb.7:
	s_or_b64 exec, exec, s[2:3]
	s_cmpk_lg_i32 s24, 0x79
	s_cbranch_scc0 .LBB132_9
; %bb.8:
	v_cmp_lt_u32_e32 vcc, v0, v1
	s_and_b64 s[2:3], vcc, exec
	s_cbranch_execz .LBB132_10
	s_branch .LBB132_11
.LBB132_9:
	s_mov_b64 s[2:3], 0
.LBB132_10:
	v_cmp_gt_u32_e32 vcc, v0, v1
	s_andn2_b64 s[2:3], s[2:3], exec
	s_and_b64 s[12:13], vcc, exec
	s_or_b64 s[2:3], s[2:3], s[12:13]
.LBB132_11:
	s_and_saveexec_b64 s[12:13], s[2:3]
; %bb.12:
	v_mov_b32_e32 v5, 0
	v_mov_b32_e32 v6, v5
	;; [unrolled: 1-line block ×4, first 2 shown]
	ds_write_b128 v4, v[5:8]
; %bb.13:
	s_or_b64 exec, exec, s[12:13]
	s_waitcnt lgkmcnt(0)
	s_barrier
	s_and_saveexec_b64 s[2:3], s[0:1]
	s_cbranch_execz .LBB132_15
; %bb.14:
	v_lshlrev_b32_e32 v0, 4, v3
	ds_read_b128 v[3:6], v0 offset:4096
	ds_read_b128 v[7:10], v2
	ds_read_b128 v[11:14], v2 offset:256
	ds_read_b128 v[15:18], v0 offset:4112
	;; [unrolled: 1-line block ×3, first 2 shown]
	s_waitcnt lgkmcnt(3)
	v_mul_f64 v[23:24], v[3:4], v[9:10]
	v_mul_f64 v[9:10], v[5:6], v[9:10]
	s_waitcnt lgkmcnt(1)
	v_mul_f64 v[35:36], v[15:16], v[13:14]
	v_mul_f64 v[13:14], v[17:18], v[13:14]
	v_fma_f64 v[5:6], v[5:6], v[7:8], v[23:24]
	ds_read_b128 v[23:26], v2 offset:512
	ds_read_b128 v[27:30], v2 offset:768
	;; [unrolled: 1-line block ×3, first 2 shown]
	v_fma_f64 v[39:40], v[3:4], v[7:8], -v[9:10]
	v_fma_f64 v[17:18], v[17:18], v[11:12], v[35:36]
	s_waitcnt lgkmcnt(2)
	v_mul_f64 v[37:38], v[19:20], v[25:26]
	v_mul_f64 v[25:26], v[21:22], v[25:26]
	s_waitcnt lgkmcnt(0)
	v_mul_f64 v[41:42], v[31:32], v[29:30]
	v_fma_f64 v[43:44], v[15:16], v[11:12], -v[13:14]
	v_add_f64 v[35:36], v[5:6], 0
	ds_read_b128 v[3:6], v2 offset:1024
	ds_read_b128 v[7:10], v0 offset:4160
	v_mul_f64 v[29:30], v[33:34], v[29:30]
	v_fma_f64 v[21:22], v[21:22], v[23:24], v[37:38]
	v_add_f64 v[37:38], v[39:40], 0
	s_waitcnt lgkmcnt(0)
	v_mul_f64 v[39:40], v[7:8], v[5:6]
	v_fma_f64 v[45:46], v[19:20], v[23:24], -v[25:26]
	v_add_f64 v[35:36], v[35:36], v[17:18]
	v_fma_f64 v[33:34], v[33:34], v[27:28], v[41:42]
	ds_read_b128 v[11:14], v2 offset:1280
	ds_read_b128 v[15:18], v0 offset:4176
	v_mul_f64 v[5:6], v[9:10], v[5:6]
	v_add_f64 v[37:38], v[37:38], v[43:44]
	v_fma_f64 v[43:44], v[31:32], v[27:28], -v[29:30]
	s_waitcnt lgkmcnt(0)
	v_mul_f64 v[41:42], v[15:16], v[13:14]
	v_add_f64 v[35:36], v[35:36], v[21:22]
	v_fma_f64 v[9:10], v[9:10], v[3:4], v[39:40]
	ds_read_b128 v[19:22], v2 offset:1536
	ds_read_b128 v[23:26], v0 offset:4192
	v_mul_f64 v[13:14], v[17:18], v[13:14]
	v_add_f64 v[37:38], v[37:38], v[45:46]
	v_fma_f64 v[45:46], v[7:8], v[3:4], -v[5:6]
	s_waitcnt lgkmcnt(0)
	v_mul_f64 v[39:40], v[23:24], v[21:22]
	;; [unrolled: 9-line block ×4, first 2 shown]
	v_add_f64 v[35:36], v[35:36], v[17:18]
	v_fma_f64 v[41:42], v[33:34], v[27:28], v[41:42]
	ds_read_b128 v[11:14], v2 offset:2304
	ds_read_b128 v[15:18], v0 offset:4240
	v_mul_f64 v[5:6], v[9:10], v[5:6]
	v_fma_f64 v[31:32], v[31:32], v[27:28], -v[29:30]
	v_add_f64 v[37:38], v[37:38], v[43:44]
	s_waitcnt lgkmcnt(0)
	v_mul_f64 v[47:48], v[15:16], v[13:14]
	v_add_f64 v[43:44], v[35:36], v[25:26]
	v_fma_f64 v[9:10], v[9:10], v[3:4], v[39:40]
	ds_read_b128 v[19:22], v2 offset:2560
	ds_read_b128 v[23:26], v2 offset:2816
	;; [unrolled: 1-line block ×3, first 2 shown]
	v_mul_f64 v[13:14], v[17:18], v[13:14]
	v_fma_f64 v[53:54], v[7:8], v[3:4], -v[5:6]
	v_add_f64 v[45:46], v[37:38], v[45:46]
	s_waitcnt lgkmcnt(0)
	v_mul_f64 v[51:52], v[33:34], v[21:22]
	v_add_f64 v[49:50], v[43:44], v[41:42]
	v_fma_f64 v[17:18], v[17:18], v[11:12], v[47:48]
	ds_read_b128 v[27:30], v2 offset:3072
	ds_read_b128 v[37:40], v2 offset:3328
	;; [unrolled: 1-line block ×3, first 2 shown]
	v_fma_f64 v[15:16], v[15:16], v[11:12], -v[13:14]
	v_mul_f64 v[21:22], v[35:36], v[21:22]
	v_add_f64 v[31:32], v[45:46], v[31:32]
	s_waitcnt lgkmcnt(0)
	v_mul_f64 v[55:56], v[41:42], v[25:26]
	v_add_f64 v[49:50], v[49:50], v[9:10]
	v_fma_f64 v[35:36], v[35:36], v[19:20], v[51:52]
	ds_read_b128 v[3:6], v2 offset:3584
	ds_read_b128 v[7:10], v2 offset:3840
	;; [unrolled: 1-line block ×3, first 2 shown]
	v_mul_f64 v[25:26], v[43:44], v[25:26]
	v_fma_f64 v[33:34], v[33:34], v[19:20], -v[21:22]
	v_add_f64 v[31:32], v[31:32], v[53:54]
	s_load_dwordx2 s[12:13], s[4:5], 0x60
	s_load_dwordx4 s[0:3], s[4:5], 0x50
	v_fma_f64 v[43:44], v[43:44], v[23:24], v[55:56]
	v_add_f64 v[17:18], v[49:50], v[17:18]
	s_waitcnt lgkmcnt(0)
	v_mul_f64 v[49:50], v[45:46], v[29:30]
	ds_read_b128 v[11:14], v0 offset:4304
	v_mul_f64 v[29:30], v[47:48], v[29:30]
	v_fma_f64 v[23:24], v[41:42], v[23:24], -v[25:26]
	v_add_f64 v[31:32], v[31:32], v[15:16]
	s_mul_i32 s5, s13, s7
	s_waitcnt lgkmcnt(0)
	v_mul_f64 v[51:52], v[11:12], v[39:40]
	v_add_f64 v[35:36], v[17:18], v[35:36]
	v_fma_f64 v[25:26], v[47:48], v[27:28], v[49:50]
	ds_read_b128 v[15:18], v0 offset:4320
	ds_read_b128 v[19:22], v0 offset:4336
	v_fma_f64 v[27:28], v[45:46], v[27:28], -v[29:30]
	s_mul_hi_u32 s15, s12, s7
	v_add_f64 v[31:32], v[31:32], v[33:34]
	s_mul_i32 s4, s12, s7
	s_waitcnt lgkmcnt(0)
	v_mul_f64 v[29:30], v[19:20], v[9:10]
	v_add_f64 v[33:34], v[35:36], v[43:44]
	v_mul_f64 v[35:36], v[13:14], v[39:40]
	v_mul_f64 v[39:40], v[15:16], v[5:6]
	v_fma_f64 v[13:14], v[13:14], v[37:38], v[51:52]
	v_mul_f64 v[5:6], v[17:18], v[5:6]
	v_add_f64 v[23:24], v[31:32], v[23:24]
	v_mul_f64 v[9:10], v[21:22], v[9:10]
	s_add_i32 s5, s15, s5
	v_add_f64 v[25:26], v[33:34], v[25:26]
	v_fma_f64 v[11:12], v[11:12], v[37:38], -v[35:36]
	v_fma_f64 v[17:18], v[17:18], v[3:4], v[39:40]
	s_lshl_b64 s[4:5], s[4:5], 4
	v_fma_f64 v[3:4], v[15:16], v[3:4], -v[5:6]
	v_add_f64 v[23:24], v[23:24], v[27:28]
	v_fma_f64 v[5:6], v[21:22], v[7:8], v[29:30]
	v_fma_f64 v[7:8], v[19:20], v[7:8], -v[9:10]
	v_add_f64 v[13:14], v[25:26], v[13:14]
	v_mad_u64_u32 v[15:16], s[12:13], s2, v1, 0
	s_mul_i32 s7, s2, s14
	s_mul_hi_u32 s14, s2, s6
	v_add_f64 v[11:12], v[23:24], v[11:12]
	s_mul_i32 s16, s3, s6
	s_mul_i32 s6, s2, s6
	v_add_f64 v[13:14], v[13:14], v[17:18]
	s_add_u32 s2, s0, s4
	s_addc_u32 s4, s1, s5
	s_add_i32 s0, s14, s7
	v_mov_b32_e32 v0, v16
	v_add_f64 v[3:4], v[11:12], v[3:4]
	s_add_i32 s7, s0, s16
	v_mad_u64_u32 v[0:1], s[0:1], s3, v1, v[0:1]
	v_add_f64 v[5:6], v[13:14], v[5:6]
	s_lshl_b64 s[0:1], s[6:7], 4
	v_mov_b32_e32 v16, v0
	s_add_u32 s0, s2, s0
	v_add_f64 v[3:4], v[3:4], v[7:8]
	v_lshlrev_b64 v[0:1], 4, v[15:16]
	s_addc_u32 s1, s4, s1
	v_mov_b32_e32 v11, s1
	v_mul_f64 v[7:8], s[8:9], v[5:6]
	v_mul_f64 v[9:10], s[10:11], v[5:6]
	v_add_co_u32_e32 v0, vcc, s0, v0
	v_addc_co_u32_e32 v1, vcc, v11, v1, vcc
	v_add_co_u32_e32 v0, vcc, v0, v2
	v_fma_f64 v[5:6], s[10:11], v[3:4], v[7:8]
	v_fma_f64 v[3:4], s[8:9], v[3:4], -v[9:10]
	v_addc_co_u32_e32 v1, vcc, 0, v1, vcc
	global_store_dwordx4 v[0:1], v[3:6], off
.LBB132_15:
	s_endpgm
	.section	.rodata,"a",@progbits
	.p2align	6, 0x0
	.amdhsa_kernel _ZL23rocblas_trmm_lNx_kernelILi16E19rocblas_complex_numIdEPKS1_S2_S1_Ev13rocblas_fill_17rocblas_diagonal_iiT1_lPT2_llS8_llPT3_lli
		.amdhsa_group_segment_fixed_size 8192
		.amdhsa_private_segment_fixed_size 0
		.amdhsa_kernarg_size 108
		.amdhsa_user_sgpr_count 6
		.amdhsa_user_sgpr_private_segment_buffer 1
		.amdhsa_user_sgpr_dispatch_ptr 0
		.amdhsa_user_sgpr_queue_ptr 0
		.amdhsa_user_sgpr_kernarg_segment_ptr 1
		.amdhsa_user_sgpr_dispatch_id 0
		.amdhsa_user_sgpr_flat_scratch_init 0
		.amdhsa_user_sgpr_private_segment_size 0
		.amdhsa_uses_dynamic_stack 0
		.amdhsa_system_sgpr_private_segment_wavefront_offset 0
		.amdhsa_system_sgpr_workgroup_id_x 1
		.amdhsa_system_sgpr_workgroup_id_y 0
		.amdhsa_system_sgpr_workgroup_id_z 1
		.amdhsa_system_sgpr_workgroup_info 0
		.amdhsa_system_vgpr_workitem_id 1
		.amdhsa_next_free_vgpr 57
		.amdhsa_next_free_sgpr 61
		.amdhsa_reserve_vcc 1
		.amdhsa_reserve_flat_scratch 0
		.amdhsa_float_round_mode_32 0
		.amdhsa_float_round_mode_16_64 0
		.amdhsa_float_denorm_mode_32 3
		.amdhsa_float_denorm_mode_16_64 3
		.amdhsa_dx10_clamp 1
		.amdhsa_ieee_mode 1
		.amdhsa_fp16_overflow 0
		.amdhsa_exception_fp_ieee_invalid_op 0
		.amdhsa_exception_fp_denorm_src 0
		.amdhsa_exception_fp_ieee_div_zero 0
		.amdhsa_exception_fp_ieee_overflow 0
		.amdhsa_exception_fp_ieee_underflow 0
		.amdhsa_exception_fp_ieee_inexact 0
		.amdhsa_exception_int_div_zero 0
	.end_amdhsa_kernel
	.section	.text._ZL23rocblas_trmm_lNx_kernelILi16E19rocblas_complex_numIdEPKS1_S2_S1_Ev13rocblas_fill_17rocblas_diagonal_iiT1_lPT2_llS8_llPT3_lli,"axG",@progbits,_ZL23rocblas_trmm_lNx_kernelILi16E19rocblas_complex_numIdEPKS1_S2_S1_Ev13rocblas_fill_17rocblas_diagonal_iiT1_lPT2_llS8_llPT3_lli,comdat
.Lfunc_end132:
	.size	_ZL23rocblas_trmm_lNx_kernelILi16E19rocblas_complex_numIdEPKS1_S2_S1_Ev13rocblas_fill_17rocblas_diagonal_iiT1_lPT2_llS8_llPT3_lli, .Lfunc_end132-_ZL23rocblas_trmm_lNx_kernelILi16E19rocblas_complex_numIdEPKS1_S2_S1_Ev13rocblas_fill_17rocblas_diagonal_iiT1_lPT2_llS8_llPT3_lli
                                        ; -- End function
	.set _ZL23rocblas_trmm_lNx_kernelILi16E19rocblas_complex_numIdEPKS1_S2_S1_Ev13rocblas_fill_17rocblas_diagonal_iiT1_lPT2_llS8_llPT3_lli.num_vgpr, 57
	.set _ZL23rocblas_trmm_lNx_kernelILi16E19rocblas_complex_numIdEPKS1_S2_S1_Ev13rocblas_fill_17rocblas_diagonal_iiT1_lPT2_llS8_llPT3_lli.num_agpr, 0
	.set _ZL23rocblas_trmm_lNx_kernelILi16E19rocblas_complex_numIdEPKS1_S2_S1_Ev13rocblas_fill_17rocblas_diagonal_iiT1_lPT2_llS8_llPT3_lli.numbered_sgpr, 28
	.set _ZL23rocblas_trmm_lNx_kernelILi16E19rocblas_complex_numIdEPKS1_S2_S1_Ev13rocblas_fill_17rocblas_diagonal_iiT1_lPT2_llS8_llPT3_lli.num_named_barrier, 0
	.set _ZL23rocblas_trmm_lNx_kernelILi16E19rocblas_complex_numIdEPKS1_S2_S1_Ev13rocblas_fill_17rocblas_diagonal_iiT1_lPT2_llS8_llPT3_lli.private_seg_size, 0
	.set _ZL23rocblas_trmm_lNx_kernelILi16E19rocblas_complex_numIdEPKS1_S2_S1_Ev13rocblas_fill_17rocblas_diagonal_iiT1_lPT2_llS8_llPT3_lli.uses_vcc, 1
	.set _ZL23rocblas_trmm_lNx_kernelILi16E19rocblas_complex_numIdEPKS1_S2_S1_Ev13rocblas_fill_17rocblas_diagonal_iiT1_lPT2_llS8_llPT3_lli.uses_flat_scratch, 0
	.set _ZL23rocblas_trmm_lNx_kernelILi16E19rocblas_complex_numIdEPKS1_S2_S1_Ev13rocblas_fill_17rocblas_diagonal_iiT1_lPT2_llS8_llPT3_lli.has_dyn_sized_stack, 0
	.set _ZL23rocblas_trmm_lNx_kernelILi16E19rocblas_complex_numIdEPKS1_S2_S1_Ev13rocblas_fill_17rocblas_diagonal_iiT1_lPT2_llS8_llPT3_lli.has_recursion, 0
	.set _ZL23rocblas_trmm_lNx_kernelILi16E19rocblas_complex_numIdEPKS1_S2_S1_Ev13rocblas_fill_17rocblas_diagonal_iiT1_lPT2_llS8_llPT3_lli.has_indirect_call, 0
	.section	.AMDGPU.csdata,"",@progbits
; Kernel info:
; codeLenInByte = 1904
; TotalNumSgprs: 32
; NumVgprs: 57
; ScratchSize: 0
; MemoryBound: 0
; FloatMode: 240
; IeeeMode: 1
; LDSByteSize: 8192 bytes/workgroup (compile time only)
; SGPRBlocks: 8
; VGPRBlocks: 14
; NumSGPRsForWavesPerEU: 65
; NumVGPRsForWavesPerEU: 57
; Occupancy: 4
; WaveLimiterHint : 0
; COMPUTE_PGM_RSRC2:SCRATCH_EN: 0
; COMPUTE_PGM_RSRC2:USER_SGPR: 6
; COMPUTE_PGM_RSRC2:TRAP_HANDLER: 0
; COMPUTE_PGM_RSRC2:TGID_X_EN: 1
; COMPUTE_PGM_RSRC2:TGID_Y_EN: 0
; COMPUTE_PGM_RSRC2:TGID_Z_EN: 1
; COMPUTE_PGM_RSRC2:TIDIG_COMP_CNT: 1
	.section	.text._ZL23rocblas_trmm_lNx_kernelILi16E19rocblas_complex_numIdES1_KS1_S1_Ev13rocblas_fill_17rocblas_diagonal_iiT1_lPT2_llS7_llPT3_lli,"axG",@progbits,_ZL23rocblas_trmm_lNx_kernelILi16E19rocblas_complex_numIdES1_KS1_S1_Ev13rocblas_fill_17rocblas_diagonal_iiT1_lPT2_llS7_llPT3_lli,comdat
	.globl	_ZL23rocblas_trmm_lNx_kernelILi16E19rocblas_complex_numIdES1_KS1_S1_Ev13rocblas_fill_17rocblas_diagonal_iiT1_lPT2_llS7_llPT3_lli ; -- Begin function _ZL23rocblas_trmm_lNx_kernelILi16E19rocblas_complex_numIdES1_KS1_S1_Ev13rocblas_fill_17rocblas_diagonal_iiT1_lPT2_llS7_llPT3_lli
	.p2align	8
	.type	_ZL23rocblas_trmm_lNx_kernelILi16E19rocblas_complex_numIdES1_KS1_S1_Ev13rocblas_fill_17rocblas_diagonal_iiT1_lPT2_llS7_llPT3_lli,@function
_ZL23rocblas_trmm_lNx_kernelILi16E19rocblas_complex_numIdES1_KS1_S1_Ev13rocblas_fill_17rocblas_diagonal_iiT1_lPT2_llS7_llPT3_lli: ; @_ZL23rocblas_trmm_lNx_kernelILi16E19rocblas_complex_numIdES1_KS1_S1_Ev13rocblas_fill_17rocblas_diagonal_iiT1_lPT2_llS7_llPT3_lli
; %bb.0:
	s_load_dwordx4 s[24:27], s[4:5], 0x10
	s_waitcnt lgkmcnt(0)
	v_cmp_neq_f64_e64 s[0:1], s[24:25], 0
	v_cmp_neq_f64_e64 s[2:3], s[26:27], 0
	s_or_b64 s[0:1], s[0:1], s[2:3]
	s_andn2_b64 vcc, exec, s[0:1]
	s_cbranch_vccnz .LBB133_15
; %bb.1:
	s_load_dwordx4 s[28:31], s[4:5], 0x0
	s_load_dwordx16 s[8:23], s[4:5], 0x28
	s_mov_b32 s0, 0
	s_mov_b32 s3, s0
	;; [unrolled: 1-line block ×4, first 2 shown]
	v_mov_b32_e32 v8, s3
	v_lshlrev_b32_e32 v3, 4, v1
	v_mov_b32_e32 v7, s2
	v_mov_b32_e32 v6, s1
	;; [unrolled: 1-line block ×3, first 2 shown]
	s_waitcnt lgkmcnt(0)
	v_cmp_gt_i32_e64 s[0:1], s30, v1
	v_cmp_gt_i32_e32 vcc, s30, v0
	v_add_lshl_u32 v4, v3, v0, 4
	s_and_b64 s[0:1], s[0:1], vcc
	v_lshlrev_b32_e32 v2, 4, v0
	ds_write_b128 v4, v[5:8]
	ds_write_b128 v4, v[5:8] offset:4096
	s_and_saveexec_b64 s[2:3], s[0:1]
	s_cbranch_execz .LBB133_3
; %bb.2:
	v_mad_u64_u32 v[5:6], s[0:1], s10, v1, 0
	s_mul_i32 s13, s13, s7
	s_mul_hi_u32 s0, s12, s7
	v_mad_u64_u32 v[6:7], s[10:11], s11, v1, v[6:7]
	s_add_i32 s1, s0, s13
	s_mul_i32 s0, s12, s7
	s_lshl_b64 s[0:1], s[0:1], 4
	s_add_u32 s0, s8, s0
	v_lshlrev_b64 v[5:6], 4, v[5:6]
	s_addc_u32 s1, s9, s1
	v_mov_b32_e32 v7, s1
	v_add_co_u32_e64 v5, s[0:1], s0, v5
	v_addc_co_u32_e64 v6, s[0:1], v7, v6, s[0:1]
	v_add_co_u32_e64 v5, s[0:1], v5, v2
	v_addc_co_u32_e64 v6, s[0:1], 0, v6, s[0:1]
	global_load_dwordx4 v[5:8], v[5:6], off
	s_waitcnt vmcnt(0)
	ds_write2_b64 v4, v[5:6], v[7:8] offset1:1
.LBB133_3:
	s_or_b64 exec, exec, s[2:3]
	s_add_i32 s0, s31, -1
	s_ashr_i32 s1, s0, 31
	s_lshr_b32 s1, s1, 28
	s_add_i32 s0, s0, s1
	s_ashr_i32 s1, s0, 4
	s_and_b32 s0, s0, -16
	s_sub_i32 s0, s31, s0
	s_cmp_ge_i32 s6, s1
	s_cselect_b32 s0, s0, 16
	s_lshl_b32 s6, s6, 4
	v_cmp_gt_i32_e64 s[0:1], s0, v1
	s_ashr_i32 s10, s6, 31
	s_and_b64 s[0:1], vcc, s[0:1]
	s_and_saveexec_b64 s[2:3], s[0:1]
	s_cbranch_execz .LBB133_5
; %bb.4:
	s_mul_i32 s8, s19, s7
	s_mul_hi_u32 s9, s18, s7
	s_add_i32 s9, s9, s8
	s_mul_i32 s8, s18, s7
	s_lshl_b64 s[8:9], s[8:9], 4
	s_add_u32 s11, s14, s8
	s_addc_u32 s14, s15, s9
	s_mul_i32 s8, s16, s10
	s_mul_hi_u32 s9, s16, s6
	s_add_i32 s12, s9, s8
	v_mad_u64_u32 v[5:6], s[8:9], s16, v1, 0
	s_mul_i32 s8, s17, s6
	s_add_i32 s9, s12, s8
	v_mad_u64_u32 v[6:7], s[12:13], s17, v1, v[6:7]
	s_mul_i32 s8, s16, s6
	s_lshl_b64 s[8:9], s[8:9], 4
	s_add_u32 s8, s11, s8
	v_lshlrev_b64 v[5:6], 4, v[5:6]
	s_addc_u32 s9, s14, s9
	v_mov_b32_e32 v7, s9
	v_add_co_u32_e32 v5, vcc, s8, v5
	v_addc_co_u32_e32 v6, vcc, v7, v6, vcc
	v_add_co_u32_e32 v5, vcc, v5, v2
	v_addc_co_u32_e32 v6, vcc, 0, v6, vcc
	global_load_dwordx4 v[5:8], v[5:6], off
	v_add_u32_e32 v9, 0x1000, v4
	s_waitcnt vmcnt(0)
	ds_write2_b64 v9, v[5:6], v[7:8] offset1:1
.LBB133_5:
	s_or_b64 exec, exec, s[2:3]
	s_cmpk_eq_i32 s29, 0x84
	s_cselect_b64 s[2:3], -1, 0
	v_cmp_eq_u32_e32 vcc, v1, v0
	s_and_b64 s[8:9], vcc, s[2:3]
	s_and_saveexec_b64 s[2:3], s[8:9]
; %bb.6:
	v_mov_b32_e32 v5, 0
	v_mov_b32_e32 v6, 0x3ff00000
	;; [unrolled: 1-line block ×4, first 2 shown]
	ds_write_b128 v4, v[5:8]
; %bb.7:
	s_or_b64 exec, exec, s[2:3]
	s_cmpk_lg_i32 s28, 0x79
	s_cbranch_scc0 .LBB133_9
; %bb.8:
	v_cmp_lt_u32_e32 vcc, v0, v1
	s_and_b64 s[2:3], vcc, exec
	s_cbranch_execz .LBB133_10
	s_branch .LBB133_11
.LBB133_9:
	s_mov_b64 s[2:3], 0
.LBB133_10:
	v_cmp_gt_u32_e32 vcc, v0, v1
	s_andn2_b64 s[2:3], s[2:3], exec
	s_and_b64 s[8:9], vcc, exec
	s_or_b64 s[2:3], s[2:3], s[8:9]
.LBB133_11:
	s_and_saveexec_b64 s[8:9], s[2:3]
; %bb.12:
	v_mov_b32_e32 v5, 0
	v_mov_b32_e32 v6, v5
	;; [unrolled: 1-line block ×4, first 2 shown]
	ds_write_b128 v4, v[5:8]
; %bb.13:
	s_or_b64 exec, exec, s[8:9]
	s_waitcnt lgkmcnt(0)
	s_barrier
	s_and_saveexec_b64 s[2:3], s[0:1]
	s_cbranch_execz .LBB133_15
; %bb.14:
	v_lshlrev_b32_e32 v0, 4, v3
	ds_read_b128 v[3:6], v0 offset:4096
	ds_read_b128 v[7:10], v2
	ds_read_b128 v[11:14], v2 offset:256
	ds_read_b128 v[15:18], v0 offset:4112
	;; [unrolled: 1-line block ×3, first 2 shown]
	s_load_dwordx2 s[0:1], s[4:5], 0x68
	s_waitcnt lgkmcnt(0)
	v_mul_f64 v[23:24], v[3:4], v[9:10]
	v_mul_f64 v[9:10], v[5:6], v[9:10]
	v_mul_f64 v[35:36], v[15:16], v[13:14]
	v_mul_f64 v[13:14], v[17:18], v[13:14]
	s_mul_i32 s9, s23, s6
	s_mul_i32 s1, s1, s7
	;; [unrolled: 1-line block ×3, first 2 shown]
	v_fma_f64 v[5:6], v[5:6], v[7:8], v[23:24]
	ds_read_b128 v[23:26], v2 offset:512
	ds_read_b128 v[27:30], v2 offset:768
	;; [unrolled: 1-line block ×3, first 2 shown]
	v_fma_f64 v[39:40], v[3:4], v[7:8], -v[9:10]
	v_fma_f64 v[17:18], v[17:18], v[11:12], v[35:36]
	s_waitcnt lgkmcnt(2)
	v_mul_f64 v[37:38], v[19:20], v[25:26]
	v_mul_f64 v[25:26], v[21:22], v[25:26]
	s_waitcnt lgkmcnt(0)
	v_mul_f64 v[41:42], v[31:32], v[29:30]
	v_fma_f64 v[43:44], v[15:16], v[11:12], -v[13:14]
	v_add_f64 v[35:36], v[5:6], 0
	ds_read_b128 v[3:6], v2 offset:1024
	ds_read_b128 v[7:10], v0 offset:4160
	v_mul_f64 v[29:30], v[33:34], v[29:30]
	v_fma_f64 v[21:22], v[21:22], v[23:24], v[37:38]
	v_add_f64 v[37:38], v[39:40], 0
	s_waitcnt lgkmcnt(0)
	v_mul_f64 v[39:40], v[7:8], v[5:6]
	v_fma_f64 v[45:46], v[19:20], v[23:24], -v[25:26]
	v_add_f64 v[35:36], v[35:36], v[17:18]
	v_fma_f64 v[33:34], v[33:34], v[27:28], v[41:42]
	ds_read_b128 v[11:14], v2 offset:1280
	ds_read_b128 v[15:18], v0 offset:4176
	v_mul_f64 v[5:6], v[9:10], v[5:6]
	v_add_f64 v[37:38], v[37:38], v[43:44]
	v_fma_f64 v[43:44], v[31:32], v[27:28], -v[29:30]
	s_waitcnt lgkmcnt(0)
	v_mul_f64 v[41:42], v[15:16], v[13:14]
	v_add_f64 v[35:36], v[35:36], v[21:22]
	v_fma_f64 v[9:10], v[9:10], v[3:4], v[39:40]
	ds_read_b128 v[19:22], v2 offset:1536
	ds_read_b128 v[23:26], v0 offset:4192
	v_mul_f64 v[13:14], v[17:18], v[13:14]
	v_add_f64 v[37:38], v[37:38], v[45:46]
	v_fma_f64 v[45:46], v[7:8], v[3:4], -v[5:6]
	s_waitcnt lgkmcnt(0)
	v_mul_f64 v[39:40], v[23:24], v[21:22]
	;; [unrolled: 9-line block ×6, first 2 shown]
	v_add_f64 v[35:36], v[35:36], v[33:34]
	v_fma_f64 v[17:18], v[17:18], v[11:12], v[41:42]
	ds_read_b128 v[27:30], v2 offset:2816
	ds_read_b128 v[31:34], v0 offset:4272
	v_mul_f64 v[21:22], v[25:26], v[21:22]
	v_fma_f64 v[49:50], v[15:16], v[11:12], -v[13:14]
	v_add_f64 v[41:42], v[37:38], v[43:44]
	s_waitcnt lgkmcnt(0)
	v_mul_f64 v[47:48], v[31:32], v[29:30]
	v_add_f64 v[43:44], v[35:36], v[9:10]
	v_fma_f64 v[25:26], v[25:26], v[19:20], v[39:40]
	ds_read_b128 v[3:6], v2 offset:3072
	ds_read_b128 v[7:10], v2 offset:3328
	;; [unrolled: 1-line block ×3, first 2 shown]
	v_mul_f64 v[29:30], v[33:34], v[29:30]
	v_fma_f64 v[23:24], v[23:24], v[19:20], -v[21:22]
	v_add_f64 v[45:46], v[41:42], v[45:46]
	s_waitcnt lgkmcnt(0)
	v_mul_f64 v[51:52], v[35:36], v[5:6]
	v_add_f64 v[43:44], v[43:44], v[17:18]
	v_fma_f64 v[33:34], v[33:34], v[27:28], v[47:48]
	ds_read_b128 v[11:14], v2 offset:3584
	ds_read_b128 v[15:18], v2 offset:3840
	;; [unrolled: 1-line block ×3, first 2 shown]
	v_mul_f64 v[5:6], v[37:38], v[5:6]
	v_fma_f64 v[27:28], v[31:32], v[27:28], -v[29:30]
	v_add_f64 v[45:46], v[45:46], v[49:50]
	ds_read_b128 v[19:22], v0 offset:4320
	v_fma_f64 v[29:30], v[37:38], v[3:4], v[51:52]
	v_add_f64 v[25:26], v[43:44], v[25:26]
	s_waitcnt lgkmcnt(1)
	v_mul_f64 v[43:44], v[39:40], v[9:10]
	v_mul_f64 v[9:10], v[41:42], v[9:10]
	v_fma_f64 v[3:4], v[35:36], v[3:4], -v[5:6]
	v_add_f64 v[31:32], v[45:46], v[23:24]
	v_add_f64 v[33:34], v[25:26], v[33:34]
	ds_read_b128 v[23:26], v0 offset:4336
	s_waitcnt lgkmcnt(1)
	v_mul_f64 v[37:38], v[19:20], v[13:14]
	v_fma_f64 v[5:6], v[41:42], v[7:8], v[43:44]
	v_mul_f64 v[13:14], v[21:22], v[13:14]
	v_add_f64 v[27:28], v[31:32], v[27:28]
	v_fma_f64 v[7:8], v[39:40], v[7:8], -v[9:10]
	v_mad_u64_u32 v[31:32], s[2:3], s22, v1, 0
	v_add_f64 v[29:30], v[33:34], v[29:30]
	s_waitcnt lgkmcnt(0)
	v_mul_f64 v[33:34], v[23:24], v[17:18]
	v_fma_f64 v[9:10], v[21:22], v[11:12], v[37:38]
	v_mul_f64 v[17:18], v[25:26], v[17:18]
	v_add_f64 v[3:4], v[27:28], v[3:4]
	v_fma_f64 v[11:12], v[19:20], v[11:12], -v[13:14]
	v_mov_b32_e32 v0, v32
	v_mad_u64_u32 v[0:1], s[4:5], s23, v1, v[0:1]
	v_add_f64 v[5:6], v[29:30], v[5:6]
	v_fma_f64 v[13:14], v[25:26], v[15:16], v[33:34]
	v_mov_b32_e32 v32, v0
	v_add_f64 v[3:4], v[3:4], v[7:8]
	v_fma_f64 v[7:8], v[23:24], v[15:16], -v[17:18]
	s_mul_hi_u32 s3, s22, s6
	s_mul_i32 s2, s22, s6
	s_mul_hi_u32 s6, s0, s7
	v_add_f64 v[5:6], v[5:6], v[9:10]
	s_mul_i32 s0, s0, s7
	s_add_i32 s1, s6, s1
	v_add_f64 v[3:4], v[3:4], v[11:12]
	s_lshl_b64 s[0:1], s[0:1], 4
	s_add_u32 s4, s20, s0
	s_addc_u32 s5, s21, s1
	s_add_i32 s0, s3, s8
	v_add_f64 v[5:6], v[5:6], v[13:14]
	s_add_i32 s3, s0, s9
	s_lshl_b64 s[0:1], s[2:3], 4
	v_add_f64 v[0:1], v[3:4], v[7:8]
	v_lshlrev_b64 v[9:10], 4, v[31:32]
	s_add_u32 s0, s4, s0
	s_addc_u32 s1, s5, s1
	v_mov_b32_e32 v11, s1
	v_mul_f64 v[3:4], s[24:25], v[5:6]
	v_mul_f64 v[7:8], s[26:27], v[5:6]
	v_fma_f64 v[5:6], s[26:27], v[0:1], v[3:4]
	v_fma_f64 v[3:4], s[24:25], v[0:1], -v[7:8]
	v_add_co_u32_e32 v0, vcc, s0, v9
	v_addc_co_u32_e32 v1, vcc, v11, v10, vcc
	v_add_co_u32_e32 v0, vcc, v0, v2
	v_addc_co_u32_e32 v1, vcc, 0, v1, vcc
	global_store_dwordx4 v[0:1], v[3:6], off
.LBB133_15:
	s_endpgm
	.section	.rodata,"a",@progbits
	.p2align	6, 0x0
	.amdhsa_kernel _ZL23rocblas_trmm_lNx_kernelILi16E19rocblas_complex_numIdES1_KS1_S1_Ev13rocblas_fill_17rocblas_diagonal_iiT1_lPT2_llS7_llPT3_lli
		.amdhsa_group_segment_fixed_size 8192
		.amdhsa_private_segment_fixed_size 0
		.amdhsa_kernarg_size 116
		.amdhsa_user_sgpr_count 6
		.amdhsa_user_sgpr_private_segment_buffer 1
		.amdhsa_user_sgpr_dispatch_ptr 0
		.amdhsa_user_sgpr_queue_ptr 0
		.amdhsa_user_sgpr_kernarg_segment_ptr 1
		.amdhsa_user_sgpr_dispatch_id 0
		.amdhsa_user_sgpr_flat_scratch_init 0
		.amdhsa_user_sgpr_private_segment_size 0
		.amdhsa_uses_dynamic_stack 0
		.amdhsa_system_sgpr_private_segment_wavefront_offset 0
		.amdhsa_system_sgpr_workgroup_id_x 1
		.amdhsa_system_sgpr_workgroup_id_y 0
		.amdhsa_system_sgpr_workgroup_id_z 1
		.amdhsa_system_sgpr_workgroup_info 0
		.amdhsa_system_vgpr_workitem_id 1
		.amdhsa_next_free_vgpr 53
		.amdhsa_next_free_sgpr 61
		.amdhsa_reserve_vcc 1
		.amdhsa_reserve_flat_scratch 0
		.amdhsa_float_round_mode_32 0
		.amdhsa_float_round_mode_16_64 0
		.amdhsa_float_denorm_mode_32 3
		.amdhsa_float_denorm_mode_16_64 3
		.amdhsa_dx10_clamp 1
		.amdhsa_ieee_mode 1
		.amdhsa_fp16_overflow 0
		.amdhsa_exception_fp_ieee_invalid_op 0
		.amdhsa_exception_fp_denorm_src 0
		.amdhsa_exception_fp_ieee_div_zero 0
		.amdhsa_exception_fp_ieee_overflow 0
		.amdhsa_exception_fp_ieee_underflow 0
		.amdhsa_exception_fp_ieee_inexact 0
		.amdhsa_exception_int_div_zero 0
	.end_amdhsa_kernel
	.section	.text._ZL23rocblas_trmm_lNx_kernelILi16E19rocblas_complex_numIdES1_KS1_S1_Ev13rocblas_fill_17rocblas_diagonal_iiT1_lPT2_llS7_llPT3_lli,"axG",@progbits,_ZL23rocblas_trmm_lNx_kernelILi16E19rocblas_complex_numIdES1_KS1_S1_Ev13rocblas_fill_17rocblas_diagonal_iiT1_lPT2_llS7_llPT3_lli,comdat
.Lfunc_end133:
	.size	_ZL23rocblas_trmm_lNx_kernelILi16E19rocblas_complex_numIdES1_KS1_S1_Ev13rocblas_fill_17rocblas_diagonal_iiT1_lPT2_llS7_llPT3_lli, .Lfunc_end133-_ZL23rocblas_trmm_lNx_kernelILi16E19rocblas_complex_numIdES1_KS1_S1_Ev13rocblas_fill_17rocblas_diagonal_iiT1_lPT2_llS7_llPT3_lli
                                        ; -- End function
	.set _ZL23rocblas_trmm_lNx_kernelILi16E19rocblas_complex_numIdES1_KS1_S1_Ev13rocblas_fill_17rocblas_diagonal_iiT1_lPT2_llS7_llPT3_lli.num_vgpr, 53
	.set _ZL23rocblas_trmm_lNx_kernelILi16E19rocblas_complex_numIdES1_KS1_S1_Ev13rocblas_fill_17rocblas_diagonal_iiT1_lPT2_llS7_llPT3_lli.num_agpr, 0
	.set _ZL23rocblas_trmm_lNx_kernelILi16E19rocblas_complex_numIdES1_KS1_S1_Ev13rocblas_fill_17rocblas_diagonal_iiT1_lPT2_llS7_llPT3_lli.numbered_sgpr, 32
	.set _ZL23rocblas_trmm_lNx_kernelILi16E19rocblas_complex_numIdES1_KS1_S1_Ev13rocblas_fill_17rocblas_diagonal_iiT1_lPT2_llS7_llPT3_lli.num_named_barrier, 0
	.set _ZL23rocblas_trmm_lNx_kernelILi16E19rocblas_complex_numIdES1_KS1_S1_Ev13rocblas_fill_17rocblas_diagonal_iiT1_lPT2_llS7_llPT3_lli.private_seg_size, 0
	.set _ZL23rocblas_trmm_lNx_kernelILi16E19rocblas_complex_numIdES1_KS1_S1_Ev13rocblas_fill_17rocblas_diagonal_iiT1_lPT2_llS7_llPT3_lli.uses_vcc, 1
	.set _ZL23rocblas_trmm_lNx_kernelILi16E19rocblas_complex_numIdES1_KS1_S1_Ev13rocblas_fill_17rocblas_diagonal_iiT1_lPT2_llS7_llPT3_lli.uses_flat_scratch, 0
	.set _ZL23rocblas_trmm_lNx_kernelILi16E19rocblas_complex_numIdES1_KS1_S1_Ev13rocblas_fill_17rocblas_diagonal_iiT1_lPT2_llS7_llPT3_lli.has_dyn_sized_stack, 0
	.set _ZL23rocblas_trmm_lNx_kernelILi16E19rocblas_complex_numIdES1_KS1_S1_Ev13rocblas_fill_17rocblas_diagonal_iiT1_lPT2_llS7_llPT3_lli.has_recursion, 0
	.set _ZL23rocblas_trmm_lNx_kernelILi16E19rocblas_complex_numIdES1_KS1_S1_Ev13rocblas_fill_17rocblas_diagonal_iiT1_lPT2_llS7_llPT3_lli.has_indirect_call, 0
	.section	.AMDGPU.csdata,"",@progbits
; Kernel info:
; codeLenInByte = 1864
; TotalNumSgprs: 36
; NumVgprs: 53
; ScratchSize: 0
; MemoryBound: 0
; FloatMode: 240
; IeeeMode: 1
; LDSByteSize: 8192 bytes/workgroup (compile time only)
; SGPRBlocks: 8
; VGPRBlocks: 13
; NumSGPRsForWavesPerEU: 65
; NumVGPRsForWavesPerEU: 53
; Occupancy: 4
; WaveLimiterHint : 0
; COMPUTE_PGM_RSRC2:SCRATCH_EN: 0
; COMPUTE_PGM_RSRC2:USER_SGPR: 6
; COMPUTE_PGM_RSRC2:TRAP_HANDLER: 0
; COMPUTE_PGM_RSRC2:TGID_X_EN: 1
; COMPUTE_PGM_RSRC2:TGID_Y_EN: 0
; COMPUTE_PGM_RSRC2:TGID_Z_EN: 1
; COMPUTE_PGM_RSRC2:TIDIG_COMP_CNT: 1
	.section	.text._ZL23rocblas_trmm_lTx_kernelILi16ELb0E19rocblas_complex_numIdEPKS1_S2_S1_Ev13rocblas_fill_17rocblas_diagonal_iiT2_lPT3_llS8_llPT4_lli,"axG",@progbits,_ZL23rocblas_trmm_lTx_kernelILi16ELb0E19rocblas_complex_numIdEPKS1_S2_S1_Ev13rocblas_fill_17rocblas_diagonal_iiT2_lPT3_llS8_llPT4_lli,comdat
	.globl	_ZL23rocblas_trmm_lTx_kernelILi16ELb0E19rocblas_complex_numIdEPKS1_S2_S1_Ev13rocblas_fill_17rocblas_diagonal_iiT2_lPT3_llS8_llPT4_lli ; -- Begin function _ZL23rocblas_trmm_lTx_kernelILi16ELb0E19rocblas_complex_numIdEPKS1_S2_S1_Ev13rocblas_fill_17rocblas_diagonal_iiT2_lPT3_llS8_llPT4_lli
	.p2align	8
	.type	_ZL23rocblas_trmm_lTx_kernelILi16ELb0E19rocblas_complex_numIdEPKS1_S2_S1_Ev13rocblas_fill_17rocblas_diagonal_iiT2_lPT3_llS8_llPT4_lli,@function
_ZL23rocblas_trmm_lTx_kernelILi16ELb0E19rocblas_complex_numIdEPKS1_S2_S1_Ev13rocblas_fill_17rocblas_diagonal_iiT2_lPT3_llS8_llPT4_lli: ; @_ZL23rocblas_trmm_lTx_kernelILi16ELb0E19rocblas_complex_numIdEPKS1_S2_S1_Ev13rocblas_fill_17rocblas_diagonal_iiT2_lPT3_llS8_llPT4_lli
; %bb.0:
	s_load_dwordx16 s[8:23], s[4:5], 0x10
	s_waitcnt lgkmcnt(0)
	s_mul_i32 s0, s11, s7
	s_mul_hi_u32 s1, s10, s7
	s_add_i32 s1, s1, s0
	s_mul_i32 s0, s10, s7
	s_lshl_b64 s[0:1], s[0:1], 4
	s_add_u32 s0, s8, s0
	s_addc_u32 s1, s9, s1
	s_load_dwordx4 s[8:11], s[0:1], 0x0
	s_waitcnt lgkmcnt(0)
	v_cmp_neq_f64_e64 s[0:1], s[8:9], 0
	v_cmp_neq_f64_e64 s[2:3], s[10:11], 0
	s_or_b64 s[0:1], s[0:1], s[2:3]
	s_andn2_b64 vcc, exec, s[0:1]
	s_cbranch_vccnz .LBB134_15
; %bb.1:
	s_load_dwordx4 s[24:27], s[4:5], 0x0
	s_mov_b32 s0, 0
	s_mov_b32 s3, s0
	;; [unrolled: 1-line block ×4, first 2 shown]
	v_mov_b32_e32 v8, s3
	v_lshlrev_b32_e32 v3, 4, v1
	v_mov_b32_e32 v7, s2
	v_mov_b32_e32 v6, s1
	;; [unrolled: 1-line block ×3, first 2 shown]
	s_waitcnt lgkmcnt(0)
	v_cmp_gt_i32_e64 s[0:1], s26, v1
	v_cmp_gt_i32_e32 vcc, s26, v0
	v_add_lshl_u32 v4, v3, v0, 4
	s_and_b64 s[0:1], s[0:1], vcc
	v_lshlrev_b32_e32 v2, 4, v0
	ds_write_b128 v4, v[5:8]
	ds_write_b128 v4, v[5:8] offset:4096
	s_waitcnt lgkmcnt(0)
	s_barrier
	s_and_saveexec_b64 s[2:3], s[0:1]
	s_cbranch_execz .LBB134_3
; %bb.2:
	v_mad_u64_u32 v[5:6], s[0:1], s14, v1, 0
	s_mul_i32 s17, s17, s7
	s_mul_hi_u32 s0, s16, s7
	v_mad_u64_u32 v[6:7], s[14:15], s15, v1, v[6:7]
	s_add_i32 s1, s0, s17
	s_mul_i32 s0, s16, s7
	s_lshl_b64 s[0:1], s[0:1], 4
	s_add_u32 s0, s12, s0
	v_lshlrev_b64 v[5:6], 4, v[5:6]
	s_addc_u32 s1, s13, s1
	v_mov_b32_e32 v7, s1
	v_add_co_u32_e64 v5, s[0:1], s0, v5
	v_addc_co_u32_e64 v6, s[0:1], v7, v6, s[0:1]
	v_add_co_u32_e64 v5, s[0:1], v5, v2
	v_addc_co_u32_e64 v6, s[0:1], 0, v6, s[0:1]
	global_load_dwordx4 v[5:8], v[5:6], off
	v_lshl_add_u32 v9, v0, 8, v3
	s_waitcnt vmcnt(0)
	ds_write2_b64 v9, v[5:6], v[7:8] offset1:1
.LBB134_3:
	s_or_b64 exec, exec, s[2:3]
	s_add_i32 s0, s27, -1
	s_ashr_i32 s1, s0, 31
	s_lshr_b32 s1, s1, 28
	s_add_i32 s0, s0, s1
	s_ashr_i32 s1, s0, 4
	s_and_b32 s0, s0, -16
	s_sub_i32 s0, s27, s0
	s_cmp_ge_i32 s6, s1
	s_cselect_b32 s0, s0, 16
	s_lshl_b32 s6, s6, 4
	v_cmp_gt_i32_e64 s[0:1], s0, v1
	s_ashr_i32 s14, s6, 31
	s_and_b64 s[0:1], vcc, s[0:1]
	s_and_saveexec_b64 s[2:3], s[0:1]
	s_cbranch_execz .LBB134_5
; %bb.4:
	s_mul_i32 s12, s23, s7
	s_mul_hi_u32 s13, s22, s7
	s_add_i32 s13, s13, s12
	s_mul_i32 s12, s22, s7
	s_lshl_b64 s[12:13], s[12:13], 4
	s_add_u32 s15, s18, s12
	s_addc_u32 s18, s19, s13
	s_mul_i32 s12, s20, s14
	s_mul_hi_u32 s13, s20, s6
	s_add_i32 s16, s13, s12
	v_mad_u64_u32 v[5:6], s[12:13], s20, v1, 0
	s_mul_i32 s12, s21, s6
	s_add_i32 s13, s16, s12
	v_mad_u64_u32 v[6:7], s[16:17], s21, v1, v[6:7]
	s_mul_i32 s12, s20, s6
	s_lshl_b64 s[12:13], s[12:13], 4
	s_add_u32 s12, s15, s12
	v_lshlrev_b64 v[5:6], 4, v[5:6]
	s_addc_u32 s13, s18, s13
	v_mov_b32_e32 v7, s13
	v_add_co_u32_e32 v5, vcc, s12, v5
	v_addc_co_u32_e32 v6, vcc, v7, v6, vcc
	v_add_co_u32_e32 v5, vcc, v5, v2
	v_addc_co_u32_e32 v6, vcc, 0, v6, vcc
	global_load_dwordx4 v[5:8], v[5:6], off
	v_add_u32_e32 v9, 0x1000, v4
	s_waitcnt vmcnt(0)
	ds_write2_b64 v9, v[5:6], v[7:8] offset1:1
.LBB134_5:
	s_or_b64 exec, exec, s[2:3]
	s_cmpk_eq_i32 s25, 0x84
	s_cselect_b64 s[2:3], -1, 0
	v_cmp_eq_u32_e32 vcc, v1, v0
	s_and_b64 s[12:13], vcc, s[2:3]
	s_and_saveexec_b64 s[2:3], s[12:13]
; %bb.6:
	v_mov_b32_e32 v5, 0
	v_mov_b32_e32 v6, 0x3ff00000
	;; [unrolled: 1-line block ×4, first 2 shown]
	ds_write_b128 v4, v[5:8]
; %bb.7:
	s_or_b64 exec, exec, s[2:3]
	s_cmpk_lg_i32 s24, 0x7a
	s_waitcnt lgkmcnt(0)
	s_barrier
	s_cbranch_scc0 .LBB134_9
; %bb.8:
	v_cmp_lt_u32_e32 vcc, v0, v1
	s_and_b64 s[2:3], vcc, exec
	s_cbranch_execz .LBB134_10
	s_branch .LBB134_11
.LBB134_9:
	s_mov_b64 s[2:3], 0
.LBB134_10:
	v_cmp_gt_u32_e32 vcc, v0, v1
	s_andn2_b64 s[2:3], s[2:3], exec
	s_and_b64 s[12:13], vcc, exec
	s_or_b64 s[2:3], s[2:3], s[12:13]
.LBB134_11:
	s_and_saveexec_b64 s[12:13], s[2:3]
; %bb.12:
	v_mov_b32_e32 v5, 0
	v_mov_b32_e32 v6, v5
	v_mov_b32_e32 v7, v5
	v_mov_b32_e32 v8, v5
	ds_write_b128 v4, v[5:8]
; %bb.13:
	s_or_b64 exec, exec, s[12:13]
	s_waitcnt lgkmcnt(0)
	s_barrier
	s_and_saveexec_b64 s[2:3], s[0:1]
	s_cbranch_execz .LBB134_15
; %bb.14:
	v_lshlrev_b32_e32 v0, 4, v3
	ds_read_b128 v[3:6], v0 offset:4096
	ds_read_b128 v[7:10], v2
	ds_read_b128 v[11:14], v2 offset:256
	ds_read_b128 v[15:18], v0 offset:4112
	;; [unrolled: 1-line block ×3, first 2 shown]
	s_waitcnt lgkmcnt(3)
	v_mul_f64 v[23:24], v[3:4], v[9:10]
	v_mul_f64 v[9:10], v[5:6], v[9:10]
	s_waitcnt lgkmcnt(1)
	v_mul_f64 v[35:36], v[15:16], v[13:14]
	v_mul_f64 v[13:14], v[17:18], v[13:14]
	v_fma_f64 v[5:6], v[5:6], v[7:8], v[23:24]
	ds_read_b128 v[23:26], v2 offset:512
	ds_read_b128 v[27:30], v2 offset:768
	ds_read_b128 v[31:34], v0 offset:4144
	v_fma_f64 v[39:40], v[3:4], v[7:8], -v[9:10]
	v_fma_f64 v[17:18], v[17:18], v[11:12], v[35:36]
	s_waitcnt lgkmcnt(2)
	v_mul_f64 v[37:38], v[19:20], v[25:26]
	v_mul_f64 v[25:26], v[21:22], v[25:26]
	s_waitcnt lgkmcnt(0)
	v_mul_f64 v[41:42], v[31:32], v[29:30]
	v_fma_f64 v[43:44], v[15:16], v[11:12], -v[13:14]
	v_add_f64 v[35:36], v[5:6], 0
	ds_read_b128 v[3:6], v2 offset:1024
	ds_read_b128 v[7:10], v0 offset:4160
	v_mul_f64 v[29:30], v[33:34], v[29:30]
	v_fma_f64 v[21:22], v[21:22], v[23:24], v[37:38]
	v_add_f64 v[37:38], v[39:40], 0
	s_waitcnt lgkmcnt(0)
	v_mul_f64 v[39:40], v[7:8], v[5:6]
	v_fma_f64 v[45:46], v[19:20], v[23:24], -v[25:26]
	v_add_f64 v[35:36], v[35:36], v[17:18]
	v_fma_f64 v[33:34], v[33:34], v[27:28], v[41:42]
	ds_read_b128 v[11:14], v2 offset:1280
	ds_read_b128 v[15:18], v0 offset:4176
	v_mul_f64 v[5:6], v[9:10], v[5:6]
	v_add_f64 v[37:38], v[37:38], v[43:44]
	v_fma_f64 v[43:44], v[31:32], v[27:28], -v[29:30]
	s_waitcnt lgkmcnt(0)
	v_mul_f64 v[41:42], v[15:16], v[13:14]
	v_add_f64 v[35:36], v[35:36], v[21:22]
	v_fma_f64 v[9:10], v[9:10], v[3:4], v[39:40]
	ds_read_b128 v[19:22], v2 offset:1536
	ds_read_b128 v[23:26], v0 offset:4192
	v_mul_f64 v[13:14], v[17:18], v[13:14]
	v_add_f64 v[37:38], v[37:38], v[45:46]
	v_fma_f64 v[45:46], v[7:8], v[3:4], -v[5:6]
	s_waitcnt lgkmcnt(0)
	v_mul_f64 v[39:40], v[23:24], v[21:22]
	;; [unrolled: 9-line block ×4, first 2 shown]
	v_add_f64 v[35:36], v[35:36], v[17:18]
	v_fma_f64 v[41:42], v[33:34], v[27:28], v[41:42]
	ds_read_b128 v[11:14], v2 offset:2304
	ds_read_b128 v[15:18], v0 offset:4240
	v_mul_f64 v[5:6], v[9:10], v[5:6]
	v_fma_f64 v[31:32], v[31:32], v[27:28], -v[29:30]
	v_add_f64 v[37:38], v[37:38], v[43:44]
	s_waitcnt lgkmcnt(0)
	v_mul_f64 v[47:48], v[15:16], v[13:14]
	v_add_f64 v[43:44], v[35:36], v[25:26]
	v_fma_f64 v[9:10], v[9:10], v[3:4], v[39:40]
	ds_read_b128 v[19:22], v2 offset:2560
	ds_read_b128 v[23:26], v2 offset:2816
	;; [unrolled: 1-line block ×3, first 2 shown]
	v_mul_f64 v[13:14], v[17:18], v[13:14]
	v_fma_f64 v[53:54], v[7:8], v[3:4], -v[5:6]
	v_add_f64 v[45:46], v[37:38], v[45:46]
	s_waitcnt lgkmcnt(0)
	v_mul_f64 v[51:52], v[33:34], v[21:22]
	v_add_f64 v[49:50], v[43:44], v[41:42]
	v_fma_f64 v[17:18], v[17:18], v[11:12], v[47:48]
	ds_read_b128 v[27:30], v2 offset:3072
	ds_read_b128 v[37:40], v2 offset:3328
	;; [unrolled: 1-line block ×3, first 2 shown]
	v_fma_f64 v[15:16], v[15:16], v[11:12], -v[13:14]
	v_mul_f64 v[21:22], v[35:36], v[21:22]
	v_add_f64 v[31:32], v[45:46], v[31:32]
	s_waitcnt lgkmcnt(0)
	v_mul_f64 v[55:56], v[41:42], v[25:26]
	v_add_f64 v[49:50], v[49:50], v[9:10]
	v_fma_f64 v[35:36], v[35:36], v[19:20], v[51:52]
	ds_read_b128 v[3:6], v2 offset:3584
	ds_read_b128 v[7:10], v2 offset:3840
	;; [unrolled: 1-line block ×3, first 2 shown]
	v_mul_f64 v[25:26], v[43:44], v[25:26]
	v_fma_f64 v[33:34], v[33:34], v[19:20], -v[21:22]
	v_add_f64 v[31:32], v[31:32], v[53:54]
	s_load_dwordx2 s[12:13], s[4:5], 0x60
	s_load_dwordx4 s[0:3], s[4:5], 0x50
	v_fma_f64 v[43:44], v[43:44], v[23:24], v[55:56]
	v_add_f64 v[17:18], v[49:50], v[17:18]
	s_waitcnt lgkmcnt(0)
	v_mul_f64 v[49:50], v[45:46], v[29:30]
	ds_read_b128 v[11:14], v0 offset:4304
	v_mul_f64 v[29:30], v[47:48], v[29:30]
	v_fma_f64 v[23:24], v[41:42], v[23:24], -v[25:26]
	v_add_f64 v[31:32], v[31:32], v[15:16]
	s_mul_i32 s5, s13, s7
	s_waitcnt lgkmcnt(0)
	v_mul_f64 v[51:52], v[11:12], v[39:40]
	v_add_f64 v[35:36], v[17:18], v[35:36]
	v_fma_f64 v[25:26], v[47:48], v[27:28], v[49:50]
	ds_read_b128 v[15:18], v0 offset:4320
	ds_read_b128 v[19:22], v0 offset:4336
	v_fma_f64 v[27:28], v[45:46], v[27:28], -v[29:30]
	s_mul_hi_u32 s15, s12, s7
	v_add_f64 v[31:32], v[31:32], v[33:34]
	s_mul_i32 s4, s12, s7
	s_waitcnt lgkmcnt(0)
	v_mul_f64 v[29:30], v[19:20], v[9:10]
	v_add_f64 v[33:34], v[35:36], v[43:44]
	v_mul_f64 v[35:36], v[13:14], v[39:40]
	v_mul_f64 v[39:40], v[15:16], v[5:6]
	v_fma_f64 v[13:14], v[13:14], v[37:38], v[51:52]
	v_mul_f64 v[5:6], v[17:18], v[5:6]
	v_add_f64 v[23:24], v[31:32], v[23:24]
	v_mul_f64 v[9:10], v[21:22], v[9:10]
	s_add_i32 s5, s15, s5
	v_add_f64 v[25:26], v[33:34], v[25:26]
	v_fma_f64 v[11:12], v[11:12], v[37:38], -v[35:36]
	v_fma_f64 v[17:18], v[17:18], v[3:4], v[39:40]
	s_lshl_b64 s[4:5], s[4:5], 4
	v_fma_f64 v[3:4], v[15:16], v[3:4], -v[5:6]
	v_add_f64 v[23:24], v[23:24], v[27:28]
	v_fma_f64 v[5:6], v[21:22], v[7:8], v[29:30]
	v_fma_f64 v[7:8], v[19:20], v[7:8], -v[9:10]
	v_add_f64 v[13:14], v[25:26], v[13:14]
	v_mad_u64_u32 v[15:16], s[12:13], s2, v1, 0
	s_mul_i32 s7, s2, s14
	s_mul_hi_u32 s14, s2, s6
	v_add_f64 v[11:12], v[23:24], v[11:12]
	s_mul_i32 s16, s3, s6
	s_mul_i32 s6, s2, s6
	v_add_f64 v[13:14], v[13:14], v[17:18]
	s_add_u32 s2, s0, s4
	s_addc_u32 s4, s1, s5
	s_add_i32 s0, s14, s7
	v_mov_b32_e32 v0, v16
	v_add_f64 v[3:4], v[11:12], v[3:4]
	s_add_i32 s7, s0, s16
	v_mad_u64_u32 v[0:1], s[0:1], s3, v1, v[0:1]
	v_add_f64 v[5:6], v[13:14], v[5:6]
	s_lshl_b64 s[0:1], s[6:7], 4
	v_mov_b32_e32 v16, v0
	s_add_u32 s0, s2, s0
	v_add_f64 v[3:4], v[3:4], v[7:8]
	v_lshlrev_b64 v[0:1], 4, v[15:16]
	s_addc_u32 s1, s4, s1
	v_mov_b32_e32 v11, s1
	v_mul_f64 v[7:8], s[8:9], v[5:6]
	v_mul_f64 v[9:10], s[10:11], v[5:6]
	v_add_co_u32_e32 v0, vcc, s0, v0
	v_addc_co_u32_e32 v1, vcc, v11, v1, vcc
	v_add_co_u32_e32 v0, vcc, v0, v2
	v_fma_f64 v[5:6], s[10:11], v[3:4], v[7:8]
	v_fma_f64 v[3:4], s[8:9], v[3:4], -v[9:10]
	v_addc_co_u32_e32 v1, vcc, 0, v1, vcc
	global_store_dwordx4 v[0:1], v[3:6], off
.LBB134_15:
	s_endpgm
	.section	.rodata,"a",@progbits
	.p2align	6, 0x0
	.amdhsa_kernel _ZL23rocblas_trmm_lTx_kernelILi16ELb0E19rocblas_complex_numIdEPKS1_S2_S1_Ev13rocblas_fill_17rocblas_diagonal_iiT2_lPT3_llS8_llPT4_lli
		.amdhsa_group_segment_fixed_size 8192
		.amdhsa_private_segment_fixed_size 0
		.amdhsa_kernarg_size 108
		.amdhsa_user_sgpr_count 6
		.amdhsa_user_sgpr_private_segment_buffer 1
		.amdhsa_user_sgpr_dispatch_ptr 0
		.amdhsa_user_sgpr_queue_ptr 0
		.amdhsa_user_sgpr_kernarg_segment_ptr 1
		.amdhsa_user_sgpr_dispatch_id 0
		.amdhsa_user_sgpr_flat_scratch_init 0
		.amdhsa_user_sgpr_private_segment_size 0
		.amdhsa_uses_dynamic_stack 0
		.amdhsa_system_sgpr_private_segment_wavefront_offset 0
		.amdhsa_system_sgpr_workgroup_id_x 1
		.amdhsa_system_sgpr_workgroup_id_y 0
		.amdhsa_system_sgpr_workgroup_id_z 1
		.amdhsa_system_sgpr_workgroup_info 0
		.amdhsa_system_vgpr_workitem_id 1
		.amdhsa_next_free_vgpr 57
		.amdhsa_next_free_sgpr 61
		.amdhsa_reserve_vcc 1
		.amdhsa_reserve_flat_scratch 0
		.amdhsa_float_round_mode_32 0
		.amdhsa_float_round_mode_16_64 0
		.amdhsa_float_denorm_mode_32 3
		.amdhsa_float_denorm_mode_16_64 3
		.amdhsa_dx10_clamp 1
		.amdhsa_ieee_mode 1
		.amdhsa_fp16_overflow 0
		.amdhsa_exception_fp_ieee_invalid_op 0
		.amdhsa_exception_fp_denorm_src 0
		.amdhsa_exception_fp_ieee_div_zero 0
		.amdhsa_exception_fp_ieee_overflow 0
		.amdhsa_exception_fp_ieee_underflow 0
		.amdhsa_exception_fp_ieee_inexact 0
		.amdhsa_exception_int_div_zero 0
	.end_amdhsa_kernel
	.section	.text._ZL23rocblas_trmm_lTx_kernelILi16ELb0E19rocblas_complex_numIdEPKS1_S2_S1_Ev13rocblas_fill_17rocblas_diagonal_iiT2_lPT3_llS8_llPT4_lli,"axG",@progbits,_ZL23rocblas_trmm_lTx_kernelILi16ELb0E19rocblas_complex_numIdEPKS1_S2_S1_Ev13rocblas_fill_17rocblas_diagonal_iiT2_lPT3_llS8_llPT4_lli,comdat
.Lfunc_end134:
	.size	_ZL23rocblas_trmm_lTx_kernelILi16ELb0E19rocblas_complex_numIdEPKS1_S2_S1_Ev13rocblas_fill_17rocblas_diagonal_iiT2_lPT3_llS8_llPT4_lli, .Lfunc_end134-_ZL23rocblas_trmm_lTx_kernelILi16ELb0E19rocblas_complex_numIdEPKS1_S2_S1_Ev13rocblas_fill_17rocblas_diagonal_iiT2_lPT3_llS8_llPT4_lli
                                        ; -- End function
	.set _ZL23rocblas_trmm_lTx_kernelILi16ELb0E19rocblas_complex_numIdEPKS1_S2_S1_Ev13rocblas_fill_17rocblas_diagonal_iiT2_lPT3_llS8_llPT4_lli.num_vgpr, 57
	.set _ZL23rocblas_trmm_lTx_kernelILi16ELb0E19rocblas_complex_numIdEPKS1_S2_S1_Ev13rocblas_fill_17rocblas_diagonal_iiT2_lPT3_llS8_llPT4_lli.num_agpr, 0
	.set _ZL23rocblas_trmm_lTx_kernelILi16ELb0E19rocblas_complex_numIdEPKS1_S2_S1_Ev13rocblas_fill_17rocblas_diagonal_iiT2_lPT3_llS8_llPT4_lli.numbered_sgpr, 28
	.set _ZL23rocblas_trmm_lTx_kernelILi16ELb0E19rocblas_complex_numIdEPKS1_S2_S1_Ev13rocblas_fill_17rocblas_diagonal_iiT2_lPT3_llS8_llPT4_lli.num_named_barrier, 0
	.set _ZL23rocblas_trmm_lTx_kernelILi16ELb0E19rocblas_complex_numIdEPKS1_S2_S1_Ev13rocblas_fill_17rocblas_diagonal_iiT2_lPT3_llS8_llPT4_lli.private_seg_size, 0
	.set _ZL23rocblas_trmm_lTx_kernelILi16ELb0E19rocblas_complex_numIdEPKS1_S2_S1_Ev13rocblas_fill_17rocblas_diagonal_iiT2_lPT3_llS8_llPT4_lli.uses_vcc, 1
	.set _ZL23rocblas_trmm_lTx_kernelILi16ELb0E19rocblas_complex_numIdEPKS1_S2_S1_Ev13rocblas_fill_17rocblas_diagonal_iiT2_lPT3_llS8_llPT4_lli.uses_flat_scratch, 0
	.set _ZL23rocblas_trmm_lTx_kernelILi16ELb0E19rocblas_complex_numIdEPKS1_S2_S1_Ev13rocblas_fill_17rocblas_diagonal_iiT2_lPT3_llS8_llPT4_lli.has_dyn_sized_stack, 0
	.set _ZL23rocblas_trmm_lTx_kernelILi16ELb0E19rocblas_complex_numIdEPKS1_S2_S1_Ev13rocblas_fill_17rocblas_diagonal_iiT2_lPT3_llS8_llPT4_lli.has_recursion, 0
	.set _ZL23rocblas_trmm_lTx_kernelILi16ELb0E19rocblas_complex_numIdEPKS1_S2_S1_Ev13rocblas_fill_17rocblas_diagonal_iiT2_lPT3_llS8_llPT4_lli.has_indirect_call, 0
	.section	.AMDGPU.csdata,"",@progbits
; Kernel info:
; codeLenInByte = 1928
; TotalNumSgprs: 32
; NumVgprs: 57
; ScratchSize: 0
; MemoryBound: 0
; FloatMode: 240
; IeeeMode: 1
; LDSByteSize: 8192 bytes/workgroup (compile time only)
; SGPRBlocks: 8
; VGPRBlocks: 14
; NumSGPRsForWavesPerEU: 65
; NumVGPRsForWavesPerEU: 57
; Occupancy: 4
; WaveLimiterHint : 0
; COMPUTE_PGM_RSRC2:SCRATCH_EN: 0
; COMPUTE_PGM_RSRC2:USER_SGPR: 6
; COMPUTE_PGM_RSRC2:TRAP_HANDLER: 0
; COMPUTE_PGM_RSRC2:TGID_X_EN: 1
; COMPUTE_PGM_RSRC2:TGID_Y_EN: 0
; COMPUTE_PGM_RSRC2:TGID_Z_EN: 1
; COMPUTE_PGM_RSRC2:TIDIG_COMP_CNT: 1
	.section	.text._ZL23rocblas_trmm_lTx_kernelILi16ELb0E19rocblas_complex_numIdES1_KS1_S1_Ev13rocblas_fill_17rocblas_diagonal_iiT2_lPT3_llS7_llPT4_lli,"axG",@progbits,_ZL23rocblas_trmm_lTx_kernelILi16ELb0E19rocblas_complex_numIdES1_KS1_S1_Ev13rocblas_fill_17rocblas_diagonal_iiT2_lPT3_llS7_llPT4_lli,comdat
	.globl	_ZL23rocblas_trmm_lTx_kernelILi16ELb0E19rocblas_complex_numIdES1_KS1_S1_Ev13rocblas_fill_17rocblas_diagonal_iiT2_lPT3_llS7_llPT4_lli ; -- Begin function _ZL23rocblas_trmm_lTx_kernelILi16ELb0E19rocblas_complex_numIdES1_KS1_S1_Ev13rocblas_fill_17rocblas_diagonal_iiT2_lPT3_llS7_llPT4_lli
	.p2align	8
	.type	_ZL23rocblas_trmm_lTx_kernelILi16ELb0E19rocblas_complex_numIdES1_KS1_S1_Ev13rocblas_fill_17rocblas_diagonal_iiT2_lPT3_llS7_llPT4_lli,@function
_ZL23rocblas_trmm_lTx_kernelILi16ELb0E19rocblas_complex_numIdES1_KS1_S1_Ev13rocblas_fill_17rocblas_diagonal_iiT2_lPT3_llS7_llPT4_lli: ; @_ZL23rocblas_trmm_lTx_kernelILi16ELb0E19rocblas_complex_numIdES1_KS1_S1_Ev13rocblas_fill_17rocblas_diagonal_iiT2_lPT3_llS7_llPT4_lli
; %bb.0:
	s_load_dwordx4 s[24:27], s[4:5], 0x10
	s_waitcnt lgkmcnt(0)
	v_cmp_neq_f64_e64 s[0:1], s[24:25], 0
	v_cmp_neq_f64_e64 s[2:3], s[26:27], 0
	s_or_b64 s[0:1], s[0:1], s[2:3]
	s_andn2_b64 vcc, exec, s[0:1]
	s_cbranch_vccnz .LBB135_15
; %bb.1:
	s_load_dwordx4 s[28:31], s[4:5], 0x0
	s_load_dwordx16 s[8:23], s[4:5], 0x28
	s_mov_b32 s0, 0
	s_mov_b32 s3, s0
	;; [unrolled: 1-line block ×4, first 2 shown]
	v_mov_b32_e32 v8, s3
	v_lshlrev_b32_e32 v3, 4, v1
	v_mov_b32_e32 v7, s2
	v_mov_b32_e32 v6, s1
	;; [unrolled: 1-line block ×3, first 2 shown]
	s_waitcnt lgkmcnt(0)
	v_cmp_gt_i32_e64 s[0:1], s30, v1
	v_cmp_gt_i32_e32 vcc, s30, v0
	v_add_lshl_u32 v4, v3, v0, 4
	s_and_b64 s[0:1], s[0:1], vcc
	v_lshlrev_b32_e32 v2, 4, v0
	ds_write_b128 v4, v[5:8]
	ds_write_b128 v4, v[5:8] offset:4096
	s_waitcnt lgkmcnt(0)
	s_barrier
	s_and_saveexec_b64 s[2:3], s[0:1]
	s_cbranch_execz .LBB135_3
; %bb.2:
	v_mad_u64_u32 v[5:6], s[0:1], s10, v1, 0
	s_mul_i32 s13, s13, s7
	s_mul_hi_u32 s0, s12, s7
	v_mad_u64_u32 v[6:7], s[10:11], s11, v1, v[6:7]
	s_add_i32 s1, s0, s13
	s_mul_i32 s0, s12, s7
	s_lshl_b64 s[0:1], s[0:1], 4
	s_add_u32 s0, s8, s0
	v_lshlrev_b64 v[5:6], 4, v[5:6]
	s_addc_u32 s1, s9, s1
	v_mov_b32_e32 v7, s1
	v_add_co_u32_e64 v5, s[0:1], s0, v5
	v_addc_co_u32_e64 v6, s[0:1], v7, v6, s[0:1]
	v_add_co_u32_e64 v5, s[0:1], v5, v2
	v_addc_co_u32_e64 v6, s[0:1], 0, v6, s[0:1]
	global_load_dwordx4 v[5:8], v[5:6], off
	v_lshl_add_u32 v9, v0, 8, v3
	s_waitcnt vmcnt(0)
	ds_write2_b64 v9, v[5:6], v[7:8] offset1:1
.LBB135_3:
	s_or_b64 exec, exec, s[2:3]
	s_add_i32 s0, s31, -1
	s_ashr_i32 s1, s0, 31
	s_lshr_b32 s1, s1, 28
	s_add_i32 s0, s0, s1
	s_ashr_i32 s1, s0, 4
	s_and_b32 s0, s0, -16
	s_sub_i32 s0, s31, s0
	s_cmp_ge_i32 s6, s1
	s_cselect_b32 s0, s0, 16
	s_lshl_b32 s6, s6, 4
	v_cmp_gt_i32_e64 s[0:1], s0, v1
	s_ashr_i32 s10, s6, 31
	s_and_b64 s[0:1], vcc, s[0:1]
	s_and_saveexec_b64 s[2:3], s[0:1]
	s_cbranch_execz .LBB135_5
; %bb.4:
	s_mul_i32 s8, s19, s7
	s_mul_hi_u32 s9, s18, s7
	s_add_i32 s9, s9, s8
	s_mul_i32 s8, s18, s7
	s_lshl_b64 s[8:9], s[8:9], 4
	s_add_u32 s11, s14, s8
	s_addc_u32 s14, s15, s9
	s_mul_i32 s8, s16, s10
	s_mul_hi_u32 s9, s16, s6
	s_add_i32 s12, s9, s8
	v_mad_u64_u32 v[5:6], s[8:9], s16, v1, 0
	s_mul_i32 s8, s17, s6
	s_add_i32 s9, s12, s8
	v_mad_u64_u32 v[6:7], s[12:13], s17, v1, v[6:7]
	s_mul_i32 s8, s16, s6
	s_lshl_b64 s[8:9], s[8:9], 4
	s_add_u32 s8, s11, s8
	v_lshlrev_b64 v[5:6], 4, v[5:6]
	s_addc_u32 s9, s14, s9
	v_mov_b32_e32 v7, s9
	v_add_co_u32_e32 v5, vcc, s8, v5
	v_addc_co_u32_e32 v6, vcc, v7, v6, vcc
	v_add_co_u32_e32 v5, vcc, v5, v2
	v_addc_co_u32_e32 v6, vcc, 0, v6, vcc
	global_load_dwordx4 v[5:8], v[5:6], off
	v_add_u32_e32 v9, 0x1000, v4
	s_waitcnt vmcnt(0)
	ds_write2_b64 v9, v[5:6], v[7:8] offset1:1
.LBB135_5:
	s_or_b64 exec, exec, s[2:3]
	s_cmpk_eq_i32 s29, 0x84
	s_cselect_b64 s[2:3], -1, 0
	v_cmp_eq_u32_e32 vcc, v1, v0
	s_and_b64 s[8:9], vcc, s[2:3]
	s_and_saveexec_b64 s[2:3], s[8:9]
; %bb.6:
	v_mov_b32_e32 v5, 0
	v_mov_b32_e32 v6, 0x3ff00000
	;; [unrolled: 1-line block ×4, first 2 shown]
	ds_write_b128 v4, v[5:8]
; %bb.7:
	s_or_b64 exec, exec, s[2:3]
	s_cmpk_lg_i32 s28, 0x7a
	s_waitcnt lgkmcnt(0)
	s_barrier
	s_cbranch_scc0 .LBB135_9
; %bb.8:
	v_cmp_lt_u32_e32 vcc, v0, v1
	s_and_b64 s[2:3], vcc, exec
	s_cbranch_execz .LBB135_10
	s_branch .LBB135_11
.LBB135_9:
	s_mov_b64 s[2:3], 0
.LBB135_10:
	v_cmp_gt_u32_e32 vcc, v0, v1
	s_andn2_b64 s[2:3], s[2:3], exec
	s_and_b64 s[8:9], vcc, exec
	s_or_b64 s[2:3], s[2:3], s[8:9]
.LBB135_11:
	s_and_saveexec_b64 s[8:9], s[2:3]
; %bb.12:
	v_mov_b32_e32 v5, 0
	v_mov_b32_e32 v6, v5
	;; [unrolled: 1-line block ×4, first 2 shown]
	ds_write_b128 v4, v[5:8]
; %bb.13:
	s_or_b64 exec, exec, s[8:9]
	s_waitcnt lgkmcnt(0)
	s_barrier
	s_and_saveexec_b64 s[2:3], s[0:1]
	s_cbranch_execz .LBB135_15
; %bb.14:
	v_lshlrev_b32_e32 v0, 4, v3
	ds_read_b128 v[3:6], v0 offset:4096
	ds_read_b128 v[7:10], v2
	ds_read_b128 v[11:14], v2 offset:256
	ds_read_b128 v[15:18], v0 offset:4112
	;; [unrolled: 1-line block ×3, first 2 shown]
	s_load_dwordx2 s[0:1], s[4:5], 0x68
	s_waitcnt lgkmcnt(0)
	v_mul_f64 v[23:24], v[3:4], v[9:10]
	v_mul_f64 v[9:10], v[5:6], v[9:10]
	;; [unrolled: 1-line block ×4, first 2 shown]
	s_mul_i32 s9, s23, s6
	s_mul_i32 s1, s1, s7
	;; [unrolled: 1-line block ×3, first 2 shown]
	v_fma_f64 v[5:6], v[5:6], v[7:8], v[23:24]
	ds_read_b128 v[23:26], v2 offset:512
	ds_read_b128 v[27:30], v2 offset:768
	;; [unrolled: 1-line block ×3, first 2 shown]
	v_fma_f64 v[39:40], v[3:4], v[7:8], -v[9:10]
	v_fma_f64 v[17:18], v[17:18], v[11:12], v[35:36]
	s_waitcnt lgkmcnt(2)
	v_mul_f64 v[37:38], v[19:20], v[25:26]
	v_mul_f64 v[25:26], v[21:22], v[25:26]
	s_waitcnt lgkmcnt(0)
	v_mul_f64 v[41:42], v[31:32], v[29:30]
	v_fma_f64 v[43:44], v[15:16], v[11:12], -v[13:14]
	v_add_f64 v[35:36], v[5:6], 0
	ds_read_b128 v[3:6], v2 offset:1024
	ds_read_b128 v[7:10], v0 offset:4160
	v_mul_f64 v[29:30], v[33:34], v[29:30]
	v_fma_f64 v[21:22], v[21:22], v[23:24], v[37:38]
	v_add_f64 v[37:38], v[39:40], 0
	s_waitcnt lgkmcnt(0)
	v_mul_f64 v[39:40], v[7:8], v[5:6]
	v_fma_f64 v[45:46], v[19:20], v[23:24], -v[25:26]
	v_add_f64 v[35:36], v[35:36], v[17:18]
	v_fma_f64 v[33:34], v[33:34], v[27:28], v[41:42]
	ds_read_b128 v[11:14], v2 offset:1280
	ds_read_b128 v[15:18], v0 offset:4176
	v_mul_f64 v[5:6], v[9:10], v[5:6]
	v_add_f64 v[37:38], v[37:38], v[43:44]
	v_fma_f64 v[43:44], v[31:32], v[27:28], -v[29:30]
	s_waitcnt lgkmcnt(0)
	v_mul_f64 v[41:42], v[15:16], v[13:14]
	v_add_f64 v[35:36], v[35:36], v[21:22]
	v_fma_f64 v[9:10], v[9:10], v[3:4], v[39:40]
	ds_read_b128 v[19:22], v2 offset:1536
	ds_read_b128 v[23:26], v0 offset:4192
	v_mul_f64 v[13:14], v[17:18], v[13:14]
	v_add_f64 v[37:38], v[37:38], v[45:46]
	v_fma_f64 v[45:46], v[7:8], v[3:4], -v[5:6]
	s_waitcnt lgkmcnt(0)
	v_mul_f64 v[39:40], v[23:24], v[21:22]
	;; [unrolled: 9-line block ×6, first 2 shown]
	v_add_f64 v[35:36], v[35:36], v[33:34]
	v_fma_f64 v[17:18], v[17:18], v[11:12], v[41:42]
	ds_read_b128 v[27:30], v2 offset:2816
	ds_read_b128 v[31:34], v0 offset:4272
	v_mul_f64 v[21:22], v[25:26], v[21:22]
	v_fma_f64 v[49:50], v[15:16], v[11:12], -v[13:14]
	v_add_f64 v[41:42], v[37:38], v[43:44]
	s_waitcnt lgkmcnt(0)
	v_mul_f64 v[47:48], v[31:32], v[29:30]
	v_add_f64 v[43:44], v[35:36], v[9:10]
	v_fma_f64 v[25:26], v[25:26], v[19:20], v[39:40]
	ds_read_b128 v[3:6], v2 offset:3072
	ds_read_b128 v[7:10], v2 offset:3328
	ds_read_b128 v[35:38], v0 offset:4288
	v_mul_f64 v[29:30], v[33:34], v[29:30]
	v_fma_f64 v[23:24], v[23:24], v[19:20], -v[21:22]
	v_add_f64 v[45:46], v[41:42], v[45:46]
	s_waitcnt lgkmcnt(0)
	v_mul_f64 v[51:52], v[35:36], v[5:6]
	v_add_f64 v[43:44], v[43:44], v[17:18]
	v_fma_f64 v[33:34], v[33:34], v[27:28], v[47:48]
	ds_read_b128 v[11:14], v2 offset:3584
	ds_read_b128 v[15:18], v2 offset:3840
	;; [unrolled: 1-line block ×3, first 2 shown]
	v_mul_f64 v[5:6], v[37:38], v[5:6]
	v_fma_f64 v[27:28], v[31:32], v[27:28], -v[29:30]
	v_add_f64 v[45:46], v[45:46], v[49:50]
	ds_read_b128 v[19:22], v0 offset:4320
	v_fma_f64 v[29:30], v[37:38], v[3:4], v[51:52]
	v_add_f64 v[25:26], v[43:44], v[25:26]
	s_waitcnt lgkmcnt(1)
	v_mul_f64 v[43:44], v[39:40], v[9:10]
	v_mul_f64 v[9:10], v[41:42], v[9:10]
	v_fma_f64 v[3:4], v[35:36], v[3:4], -v[5:6]
	v_add_f64 v[31:32], v[45:46], v[23:24]
	v_add_f64 v[33:34], v[25:26], v[33:34]
	ds_read_b128 v[23:26], v0 offset:4336
	s_waitcnt lgkmcnt(1)
	v_mul_f64 v[37:38], v[19:20], v[13:14]
	v_fma_f64 v[5:6], v[41:42], v[7:8], v[43:44]
	v_mul_f64 v[13:14], v[21:22], v[13:14]
	v_add_f64 v[27:28], v[31:32], v[27:28]
	v_fma_f64 v[7:8], v[39:40], v[7:8], -v[9:10]
	v_mad_u64_u32 v[31:32], s[2:3], s22, v1, 0
	v_add_f64 v[29:30], v[33:34], v[29:30]
	s_waitcnt lgkmcnt(0)
	v_mul_f64 v[33:34], v[23:24], v[17:18]
	v_fma_f64 v[9:10], v[21:22], v[11:12], v[37:38]
	v_mul_f64 v[17:18], v[25:26], v[17:18]
	v_add_f64 v[3:4], v[27:28], v[3:4]
	v_fma_f64 v[11:12], v[19:20], v[11:12], -v[13:14]
	v_mov_b32_e32 v0, v32
	v_mad_u64_u32 v[0:1], s[4:5], s23, v1, v[0:1]
	v_add_f64 v[5:6], v[29:30], v[5:6]
	v_fma_f64 v[13:14], v[25:26], v[15:16], v[33:34]
	v_mov_b32_e32 v32, v0
	v_add_f64 v[3:4], v[3:4], v[7:8]
	v_fma_f64 v[7:8], v[23:24], v[15:16], -v[17:18]
	s_mul_hi_u32 s3, s22, s6
	s_mul_i32 s2, s22, s6
	s_mul_hi_u32 s6, s0, s7
	v_add_f64 v[5:6], v[5:6], v[9:10]
	s_mul_i32 s0, s0, s7
	s_add_i32 s1, s6, s1
	v_add_f64 v[3:4], v[3:4], v[11:12]
	s_lshl_b64 s[0:1], s[0:1], 4
	s_add_u32 s4, s20, s0
	s_addc_u32 s5, s21, s1
	s_add_i32 s0, s3, s8
	v_add_f64 v[5:6], v[5:6], v[13:14]
	s_add_i32 s3, s0, s9
	s_lshl_b64 s[0:1], s[2:3], 4
	v_add_f64 v[0:1], v[3:4], v[7:8]
	v_lshlrev_b64 v[9:10], 4, v[31:32]
	s_add_u32 s0, s4, s0
	s_addc_u32 s1, s5, s1
	v_mov_b32_e32 v11, s1
	v_mul_f64 v[3:4], s[24:25], v[5:6]
	v_mul_f64 v[7:8], s[26:27], v[5:6]
	v_fma_f64 v[5:6], s[26:27], v[0:1], v[3:4]
	v_fma_f64 v[3:4], s[24:25], v[0:1], -v[7:8]
	v_add_co_u32_e32 v0, vcc, s0, v9
	v_addc_co_u32_e32 v1, vcc, v11, v10, vcc
	v_add_co_u32_e32 v0, vcc, v0, v2
	v_addc_co_u32_e32 v1, vcc, 0, v1, vcc
	global_store_dwordx4 v[0:1], v[3:6], off
.LBB135_15:
	s_endpgm
	.section	.rodata,"a",@progbits
	.p2align	6, 0x0
	.amdhsa_kernel _ZL23rocblas_trmm_lTx_kernelILi16ELb0E19rocblas_complex_numIdES1_KS1_S1_Ev13rocblas_fill_17rocblas_diagonal_iiT2_lPT3_llS7_llPT4_lli
		.amdhsa_group_segment_fixed_size 8192
		.amdhsa_private_segment_fixed_size 0
		.amdhsa_kernarg_size 116
		.amdhsa_user_sgpr_count 6
		.amdhsa_user_sgpr_private_segment_buffer 1
		.amdhsa_user_sgpr_dispatch_ptr 0
		.amdhsa_user_sgpr_queue_ptr 0
		.amdhsa_user_sgpr_kernarg_segment_ptr 1
		.amdhsa_user_sgpr_dispatch_id 0
		.amdhsa_user_sgpr_flat_scratch_init 0
		.amdhsa_user_sgpr_private_segment_size 0
		.amdhsa_uses_dynamic_stack 0
		.amdhsa_system_sgpr_private_segment_wavefront_offset 0
		.amdhsa_system_sgpr_workgroup_id_x 1
		.amdhsa_system_sgpr_workgroup_id_y 0
		.amdhsa_system_sgpr_workgroup_id_z 1
		.amdhsa_system_sgpr_workgroup_info 0
		.amdhsa_system_vgpr_workitem_id 1
		.amdhsa_next_free_vgpr 53
		.amdhsa_next_free_sgpr 61
		.amdhsa_reserve_vcc 1
		.amdhsa_reserve_flat_scratch 0
		.amdhsa_float_round_mode_32 0
		.amdhsa_float_round_mode_16_64 0
		.amdhsa_float_denorm_mode_32 3
		.amdhsa_float_denorm_mode_16_64 3
		.amdhsa_dx10_clamp 1
		.amdhsa_ieee_mode 1
		.amdhsa_fp16_overflow 0
		.amdhsa_exception_fp_ieee_invalid_op 0
		.amdhsa_exception_fp_denorm_src 0
		.amdhsa_exception_fp_ieee_div_zero 0
		.amdhsa_exception_fp_ieee_overflow 0
		.amdhsa_exception_fp_ieee_underflow 0
		.amdhsa_exception_fp_ieee_inexact 0
		.amdhsa_exception_int_div_zero 0
	.end_amdhsa_kernel
	.section	.text._ZL23rocblas_trmm_lTx_kernelILi16ELb0E19rocblas_complex_numIdES1_KS1_S1_Ev13rocblas_fill_17rocblas_diagonal_iiT2_lPT3_llS7_llPT4_lli,"axG",@progbits,_ZL23rocblas_trmm_lTx_kernelILi16ELb0E19rocblas_complex_numIdES1_KS1_S1_Ev13rocblas_fill_17rocblas_diagonal_iiT2_lPT3_llS7_llPT4_lli,comdat
.Lfunc_end135:
	.size	_ZL23rocblas_trmm_lTx_kernelILi16ELb0E19rocblas_complex_numIdES1_KS1_S1_Ev13rocblas_fill_17rocblas_diagonal_iiT2_lPT3_llS7_llPT4_lli, .Lfunc_end135-_ZL23rocblas_trmm_lTx_kernelILi16ELb0E19rocblas_complex_numIdES1_KS1_S1_Ev13rocblas_fill_17rocblas_diagonal_iiT2_lPT3_llS7_llPT4_lli
                                        ; -- End function
	.set _ZL23rocblas_trmm_lTx_kernelILi16ELb0E19rocblas_complex_numIdES1_KS1_S1_Ev13rocblas_fill_17rocblas_diagonal_iiT2_lPT3_llS7_llPT4_lli.num_vgpr, 53
	.set _ZL23rocblas_trmm_lTx_kernelILi16ELb0E19rocblas_complex_numIdES1_KS1_S1_Ev13rocblas_fill_17rocblas_diagonal_iiT2_lPT3_llS7_llPT4_lli.num_agpr, 0
	.set _ZL23rocblas_trmm_lTx_kernelILi16ELb0E19rocblas_complex_numIdES1_KS1_S1_Ev13rocblas_fill_17rocblas_diagonal_iiT2_lPT3_llS7_llPT4_lli.numbered_sgpr, 32
	.set _ZL23rocblas_trmm_lTx_kernelILi16ELb0E19rocblas_complex_numIdES1_KS1_S1_Ev13rocblas_fill_17rocblas_diagonal_iiT2_lPT3_llS7_llPT4_lli.num_named_barrier, 0
	.set _ZL23rocblas_trmm_lTx_kernelILi16ELb0E19rocblas_complex_numIdES1_KS1_S1_Ev13rocblas_fill_17rocblas_diagonal_iiT2_lPT3_llS7_llPT4_lli.private_seg_size, 0
	.set _ZL23rocblas_trmm_lTx_kernelILi16ELb0E19rocblas_complex_numIdES1_KS1_S1_Ev13rocblas_fill_17rocblas_diagonal_iiT2_lPT3_llS7_llPT4_lli.uses_vcc, 1
	.set _ZL23rocblas_trmm_lTx_kernelILi16ELb0E19rocblas_complex_numIdES1_KS1_S1_Ev13rocblas_fill_17rocblas_diagonal_iiT2_lPT3_llS7_llPT4_lli.uses_flat_scratch, 0
	.set _ZL23rocblas_trmm_lTx_kernelILi16ELb0E19rocblas_complex_numIdES1_KS1_S1_Ev13rocblas_fill_17rocblas_diagonal_iiT2_lPT3_llS7_llPT4_lli.has_dyn_sized_stack, 0
	.set _ZL23rocblas_trmm_lTx_kernelILi16ELb0E19rocblas_complex_numIdES1_KS1_S1_Ev13rocblas_fill_17rocblas_diagonal_iiT2_lPT3_llS7_llPT4_lli.has_recursion, 0
	.set _ZL23rocblas_trmm_lTx_kernelILi16ELb0E19rocblas_complex_numIdES1_KS1_S1_Ev13rocblas_fill_17rocblas_diagonal_iiT2_lPT3_llS7_llPT4_lli.has_indirect_call, 0
	.section	.AMDGPU.csdata,"",@progbits
; Kernel info:
; codeLenInByte = 1888
; TotalNumSgprs: 36
; NumVgprs: 53
; ScratchSize: 0
; MemoryBound: 0
; FloatMode: 240
; IeeeMode: 1
; LDSByteSize: 8192 bytes/workgroup (compile time only)
; SGPRBlocks: 8
; VGPRBlocks: 13
; NumSGPRsForWavesPerEU: 65
; NumVGPRsForWavesPerEU: 53
; Occupancy: 4
; WaveLimiterHint : 0
; COMPUTE_PGM_RSRC2:SCRATCH_EN: 0
; COMPUTE_PGM_RSRC2:USER_SGPR: 6
; COMPUTE_PGM_RSRC2:TRAP_HANDLER: 0
; COMPUTE_PGM_RSRC2:TGID_X_EN: 1
; COMPUTE_PGM_RSRC2:TGID_Y_EN: 0
; COMPUTE_PGM_RSRC2:TGID_Z_EN: 1
; COMPUTE_PGM_RSRC2:TIDIG_COMP_CNT: 1
	.section	.text._ZL23rocblas_trmm_lTx_kernelILi16ELb1E19rocblas_complex_numIdEPKS1_S2_S1_Ev13rocblas_fill_17rocblas_diagonal_iiT2_lPT3_llS8_llPT4_lli,"axG",@progbits,_ZL23rocblas_trmm_lTx_kernelILi16ELb1E19rocblas_complex_numIdEPKS1_S2_S1_Ev13rocblas_fill_17rocblas_diagonal_iiT2_lPT3_llS8_llPT4_lli,comdat
	.globl	_ZL23rocblas_trmm_lTx_kernelILi16ELb1E19rocblas_complex_numIdEPKS1_S2_S1_Ev13rocblas_fill_17rocblas_diagonal_iiT2_lPT3_llS8_llPT4_lli ; -- Begin function _ZL23rocblas_trmm_lTx_kernelILi16ELb1E19rocblas_complex_numIdEPKS1_S2_S1_Ev13rocblas_fill_17rocblas_diagonal_iiT2_lPT3_llS8_llPT4_lli
	.p2align	8
	.type	_ZL23rocblas_trmm_lTx_kernelILi16ELb1E19rocblas_complex_numIdEPKS1_S2_S1_Ev13rocblas_fill_17rocblas_diagonal_iiT2_lPT3_llS8_llPT4_lli,@function
_ZL23rocblas_trmm_lTx_kernelILi16ELb1E19rocblas_complex_numIdEPKS1_S2_S1_Ev13rocblas_fill_17rocblas_diagonal_iiT2_lPT3_llS8_llPT4_lli: ; @_ZL23rocblas_trmm_lTx_kernelILi16ELb1E19rocblas_complex_numIdEPKS1_S2_S1_Ev13rocblas_fill_17rocblas_diagonal_iiT2_lPT3_llS8_llPT4_lli
; %bb.0:
	s_load_dwordx16 s[8:23], s[4:5], 0x10
	s_waitcnt lgkmcnt(0)
	s_mul_i32 s0, s11, s7
	s_mul_hi_u32 s1, s10, s7
	s_add_i32 s1, s1, s0
	s_mul_i32 s0, s10, s7
	s_lshl_b64 s[0:1], s[0:1], 4
	s_add_u32 s0, s8, s0
	s_addc_u32 s1, s9, s1
	s_load_dwordx4 s[8:11], s[0:1], 0x0
	s_waitcnt lgkmcnt(0)
	v_cmp_neq_f64_e64 s[0:1], s[8:9], 0
	v_cmp_neq_f64_e64 s[2:3], s[10:11], 0
	s_or_b64 s[0:1], s[0:1], s[2:3]
	s_andn2_b64 vcc, exec, s[0:1]
	s_cbranch_vccnz .LBB136_15
; %bb.1:
	s_load_dwordx4 s[24:27], s[4:5], 0x0
	s_mov_b32 s0, 0
	s_mov_b32 s3, s0
	;; [unrolled: 1-line block ×4, first 2 shown]
	v_mov_b32_e32 v8, s3
	v_lshlrev_b32_e32 v3, 4, v1
	v_mov_b32_e32 v7, s2
	v_mov_b32_e32 v6, s1
	;; [unrolled: 1-line block ×3, first 2 shown]
	s_waitcnt lgkmcnt(0)
	v_cmp_gt_i32_e64 s[0:1], s26, v1
	v_cmp_gt_i32_e32 vcc, s26, v0
	v_add_lshl_u32 v4, v3, v0, 4
	s_and_b64 s[0:1], s[0:1], vcc
	v_lshlrev_b32_e32 v2, 4, v0
	ds_write_b128 v4, v[5:8]
	ds_write_b128 v4, v[5:8] offset:4096
	s_waitcnt lgkmcnt(0)
	s_barrier
	s_and_saveexec_b64 s[2:3], s[0:1]
	s_cbranch_execz .LBB136_3
; %bb.2:
	v_mad_u64_u32 v[5:6], s[0:1], s14, v1, 0
	s_mul_i32 s17, s17, s7
	s_mul_hi_u32 s0, s16, s7
	v_mad_u64_u32 v[6:7], s[14:15], s15, v1, v[6:7]
	s_add_i32 s1, s0, s17
	s_mul_i32 s0, s16, s7
	s_lshl_b64 s[0:1], s[0:1], 4
	s_add_u32 s0, s12, s0
	v_lshlrev_b64 v[5:6], 4, v[5:6]
	s_addc_u32 s1, s13, s1
	v_mov_b32_e32 v7, s1
	v_add_co_u32_e64 v5, s[0:1], s0, v5
	v_addc_co_u32_e64 v6, s[0:1], v7, v6, s[0:1]
	v_add_co_u32_e64 v5, s[0:1], v5, v2
	v_addc_co_u32_e64 v6, s[0:1], 0, v6, s[0:1]
	global_load_dwordx4 v[5:8], v[5:6], off
	v_lshl_add_u32 v9, v0, 8, v3
	s_waitcnt vmcnt(0)
	v_xor_b32_e32 v8, 0x80000000, v8
	ds_write_b128 v9, v[5:8]
.LBB136_3:
	s_or_b64 exec, exec, s[2:3]
	s_add_i32 s0, s27, -1
	s_ashr_i32 s1, s0, 31
	s_lshr_b32 s1, s1, 28
	s_add_i32 s0, s0, s1
	s_ashr_i32 s1, s0, 4
	s_and_b32 s0, s0, -16
	s_sub_i32 s0, s27, s0
	s_cmp_ge_i32 s6, s1
	s_cselect_b32 s0, s0, 16
	s_lshl_b32 s6, s6, 4
	v_cmp_gt_i32_e64 s[0:1], s0, v1
	s_ashr_i32 s14, s6, 31
	s_and_b64 s[0:1], vcc, s[0:1]
	s_and_saveexec_b64 s[2:3], s[0:1]
	s_cbranch_execz .LBB136_5
; %bb.4:
	s_mul_i32 s12, s23, s7
	s_mul_hi_u32 s13, s22, s7
	s_add_i32 s13, s13, s12
	s_mul_i32 s12, s22, s7
	s_lshl_b64 s[12:13], s[12:13], 4
	s_add_u32 s15, s18, s12
	s_addc_u32 s18, s19, s13
	s_mul_i32 s12, s20, s14
	s_mul_hi_u32 s13, s20, s6
	s_add_i32 s16, s13, s12
	v_mad_u64_u32 v[5:6], s[12:13], s20, v1, 0
	s_mul_i32 s12, s21, s6
	s_add_i32 s13, s16, s12
	v_mad_u64_u32 v[6:7], s[16:17], s21, v1, v[6:7]
	s_mul_i32 s12, s20, s6
	s_lshl_b64 s[12:13], s[12:13], 4
	s_add_u32 s12, s15, s12
	v_lshlrev_b64 v[5:6], 4, v[5:6]
	s_addc_u32 s13, s18, s13
	v_mov_b32_e32 v7, s13
	v_add_co_u32_e32 v5, vcc, s12, v5
	v_addc_co_u32_e32 v6, vcc, v7, v6, vcc
	v_add_co_u32_e32 v5, vcc, v5, v2
	v_addc_co_u32_e32 v6, vcc, 0, v6, vcc
	global_load_dwordx4 v[5:8], v[5:6], off
	v_add_u32_e32 v9, 0x1000, v4
	s_waitcnt vmcnt(0)
	ds_write2_b64 v9, v[5:6], v[7:8] offset1:1
.LBB136_5:
	s_or_b64 exec, exec, s[2:3]
	s_cmpk_eq_i32 s25, 0x84
	s_cselect_b64 s[2:3], -1, 0
	v_cmp_eq_u32_e32 vcc, v1, v0
	s_and_b64 s[12:13], vcc, s[2:3]
	s_and_saveexec_b64 s[2:3], s[12:13]
; %bb.6:
	v_mov_b32_e32 v5, 0
	v_mov_b32_e32 v6, 0x3ff00000
	;; [unrolled: 1-line block ×4, first 2 shown]
	ds_write_b128 v4, v[5:8]
; %bb.7:
	s_or_b64 exec, exec, s[2:3]
	s_cmpk_lg_i32 s24, 0x7a
	s_waitcnt lgkmcnt(0)
	s_barrier
	s_cbranch_scc0 .LBB136_9
; %bb.8:
	v_cmp_lt_u32_e32 vcc, v0, v1
	s_and_b64 s[2:3], vcc, exec
	s_cbranch_execz .LBB136_10
	s_branch .LBB136_11
.LBB136_9:
	s_mov_b64 s[2:3], 0
.LBB136_10:
	v_cmp_gt_u32_e32 vcc, v0, v1
	s_andn2_b64 s[2:3], s[2:3], exec
	s_and_b64 s[12:13], vcc, exec
	s_or_b64 s[2:3], s[2:3], s[12:13]
.LBB136_11:
	s_and_saveexec_b64 s[12:13], s[2:3]
; %bb.12:
	v_mov_b32_e32 v5, 0
	v_mov_b32_e32 v6, v5
	;; [unrolled: 1-line block ×4, first 2 shown]
	ds_write_b128 v4, v[5:8]
; %bb.13:
	s_or_b64 exec, exec, s[12:13]
	s_waitcnt lgkmcnt(0)
	s_barrier
	s_and_saveexec_b64 s[2:3], s[0:1]
	s_cbranch_execz .LBB136_15
; %bb.14:
	v_lshlrev_b32_e32 v0, 4, v3
	ds_read_b128 v[3:6], v0 offset:4096
	ds_read_b128 v[7:10], v2
	ds_read_b128 v[11:14], v2 offset:256
	ds_read_b128 v[15:18], v0 offset:4112
	;; [unrolled: 1-line block ×3, first 2 shown]
	s_waitcnt lgkmcnt(3)
	v_mul_f64 v[23:24], v[3:4], v[9:10]
	v_mul_f64 v[9:10], v[5:6], v[9:10]
	s_waitcnt lgkmcnt(1)
	v_mul_f64 v[35:36], v[15:16], v[13:14]
	v_mul_f64 v[13:14], v[17:18], v[13:14]
	v_fma_f64 v[5:6], v[5:6], v[7:8], v[23:24]
	ds_read_b128 v[23:26], v2 offset:512
	ds_read_b128 v[27:30], v2 offset:768
	;; [unrolled: 1-line block ×3, first 2 shown]
	v_fma_f64 v[39:40], v[3:4], v[7:8], -v[9:10]
	v_fma_f64 v[17:18], v[17:18], v[11:12], v[35:36]
	s_waitcnt lgkmcnt(2)
	v_mul_f64 v[37:38], v[19:20], v[25:26]
	v_mul_f64 v[25:26], v[21:22], v[25:26]
	s_waitcnt lgkmcnt(0)
	v_mul_f64 v[41:42], v[31:32], v[29:30]
	v_fma_f64 v[43:44], v[15:16], v[11:12], -v[13:14]
	v_add_f64 v[35:36], v[5:6], 0
	ds_read_b128 v[3:6], v2 offset:1024
	ds_read_b128 v[7:10], v0 offset:4160
	v_mul_f64 v[29:30], v[33:34], v[29:30]
	v_fma_f64 v[21:22], v[21:22], v[23:24], v[37:38]
	v_add_f64 v[37:38], v[39:40], 0
	s_waitcnt lgkmcnt(0)
	v_mul_f64 v[39:40], v[7:8], v[5:6]
	v_fma_f64 v[45:46], v[19:20], v[23:24], -v[25:26]
	v_add_f64 v[35:36], v[35:36], v[17:18]
	v_fma_f64 v[33:34], v[33:34], v[27:28], v[41:42]
	ds_read_b128 v[11:14], v2 offset:1280
	ds_read_b128 v[15:18], v0 offset:4176
	v_mul_f64 v[5:6], v[9:10], v[5:6]
	v_add_f64 v[37:38], v[37:38], v[43:44]
	v_fma_f64 v[43:44], v[31:32], v[27:28], -v[29:30]
	s_waitcnt lgkmcnt(0)
	v_mul_f64 v[41:42], v[15:16], v[13:14]
	v_add_f64 v[35:36], v[35:36], v[21:22]
	v_fma_f64 v[9:10], v[9:10], v[3:4], v[39:40]
	ds_read_b128 v[19:22], v2 offset:1536
	ds_read_b128 v[23:26], v0 offset:4192
	v_mul_f64 v[13:14], v[17:18], v[13:14]
	v_add_f64 v[37:38], v[37:38], v[45:46]
	v_fma_f64 v[45:46], v[7:8], v[3:4], -v[5:6]
	s_waitcnt lgkmcnt(0)
	v_mul_f64 v[39:40], v[23:24], v[21:22]
	;; [unrolled: 9-line block ×4, first 2 shown]
	v_add_f64 v[35:36], v[35:36], v[17:18]
	v_fma_f64 v[41:42], v[33:34], v[27:28], v[41:42]
	ds_read_b128 v[11:14], v2 offset:2304
	ds_read_b128 v[15:18], v0 offset:4240
	v_mul_f64 v[5:6], v[9:10], v[5:6]
	v_fma_f64 v[31:32], v[31:32], v[27:28], -v[29:30]
	v_add_f64 v[37:38], v[37:38], v[43:44]
	s_waitcnt lgkmcnt(0)
	v_mul_f64 v[47:48], v[15:16], v[13:14]
	v_add_f64 v[43:44], v[35:36], v[25:26]
	v_fma_f64 v[9:10], v[9:10], v[3:4], v[39:40]
	ds_read_b128 v[19:22], v2 offset:2560
	ds_read_b128 v[23:26], v2 offset:2816
	;; [unrolled: 1-line block ×3, first 2 shown]
	v_mul_f64 v[13:14], v[17:18], v[13:14]
	v_fma_f64 v[53:54], v[7:8], v[3:4], -v[5:6]
	v_add_f64 v[45:46], v[37:38], v[45:46]
	s_waitcnt lgkmcnt(0)
	v_mul_f64 v[51:52], v[33:34], v[21:22]
	v_add_f64 v[49:50], v[43:44], v[41:42]
	v_fma_f64 v[17:18], v[17:18], v[11:12], v[47:48]
	ds_read_b128 v[27:30], v2 offset:3072
	ds_read_b128 v[37:40], v2 offset:3328
	;; [unrolled: 1-line block ×3, first 2 shown]
	v_fma_f64 v[15:16], v[15:16], v[11:12], -v[13:14]
	v_mul_f64 v[21:22], v[35:36], v[21:22]
	v_add_f64 v[31:32], v[45:46], v[31:32]
	s_waitcnt lgkmcnt(0)
	v_mul_f64 v[55:56], v[41:42], v[25:26]
	v_add_f64 v[49:50], v[49:50], v[9:10]
	v_fma_f64 v[35:36], v[35:36], v[19:20], v[51:52]
	ds_read_b128 v[3:6], v2 offset:3584
	ds_read_b128 v[7:10], v2 offset:3840
	;; [unrolled: 1-line block ×3, first 2 shown]
	v_mul_f64 v[25:26], v[43:44], v[25:26]
	v_fma_f64 v[33:34], v[33:34], v[19:20], -v[21:22]
	v_add_f64 v[31:32], v[31:32], v[53:54]
	s_load_dwordx2 s[12:13], s[4:5], 0x60
	s_load_dwordx4 s[0:3], s[4:5], 0x50
	v_fma_f64 v[43:44], v[43:44], v[23:24], v[55:56]
	v_add_f64 v[17:18], v[49:50], v[17:18]
	s_waitcnt lgkmcnt(0)
	v_mul_f64 v[49:50], v[45:46], v[29:30]
	ds_read_b128 v[11:14], v0 offset:4304
	v_mul_f64 v[29:30], v[47:48], v[29:30]
	v_fma_f64 v[23:24], v[41:42], v[23:24], -v[25:26]
	v_add_f64 v[31:32], v[31:32], v[15:16]
	s_mul_i32 s5, s13, s7
	s_waitcnt lgkmcnt(0)
	v_mul_f64 v[51:52], v[11:12], v[39:40]
	v_add_f64 v[35:36], v[17:18], v[35:36]
	v_fma_f64 v[25:26], v[47:48], v[27:28], v[49:50]
	ds_read_b128 v[15:18], v0 offset:4320
	ds_read_b128 v[19:22], v0 offset:4336
	v_fma_f64 v[27:28], v[45:46], v[27:28], -v[29:30]
	s_mul_hi_u32 s15, s12, s7
	v_add_f64 v[31:32], v[31:32], v[33:34]
	s_mul_i32 s4, s12, s7
	s_waitcnt lgkmcnt(0)
	v_mul_f64 v[29:30], v[19:20], v[9:10]
	v_add_f64 v[33:34], v[35:36], v[43:44]
	v_mul_f64 v[35:36], v[13:14], v[39:40]
	v_mul_f64 v[39:40], v[15:16], v[5:6]
	v_fma_f64 v[13:14], v[13:14], v[37:38], v[51:52]
	v_mul_f64 v[5:6], v[17:18], v[5:6]
	v_add_f64 v[23:24], v[31:32], v[23:24]
	v_mul_f64 v[9:10], v[21:22], v[9:10]
	s_add_i32 s5, s15, s5
	v_add_f64 v[25:26], v[33:34], v[25:26]
	v_fma_f64 v[11:12], v[11:12], v[37:38], -v[35:36]
	v_fma_f64 v[17:18], v[17:18], v[3:4], v[39:40]
	s_lshl_b64 s[4:5], s[4:5], 4
	v_fma_f64 v[3:4], v[15:16], v[3:4], -v[5:6]
	v_add_f64 v[23:24], v[23:24], v[27:28]
	v_fma_f64 v[5:6], v[21:22], v[7:8], v[29:30]
	v_fma_f64 v[7:8], v[19:20], v[7:8], -v[9:10]
	v_add_f64 v[13:14], v[25:26], v[13:14]
	v_mad_u64_u32 v[15:16], s[12:13], s2, v1, 0
	s_mul_i32 s7, s2, s14
	s_mul_hi_u32 s14, s2, s6
	v_add_f64 v[11:12], v[23:24], v[11:12]
	s_mul_i32 s16, s3, s6
	s_mul_i32 s6, s2, s6
	v_add_f64 v[13:14], v[13:14], v[17:18]
	s_add_u32 s2, s0, s4
	s_addc_u32 s4, s1, s5
	s_add_i32 s0, s14, s7
	v_mov_b32_e32 v0, v16
	v_add_f64 v[3:4], v[11:12], v[3:4]
	s_add_i32 s7, s0, s16
	v_mad_u64_u32 v[0:1], s[0:1], s3, v1, v[0:1]
	v_add_f64 v[5:6], v[13:14], v[5:6]
	s_lshl_b64 s[0:1], s[6:7], 4
	v_mov_b32_e32 v16, v0
	s_add_u32 s0, s2, s0
	v_add_f64 v[3:4], v[3:4], v[7:8]
	v_lshlrev_b64 v[0:1], 4, v[15:16]
	s_addc_u32 s1, s4, s1
	v_mov_b32_e32 v11, s1
	v_mul_f64 v[7:8], s[8:9], v[5:6]
	v_mul_f64 v[9:10], s[10:11], v[5:6]
	v_add_co_u32_e32 v0, vcc, s0, v0
	v_addc_co_u32_e32 v1, vcc, v11, v1, vcc
	v_add_co_u32_e32 v0, vcc, v0, v2
	v_fma_f64 v[5:6], s[10:11], v[3:4], v[7:8]
	v_fma_f64 v[3:4], s[8:9], v[3:4], -v[9:10]
	v_addc_co_u32_e32 v1, vcc, 0, v1, vcc
	global_store_dwordx4 v[0:1], v[3:6], off
.LBB136_15:
	s_endpgm
	.section	.rodata,"a",@progbits
	.p2align	6, 0x0
	.amdhsa_kernel _ZL23rocblas_trmm_lTx_kernelILi16ELb1E19rocblas_complex_numIdEPKS1_S2_S1_Ev13rocblas_fill_17rocblas_diagonal_iiT2_lPT3_llS8_llPT4_lli
		.amdhsa_group_segment_fixed_size 8192
		.amdhsa_private_segment_fixed_size 0
		.amdhsa_kernarg_size 108
		.amdhsa_user_sgpr_count 6
		.amdhsa_user_sgpr_private_segment_buffer 1
		.amdhsa_user_sgpr_dispatch_ptr 0
		.amdhsa_user_sgpr_queue_ptr 0
		.amdhsa_user_sgpr_kernarg_segment_ptr 1
		.amdhsa_user_sgpr_dispatch_id 0
		.amdhsa_user_sgpr_flat_scratch_init 0
		.amdhsa_user_sgpr_private_segment_size 0
		.amdhsa_uses_dynamic_stack 0
		.amdhsa_system_sgpr_private_segment_wavefront_offset 0
		.amdhsa_system_sgpr_workgroup_id_x 1
		.amdhsa_system_sgpr_workgroup_id_y 0
		.amdhsa_system_sgpr_workgroup_id_z 1
		.amdhsa_system_sgpr_workgroup_info 0
		.amdhsa_system_vgpr_workitem_id 1
		.amdhsa_next_free_vgpr 57
		.amdhsa_next_free_sgpr 61
		.amdhsa_reserve_vcc 1
		.amdhsa_reserve_flat_scratch 0
		.amdhsa_float_round_mode_32 0
		.amdhsa_float_round_mode_16_64 0
		.amdhsa_float_denorm_mode_32 3
		.amdhsa_float_denorm_mode_16_64 3
		.amdhsa_dx10_clamp 1
		.amdhsa_ieee_mode 1
		.amdhsa_fp16_overflow 0
		.amdhsa_exception_fp_ieee_invalid_op 0
		.amdhsa_exception_fp_denorm_src 0
		.amdhsa_exception_fp_ieee_div_zero 0
		.amdhsa_exception_fp_ieee_overflow 0
		.amdhsa_exception_fp_ieee_underflow 0
		.amdhsa_exception_fp_ieee_inexact 0
		.amdhsa_exception_int_div_zero 0
	.end_amdhsa_kernel
	.section	.text._ZL23rocblas_trmm_lTx_kernelILi16ELb1E19rocblas_complex_numIdEPKS1_S2_S1_Ev13rocblas_fill_17rocblas_diagonal_iiT2_lPT3_llS8_llPT4_lli,"axG",@progbits,_ZL23rocblas_trmm_lTx_kernelILi16ELb1E19rocblas_complex_numIdEPKS1_S2_S1_Ev13rocblas_fill_17rocblas_diagonal_iiT2_lPT3_llS8_llPT4_lli,comdat
.Lfunc_end136:
	.size	_ZL23rocblas_trmm_lTx_kernelILi16ELb1E19rocblas_complex_numIdEPKS1_S2_S1_Ev13rocblas_fill_17rocblas_diagonal_iiT2_lPT3_llS8_llPT4_lli, .Lfunc_end136-_ZL23rocblas_trmm_lTx_kernelILi16ELb1E19rocblas_complex_numIdEPKS1_S2_S1_Ev13rocblas_fill_17rocblas_diagonal_iiT2_lPT3_llS8_llPT4_lli
                                        ; -- End function
	.set _ZL23rocblas_trmm_lTx_kernelILi16ELb1E19rocblas_complex_numIdEPKS1_S2_S1_Ev13rocblas_fill_17rocblas_diagonal_iiT2_lPT3_llS8_llPT4_lli.num_vgpr, 57
	.set _ZL23rocblas_trmm_lTx_kernelILi16ELb1E19rocblas_complex_numIdEPKS1_S2_S1_Ev13rocblas_fill_17rocblas_diagonal_iiT2_lPT3_llS8_llPT4_lli.num_agpr, 0
	.set _ZL23rocblas_trmm_lTx_kernelILi16ELb1E19rocblas_complex_numIdEPKS1_S2_S1_Ev13rocblas_fill_17rocblas_diagonal_iiT2_lPT3_llS8_llPT4_lli.numbered_sgpr, 28
	.set _ZL23rocblas_trmm_lTx_kernelILi16ELb1E19rocblas_complex_numIdEPKS1_S2_S1_Ev13rocblas_fill_17rocblas_diagonal_iiT2_lPT3_llS8_llPT4_lli.num_named_barrier, 0
	.set _ZL23rocblas_trmm_lTx_kernelILi16ELb1E19rocblas_complex_numIdEPKS1_S2_S1_Ev13rocblas_fill_17rocblas_diagonal_iiT2_lPT3_llS8_llPT4_lli.private_seg_size, 0
	.set _ZL23rocblas_trmm_lTx_kernelILi16ELb1E19rocblas_complex_numIdEPKS1_S2_S1_Ev13rocblas_fill_17rocblas_diagonal_iiT2_lPT3_llS8_llPT4_lli.uses_vcc, 1
	.set _ZL23rocblas_trmm_lTx_kernelILi16ELb1E19rocblas_complex_numIdEPKS1_S2_S1_Ev13rocblas_fill_17rocblas_diagonal_iiT2_lPT3_llS8_llPT4_lli.uses_flat_scratch, 0
	.set _ZL23rocblas_trmm_lTx_kernelILi16ELb1E19rocblas_complex_numIdEPKS1_S2_S1_Ev13rocblas_fill_17rocblas_diagonal_iiT2_lPT3_llS8_llPT4_lli.has_dyn_sized_stack, 0
	.set _ZL23rocblas_trmm_lTx_kernelILi16ELb1E19rocblas_complex_numIdEPKS1_S2_S1_Ev13rocblas_fill_17rocblas_diagonal_iiT2_lPT3_llS8_llPT4_lli.has_recursion, 0
	.set _ZL23rocblas_trmm_lTx_kernelILi16ELb1E19rocblas_complex_numIdEPKS1_S2_S1_Ev13rocblas_fill_17rocblas_diagonal_iiT2_lPT3_llS8_llPT4_lli.has_indirect_call, 0
	.section	.AMDGPU.csdata,"",@progbits
; Kernel info:
; codeLenInByte = 1936
; TotalNumSgprs: 32
; NumVgprs: 57
; ScratchSize: 0
; MemoryBound: 0
; FloatMode: 240
; IeeeMode: 1
; LDSByteSize: 8192 bytes/workgroup (compile time only)
; SGPRBlocks: 8
; VGPRBlocks: 14
; NumSGPRsForWavesPerEU: 65
; NumVGPRsForWavesPerEU: 57
; Occupancy: 4
; WaveLimiterHint : 0
; COMPUTE_PGM_RSRC2:SCRATCH_EN: 0
; COMPUTE_PGM_RSRC2:USER_SGPR: 6
; COMPUTE_PGM_RSRC2:TRAP_HANDLER: 0
; COMPUTE_PGM_RSRC2:TGID_X_EN: 1
; COMPUTE_PGM_RSRC2:TGID_Y_EN: 0
; COMPUTE_PGM_RSRC2:TGID_Z_EN: 1
; COMPUTE_PGM_RSRC2:TIDIG_COMP_CNT: 1
	.section	.text._ZL23rocblas_trmm_lTx_kernelILi16ELb1E19rocblas_complex_numIdES1_KS1_S1_Ev13rocblas_fill_17rocblas_diagonal_iiT2_lPT3_llS7_llPT4_lli,"axG",@progbits,_ZL23rocblas_trmm_lTx_kernelILi16ELb1E19rocblas_complex_numIdES1_KS1_S1_Ev13rocblas_fill_17rocblas_diagonal_iiT2_lPT3_llS7_llPT4_lli,comdat
	.globl	_ZL23rocblas_trmm_lTx_kernelILi16ELb1E19rocblas_complex_numIdES1_KS1_S1_Ev13rocblas_fill_17rocblas_diagonal_iiT2_lPT3_llS7_llPT4_lli ; -- Begin function _ZL23rocblas_trmm_lTx_kernelILi16ELb1E19rocblas_complex_numIdES1_KS1_S1_Ev13rocblas_fill_17rocblas_diagonal_iiT2_lPT3_llS7_llPT4_lli
	.p2align	8
	.type	_ZL23rocblas_trmm_lTx_kernelILi16ELb1E19rocblas_complex_numIdES1_KS1_S1_Ev13rocblas_fill_17rocblas_diagonal_iiT2_lPT3_llS7_llPT4_lli,@function
_ZL23rocblas_trmm_lTx_kernelILi16ELb1E19rocblas_complex_numIdES1_KS1_S1_Ev13rocblas_fill_17rocblas_diagonal_iiT2_lPT3_llS7_llPT4_lli: ; @_ZL23rocblas_trmm_lTx_kernelILi16ELb1E19rocblas_complex_numIdES1_KS1_S1_Ev13rocblas_fill_17rocblas_diagonal_iiT2_lPT3_llS7_llPT4_lli
; %bb.0:
	s_load_dwordx4 s[24:27], s[4:5], 0x10
	s_waitcnt lgkmcnt(0)
	v_cmp_neq_f64_e64 s[0:1], s[24:25], 0
	v_cmp_neq_f64_e64 s[2:3], s[26:27], 0
	s_or_b64 s[0:1], s[0:1], s[2:3]
	s_andn2_b64 vcc, exec, s[0:1]
	s_cbranch_vccnz .LBB137_15
; %bb.1:
	s_load_dwordx4 s[28:31], s[4:5], 0x0
	s_load_dwordx16 s[8:23], s[4:5], 0x28
	s_mov_b32 s0, 0
	s_mov_b32 s3, s0
	;; [unrolled: 1-line block ×4, first 2 shown]
	v_mov_b32_e32 v8, s3
	v_lshlrev_b32_e32 v3, 4, v1
	v_mov_b32_e32 v7, s2
	v_mov_b32_e32 v6, s1
	;; [unrolled: 1-line block ×3, first 2 shown]
	s_waitcnt lgkmcnt(0)
	v_cmp_gt_i32_e64 s[0:1], s30, v1
	v_cmp_gt_i32_e32 vcc, s30, v0
	v_add_lshl_u32 v4, v3, v0, 4
	s_and_b64 s[0:1], s[0:1], vcc
	v_lshlrev_b32_e32 v2, 4, v0
	ds_write_b128 v4, v[5:8]
	ds_write_b128 v4, v[5:8] offset:4096
	s_waitcnt lgkmcnt(0)
	s_barrier
	s_and_saveexec_b64 s[2:3], s[0:1]
	s_cbranch_execz .LBB137_3
; %bb.2:
	v_mad_u64_u32 v[5:6], s[0:1], s10, v1, 0
	s_mul_i32 s13, s13, s7
	s_mul_hi_u32 s0, s12, s7
	v_mad_u64_u32 v[6:7], s[10:11], s11, v1, v[6:7]
	s_add_i32 s1, s0, s13
	s_mul_i32 s0, s12, s7
	s_lshl_b64 s[0:1], s[0:1], 4
	s_add_u32 s0, s8, s0
	v_lshlrev_b64 v[5:6], 4, v[5:6]
	s_addc_u32 s1, s9, s1
	v_mov_b32_e32 v7, s1
	v_add_co_u32_e64 v5, s[0:1], s0, v5
	v_addc_co_u32_e64 v6, s[0:1], v7, v6, s[0:1]
	v_add_co_u32_e64 v5, s[0:1], v5, v2
	v_addc_co_u32_e64 v6, s[0:1], 0, v6, s[0:1]
	global_load_dwordx4 v[5:8], v[5:6], off
	v_lshl_add_u32 v9, v0, 8, v3
	s_waitcnt vmcnt(0)
	v_xor_b32_e32 v8, 0x80000000, v8
	ds_write_b128 v9, v[5:8]
.LBB137_3:
	s_or_b64 exec, exec, s[2:3]
	s_add_i32 s0, s31, -1
	s_ashr_i32 s1, s0, 31
	s_lshr_b32 s1, s1, 28
	s_add_i32 s0, s0, s1
	s_ashr_i32 s1, s0, 4
	s_and_b32 s0, s0, -16
	s_sub_i32 s0, s31, s0
	s_cmp_ge_i32 s6, s1
	s_cselect_b32 s0, s0, 16
	s_lshl_b32 s6, s6, 4
	v_cmp_gt_i32_e64 s[0:1], s0, v1
	s_ashr_i32 s10, s6, 31
	s_and_b64 s[0:1], vcc, s[0:1]
	s_and_saveexec_b64 s[2:3], s[0:1]
	s_cbranch_execz .LBB137_5
; %bb.4:
	s_mul_i32 s8, s19, s7
	s_mul_hi_u32 s9, s18, s7
	s_add_i32 s9, s9, s8
	s_mul_i32 s8, s18, s7
	s_lshl_b64 s[8:9], s[8:9], 4
	s_add_u32 s11, s14, s8
	s_addc_u32 s14, s15, s9
	s_mul_i32 s8, s16, s10
	s_mul_hi_u32 s9, s16, s6
	s_add_i32 s12, s9, s8
	v_mad_u64_u32 v[5:6], s[8:9], s16, v1, 0
	s_mul_i32 s8, s17, s6
	s_add_i32 s9, s12, s8
	v_mad_u64_u32 v[6:7], s[12:13], s17, v1, v[6:7]
	s_mul_i32 s8, s16, s6
	s_lshl_b64 s[8:9], s[8:9], 4
	s_add_u32 s8, s11, s8
	v_lshlrev_b64 v[5:6], 4, v[5:6]
	s_addc_u32 s9, s14, s9
	v_mov_b32_e32 v7, s9
	v_add_co_u32_e32 v5, vcc, s8, v5
	v_addc_co_u32_e32 v6, vcc, v7, v6, vcc
	v_add_co_u32_e32 v5, vcc, v5, v2
	v_addc_co_u32_e32 v6, vcc, 0, v6, vcc
	global_load_dwordx4 v[5:8], v[5:6], off
	v_add_u32_e32 v9, 0x1000, v4
	s_waitcnt vmcnt(0)
	ds_write2_b64 v9, v[5:6], v[7:8] offset1:1
.LBB137_5:
	s_or_b64 exec, exec, s[2:3]
	s_cmpk_eq_i32 s29, 0x84
	s_cselect_b64 s[2:3], -1, 0
	v_cmp_eq_u32_e32 vcc, v1, v0
	s_and_b64 s[8:9], vcc, s[2:3]
	s_and_saveexec_b64 s[2:3], s[8:9]
; %bb.6:
	v_mov_b32_e32 v5, 0
	v_mov_b32_e32 v6, 0x3ff00000
	;; [unrolled: 1-line block ×4, first 2 shown]
	ds_write_b128 v4, v[5:8]
; %bb.7:
	s_or_b64 exec, exec, s[2:3]
	s_cmpk_lg_i32 s28, 0x7a
	s_waitcnt lgkmcnt(0)
	s_barrier
	s_cbranch_scc0 .LBB137_9
; %bb.8:
	v_cmp_lt_u32_e32 vcc, v0, v1
	s_and_b64 s[2:3], vcc, exec
	s_cbranch_execz .LBB137_10
	s_branch .LBB137_11
.LBB137_9:
	s_mov_b64 s[2:3], 0
.LBB137_10:
	v_cmp_gt_u32_e32 vcc, v0, v1
	s_andn2_b64 s[2:3], s[2:3], exec
	s_and_b64 s[8:9], vcc, exec
	s_or_b64 s[2:3], s[2:3], s[8:9]
.LBB137_11:
	s_and_saveexec_b64 s[8:9], s[2:3]
; %bb.12:
	v_mov_b32_e32 v5, 0
	v_mov_b32_e32 v6, v5
	;; [unrolled: 1-line block ×4, first 2 shown]
	ds_write_b128 v4, v[5:8]
; %bb.13:
	s_or_b64 exec, exec, s[8:9]
	s_waitcnt lgkmcnt(0)
	s_barrier
	s_and_saveexec_b64 s[2:3], s[0:1]
	s_cbranch_execz .LBB137_15
; %bb.14:
	v_lshlrev_b32_e32 v0, 4, v3
	ds_read_b128 v[3:6], v0 offset:4096
	ds_read_b128 v[7:10], v2
	ds_read_b128 v[11:14], v2 offset:256
	ds_read_b128 v[15:18], v0 offset:4112
	;; [unrolled: 1-line block ×3, first 2 shown]
	s_load_dwordx2 s[0:1], s[4:5], 0x68
	s_waitcnt lgkmcnt(0)
	v_mul_f64 v[23:24], v[3:4], v[9:10]
	v_mul_f64 v[9:10], v[5:6], v[9:10]
	;; [unrolled: 1-line block ×4, first 2 shown]
	s_mul_i32 s9, s23, s6
	s_mul_i32 s1, s1, s7
	;; [unrolled: 1-line block ×3, first 2 shown]
	v_fma_f64 v[5:6], v[5:6], v[7:8], v[23:24]
	ds_read_b128 v[23:26], v2 offset:512
	ds_read_b128 v[27:30], v2 offset:768
	;; [unrolled: 1-line block ×3, first 2 shown]
	v_fma_f64 v[39:40], v[3:4], v[7:8], -v[9:10]
	v_fma_f64 v[17:18], v[17:18], v[11:12], v[35:36]
	s_waitcnt lgkmcnt(2)
	v_mul_f64 v[37:38], v[19:20], v[25:26]
	v_mul_f64 v[25:26], v[21:22], v[25:26]
	s_waitcnt lgkmcnt(0)
	v_mul_f64 v[41:42], v[31:32], v[29:30]
	v_fma_f64 v[43:44], v[15:16], v[11:12], -v[13:14]
	v_add_f64 v[35:36], v[5:6], 0
	ds_read_b128 v[3:6], v2 offset:1024
	ds_read_b128 v[7:10], v0 offset:4160
	v_mul_f64 v[29:30], v[33:34], v[29:30]
	v_fma_f64 v[21:22], v[21:22], v[23:24], v[37:38]
	v_add_f64 v[37:38], v[39:40], 0
	s_waitcnt lgkmcnt(0)
	v_mul_f64 v[39:40], v[7:8], v[5:6]
	v_fma_f64 v[45:46], v[19:20], v[23:24], -v[25:26]
	v_add_f64 v[35:36], v[35:36], v[17:18]
	v_fma_f64 v[33:34], v[33:34], v[27:28], v[41:42]
	ds_read_b128 v[11:14], v2 offset:1280
	ds_read_b128 v[15:18], v0 offset:4176
	v_mul_f64 v[5:6], v[9:10], v[5:6]
	v_add_f64 v[37:38], v[37:38], v[43:44]
	v_fma_f64 v[43:44], v[31:32], v[27:28], -v[29:30]
	s_waitcnt lgkmcnt(0)
	v_mul_f64 v[41:42], v[15:16], v[13:14]
	v_add_f64 v[35:36], v[35:36], v[21:22]
	v_fma_f64 v[9:10], v[9:10], v[3:4], v[39:40]
	ds_read_b128 v[19:22], v2 offset:1536
	ds_read_b128 v[23:26], v0 offset:4192
	v_mul_f64 v[13:14], v[17:18], v[13:14]
	v_add_f64 v[37:38], v[37:38], v[45:46]
	v_fma_f64 v[45:46], v[7:8], v[3:4], -v[5:6]
	s_waitcnt lgkmcnt(0)
	v_mul_f64 v[39:40], v[23:24], v[21:22]
	;; [unrolled: 9-line block ×6, first 2 shown]
	v_add_f64 v[35:36], v[35:36], v[33:34]
	v_fma_f64 v[17:18], v[17:18], v[11:12], v[41:42]
	ds_read_b128 v[27:30], v2 offset:2816
	ds_read_b128 v[31:34], v0 offset:4272
	v_mul_f64 v[21:22], v[25:26], v[21:22]
	v_fma_f64 v[49:50], v[15:16], v[11:12], -v[13:14]
	v_add_f64 v[41:42], v[37:38], v[43:44]
	s_waitcnt lgkmcnt(0)
	v_mul_f64 v[47:48], v[31:32], v[29:30]
	v_add_f64 v[43:44], v[35:36], v[9:10]
	v_fma_f64 v[25:26], v[25:26], v[19:20], v[39:40]
	ds_read_b128 v[3:6], v2 offset:3072
	ds_read_b128 v[7:10], v2 offset:3328
	;; [unrolled: 1-line block ×3, first 2 shown]
	v_mul_f64 v[29:30], v[33:34], v[29:30]
	v_fma_f64 v[23:24], v[23:24], v[19:20], -v[21:22]
	v_add_f64 v[45:46], v[41:42], v[45:46]
	s_waitcnt lgkmcnt(0)
	v_mul_f64 v[51:52], v[35:36], v[5:6]
	v_add_f64 v[43:44], v[43:44], v[17:18]
	v_fma_f64 v[33:34], v[33:34], v[27:28], v[47:48]
	ds_read_b128 v[11:14], v2 offset:3584
	ds_read_b128 v[15:18], v2 offset:3840
	;; [unrolled: 1-line block ×3, first 2 shown]
	v_mul_f64 v[5:6], v[37:38], v[5:6]
	v_fma_f64 v[27:28], v[31:32], v[27:28], -v[29:30]
	v_add_f64 v[45:46], v[45:46], v[49:50]
	ds_read_b128 v[19:22], v0 offset:4320
	v_fma_f64 v[29:30], v[37:38], v[3:4], v[51:52]
	v_add_f64 v[25:26], v[43:44], v[25:26]
	s_waitcnt lgkmcnt(1)
	v_mul_f64 v[43:44], v[39:40], v[9:10]
	v_mul_f64 v[9:10], v[41:42], v[9:10]
	v_fma_f64 v[3:4], v[35:36], v[3:4], -v[5:6]
	v_add_f64 v[31:32], v[45:46], v[23:24]
	v_add_f64 v[33:34], v[25:26], v[33:34]
	ds_read_b128 v[23:26], v0 offset:4336
	s_waitcnt lgkmcnt(1)
	v_mul_f64 v[37:38], v[19:20], v[13:14]
	v_fma_f64 v[5:6], v[41:42], v[7:8], v[43:44]
	v_mul_f64 v[13:14], v[21:22], v[13:14]
	v_add_f64 v[27:28], v[31:32], v[27:28]
	v_fma_f64 v[7:8], v[39:40], v[7:8], -v[9:10]
	v_mad_u64_u32 v[31:32], s[2:3], s22, v1, 0
	v_add_f64 v[29:30], v[33:34], v[29:30]
	s_waitcnt lgkmcnt(0)
	v_mul_f64 v[33:34], v[23:24], v[17:18]
	v_fma_f64 v[9:10], v[21:22], v[11:12], v[37:38]
	v_mul_f64 v[17:18], v[25:26], v[17:18]
	v_add_f64 v[3:4], v[27:28], v[3:4]
	v_fma_f64 v[11:12], v[19:20], v[11:12], -v[13:14]
	v_mov_b32_e32 v0, v32
	v_mad_u64_u32 v[0:1], s[4:5], s23, v1, v[0:1]
	v_add_f64 v[5:6], v[29:30], v[5:6]
	v_fma_f64 v[13:14], v[25:26], v[15:16], v[33:34]
	v_mov_b32_e32 v32, v0
	v_add_f64 v[3:4], v[3:4], v[7:8]
	v_fma_f64 v[7:8], v[23:24], v[15:16], -v[17:18]
	s_mul_hi_u32 s3, s22, s6
	s_mul_i32 s2, s22, s6
	s_mul_hi_u32 s6, s0, s7
	v_add_f64 v[5:6], v[5:6], v[9:10]
	s_mul_i32 s0, s0, s7
	s_add_i32 s1, s6, s1
	v_add_f64 v[3:4], v[3:4], v[11:12]
	s_lshl_b64 s[0:1], s[0:1], 4
	s_add_u32 s4, s20, s0
	s_addc_u32 s5, s21, s1
	s_add_i32 s0, s3, s8
	v_add_f64 v[5:6], v[5:6], v[13:14]
	s_add_i32 s3, s0, s9
	s_lshl_b64 s[0:1], s[2:3], 4
	v_add_f64 v[0:1], v[3:4], v[7:8]
	v_lshlrev_b64 v[9:10], 4, v[31:32]
	s_add_u32 s0, s4, s0
	s_addc_u32 s1, s5, s1
	v_mov_b32_e32 v11, s1
	v_mul_f64 v[3:4], s[24:25], v[5:6]
	v_mul_f64 v[7:8], s[26:27], v[5:6]
	v_fma_f64 v[5:6], s[26:27], v[0:1], v[3:4]
	v_fma_f64 v[3:4], s[24:25], v[0:1], -v[7:8]
	v_add_co_u32_e32 v0, vcc, s0, v9
	v_addc_co_u32_e32 v1, vcc, v11, v10, vcc
	v_add_co_u32_e32 v0, vcc, v0, v2
	v_addc_co_u32_e32 v1, vcc, 0, v1, vcc
	global_store_dwordx4 v[0:1], v[3:6], off
.LBB137_15:
	s_endpgm
	.section	.rodata,"a",@progbits
	.p2align	6, 0x0
	.amdhsa_kernel _ZL23rocblas_trmm_lTx_kernelILi16ELb1E19rocblas_complex_numIdES1_KS1_S1_Ev13rocblas_fill_17rocblas_diagonal_iiT2_lPT3_llS7_llPT4_lli
		.amdhsa_group_segment_fixed_size 8192
		.amdhsa_private_segment_fixed_size 0
		.amdhsa_kernarg_size 116
		.amdhsa_user_sgpr_count 6
		.amdhsa_user_sgpr_private_segment_buffer 1
		.amdhsa_user_sgpr_dispatch_ptr 0
		.amdhsa_user_sgpr_queue_ptr 0
		.amdhsa_user_sgpr_kernarg_segment_ptr 1
		.amdhsa_user_sgpr_dispatch_id 0
		.amdhsa_user_sgpr_flat_scratch_init 0
		.amdhsa_user_sgpr_private_segment_size 0
		.amdhsa_uses_dynamic_stack 0
		.amdhsa_system_sgpr_private_segment_wavefront_offset 0
		.amdhsa_system_sgpr_workgroup_id_x 1
		.amdhsa_system_sgpr_workgroup_id_y 0
		.amdhsa_system_sgpr_workgroup_id_z 1
		.amdhsa_system_sgpr_workgroup_info 0
		.amdhsa_system_vgpr_workitem_id 1
		.amdhsa_next_free_vgpr 53
		.amdhsa_next_free_sgpr 61
		.amdhsa_reserve_vcc 1
		.amdhsa_reserve_flat_scratch 0
		.amdhsa_float_round_mode_32 0
		.amdhsa_float_round_mode_16_64 0
		.amdhsa_float_denorm_mode_32 3
		.amdhsa_float_denorm_mode_16_64 3
		.amdhsa_dx10_clamp 1
		.amdhsa_ieee_mode 1
		.amdhsa_fp16_overflow 0
		.amdhsa_exception_fp_ieee_invalid_op 0
		.amdhsa_exception_fp_denorm_src 0
		.amdhsa_exception_fp_ieee_div_zero 0
		.amdhsa_exception_fp_ieee_overflow 0
		.amdhsa_exception_fp_ieee_underflow 0
		.amdhsa_exception_fp_ieee_inexact 0
		.amdhsa_exception_int_div_zero 0
	.end_amdhsa_kernel
	.section	.text._ZL23rocblas_trmm_lTx_kernelILi16ELb1E19rocblas_complex_numIdES1_KS1_S1_Ev13rocblas_fill_17rocblas_diagonal_iiT2_lPT3_llS7_llPT4_lli,"axG",@progbits,_ZL23rocblas_trmm_lTx_kernelILi16ELb1E19rocblas_complex_numIdES1_KS1_S1_Ev13rocblas_fill_17rocblas_diagonal_iiT2_lPT3_llS7_llPT4_lli,comdat
.Lfunc_end137:
	.size	_ZL23rocblas_trmm_lTx_kernelILi16ELb1E19rocblas_complex_numIdES1_KS1_S1_Ev13rocblas_fill_17rocblas_diagonal_iiT2_lPT3_llS7_llPT4_lli, .Lfunc_end137-_ZL23rocblas_trmm_lTx_kernelILi16ELb1E19rocblas_complex_numIdES1_KS1_S1_Ev13rocblas_fill_17rocblas_diagonal_iiT2_lPT3_llS7_llPT4_lli
                                        ; -- End function
	.set _ZL23rocblas_trmm_lTx_kernelILi16ELb1E19rocblas_complex_numIdES1_KS1_S1_Ev13rocblas_fill_17rocblas_diagonal_iiT2_lPT3_llS7_llPT4_lli.num_vgpr, 53
	.set _ZL23rocblas_trmm_lTx_kernelILi16ELb1E19rocblas_complex_numIdES1_KS1_S1_Ev13rocblas_fill_17rocblas_diagonal_iiT2_lPT3_llS7_llPT4_lli.num_agpr, 0
	.set _ZL23rocblas_trmm_lTx_kernelILi16ELb1E19rocblas_complex_numIdES1_KS1_S1_Ev13rocblas_fill_17rocblas_diagonal_iiT2_lPT3_llS7_llPT4_lli.numbered_sgpr, 32
	.set _ZL23rocblas_trmm_lTx_kernelILi16ELb1E19rocblas_complex_numIdES1_KS1_S1_Ev13rocblas_fill_17rocblas_diagonal_iiT2_lPT3_llS7_llPT4_lli.num_named_barrier, 0
	.set _ZL23rocblas_trmm_lTx_kernelILi16ELb1E19rocblas_complex_numIdES1_KS1_S1_Ev13rocblas_fill_17rocblas_diagonal_iiT2_lPT3_llS7_llPT4_lli.private_seg_size, 0
	.set _ZL23rocblas_trmm_lTx_kernelILi16ELb1E19rocblas_complex_numIdES1_KS1_S1_Ev13rocblas_fill_17rocblas_diagonal_iiT2_lPT3_llS7_llPT4_lli.uses_vcc, 1
	.set _ZL23rocblas_trmm_lTx_kernelILi16ELb1E19rocblas_complex_numIdES1_KS1_S1_Ev13rocblas_fill_17rocblas_diagonal_iiT2_lPT3_llS7_llPT4_lli.uses_flat_scratch, 0
	.set _ZL23rocblas_trmm_lTx_kernelILi16ELb1E19rocblas_complex_numIdES1_KS1_S1_Ev13rocblas_fill_17rocblas_diagonal_iiT2_lPT3_llS7_llPT4_lli.has_dyn_sized_stack, 0
	.set _ZL23rocblas_trmm_lTx_kernelILi16ELb1E19rocblas_complex_numIdES1_KS1_S1_Ev13rocblas_fill_17rocblas_diagonal_iiT2_lPT3_llS7_llPT4_lli.has_recursion, 0
	.set _ZL23rocblas_trmm_lTx_kernelILi16ELb1E19rocblas_complex_numIdES1_KS1_S1_Ev13rocblas_fill_17rocblas_diagonal_iiT2_lPT3_llS7_llPT4_lli.has_indirect_call, 0
	.section	.AMDGPU.csdata,"",@progbits
; Kernel info:
; codeLenInByte = 1896
; TotalNumSgprs: 36
; NumVgprs: 53
; ScratchSize: 0
; MemoryBound: 0
; FloatMode: 240
; IeeeMode: 1
; LDSByteSize: 8192 bytes/workgroup (compile time only)
; SGPRBlocks: 8
; VGPRBlocks: 13
; NumSGPRsForWavesPerEU: 65
; NumVGPRsForWavesPerEU: 53
; Occupancy: 4
; WaveLimiterHint : 0
; COMPUTE_PGM_RSRC2:SCRATCH_EN: 0
; COMPUTE_PGM_RSRC2:USER_SGPR: 6
; COMPUTE_PGM_RSRC2:TRAP_HANDLER: 0
; COMPUTE_PGM_RSRC2:TGID_X_EN: 1
; COMPUTE_PGM_RSRC2:TGID_Y_EN: 0
; COMPUTE_PGM_RSRC2:TGID_Z_EN: 1
; COMPUTE_PGM_RSRC2:TIDIG_COMP_CNT: 1
	.section	.text._ZL23rocblas_trmm_rNx_kernelILi16E19rocblas_complex_numIdEPKS1_S2_S1_Ev13rocblas_fill_17rocblas_diagonal_iiT1_lPT2_llS8_llPT3_lli,"axG",@progbits,_ZL23rocblas_trmm_rNx_kernelILi16E19rocblas_complex_numIdEPKS1_S2_S1_Ev13rocblas_fill_17rocblas_diagonal_iiT1_lPT2_llS8_llPT3_lli,comdat
	.globl	_ZL23rocblas_trmm_rNx_kernelILi16E19rocblas_complex_numIdEPKS1_S2_S1_Ev13rocblas_fill_17rocblas_diagonal_iiT1_lPT2_llS8_llPT3_lli ; -- Begin function _ZL23rocblas_trmm_rNx_kernelILi16E19rocblas_complex_numIdEPKS1_S2_S1_Ev13rocblas_fill_17rocblas_diagonal_iiT1_lPT2_llS8_llPT3_lli
	.p2align	8
	.type	_ZL23rocblas_trmm_rNx_kernelILi16E19rocblas_complex_numIdEPKS1_S2_S1_Ev13rocblas_fill_17rocblas_diagonal_iiT1_lPT2_llS8_llPT3_lli,@function
_ZL23rocblas_trmm_rNx_kernelILi16E19rocblas_complex_numIdEPKS1_S2_S1_Ev13rocblas_fill_17rocblas_diagonal_iiT1_lPT2_llS8_llPT3_lli: ; @_ZL23rocblas_trmm_rNx_kernelILi16E19rocblas_complex_numIdEPKS1_S2_S1_Ev13rocblas_fill_17rocblas_diagonal_iiT1_lPT2_llS8_llPT3_lli
; %bb.0:
	s_load_dwordx16 s[8:23], s[4:5], 0x10
	s_waitcnt lgkmcnt(0)
	s_mul_i32 s0, s11, s7
	s_mul_hi_u32 s1, s10, s7
	s_add_i32 s1, s1, s0
	s_mul_i32 s0, s10, s7
	s_lshl_b64 s[0:1], s[0:1], 4
	s_add_u32 s0, s8, s0
	s_addc_u32 s1, s9, s1
	s_load_dwordx4 s[8:11], s[0:1], 0x0
	s_waitcnt lgkmcnt(0)
	v_cmp_neq_f64_e64 s[0:1], s[8:9], 0
	v_cmp_neq_f64_e64 s[2:3], s[10:11], 0
	s_or_b64 s[0:1], s[0:1], s[2:3]
	s_andn2_b64 vcc, exec, s[0:1]
	s_cbranch_vccnz .LBB138_15
; %bb.1:
	s_load_dwordx4 s[24:27], s[4:5], 0x0
	s_mov_b32 s0, 0
	s_mov_b32 s3, s0
	;; [unrolled: 1-line block ×4, first 2 shown]
	v_mov_b32_e32 v8, s3
	v_lshlrev_b32_e32 v3, 4, v1
	v_mov_b32_e32 v7, s2
	v_mov_b32_e32 v6, s1
	;; [unrolled: 1-line block ×3, first 2 shown]
	s_waitcnt lgkmcnt(0)
	v_cmp_gt_i32_e32 vcc, s27, v1
	v_cmp_gt_i32_e64 s[0:1], s27, v0
	v_add_lshl_u32 v4, v3, v0, 4
	s_and_b64 s[0:1], vcc, s[0:1]
	v_lshlrev_b32_e32 v2, 4, v0
	ds_write_b128 v4, v[5:8]
	ds_write_b128 v4, v[5:8] offset:4096
	s_and_saveexec_b64 s[2:3], s[0:1]
	s_cbranch_execz .LBB138_3
; %bb.2:
	v_mad_u64_u32 v[5:6], s[0:1], s14, v1, 0
	s_mul_i32 s17, s17, s7
	s_mul_hi_u32 s0, s16, s7
	v_mad_u64_u32 v[6:7], s[14:15], s15, v1, v[6:7]
	s_add_i32 s1, s0, s17
	s_mul_i32 s0, s16, s7
	s_lshl_b64 s[0:1], s[0:1], 4
	s_add_u32 s0, s12, s0
	v_lshlrev_b64 v[5:6], 4, v[5:6]
	s_addc_u32 s1, s13, s1
	v_mov_b32_e32 v7, s1
	v_add_co_u32_e64 v5, s[0:1], s0, v5
	v_addc_co_u32_e64 v6, s[0:1], v7, v6, s[0:1]
	v_add_co_u32_e64 v5, s[0:1], v5, v2
	v_addc_co_u32_e64 v6, s[0:1], 0, v6, s[0:1]
	global_load_dwordx4 v[5:8], v[5:6], off
	s_waitcnt vmcnt(0)
	ds_write2_b64 v4, v[5:6], v[7:8] offset1:1
.LBB138_3:
	s_or_b64 exec, exec, s[2:3]
	s_add_i32 s0, s26, -1
	s_ashr_i32 s1, s0, 31
	s_lshr_b32 s1, s1, 28
	s_add_i32 s0, s0, s1
	s_ashr_i32 s1, s0, 4
	s_and_b32 s0, s0, -16
	s_sub_i32 s0, s26, s0
	s_cmp_ge_i32 s6, s1
	s_cselect_b32 s0, s0, 16
	s_lshl_b32 s2, s6, 4
	v_cmp_gt_i32_e64 s[0:1], s0, v0
	s_ashr_i32 s3, s2, 31
	s_and_b64 s[0:1], vcc, s[0:1]
	s_and_saveexec_b64 s[12:13], s[0:1]
	s_cbranch_execz .LBB138_5
; %bb.4:
	s_mul_i32 s6, s23, s7
	s_mul_hi_u32 s14, s22, s7
	v_mad_u64_u32 v[5:6], s[16:17], s20, v1, 0
	s_add_i32 s15, s14, s6
	s_mul_i32 s14, s22, s7
	s_lshl_b64 s[14:15], s[14:15], 4
	s_add_u32 s6, s18, s14
	s_addc_u32 s16, s19, s15
	v_mad_u64_u32 v[6:7], s[14:15], s21, v1, v[6:7]
	s_lshl_b64 s[14:15], s[2:3], 4
	s_add_u32 s6, s6, s14
	v_lshlrev_b64 v[5:6], 4, v[5:6]
	s_addc_u32 s14, s16, s15
	v_mov_b32_e32 v7, s14
	v_add_co_u32_e32 v5, vcc, s6, v5
	v_addc_co_u32_e32 v6, vcc, v7, v6, vcc
	v_add_co_u32_e32 v5, vcc, v5, v2
	v_addc_co_u32_e32 v6, vcc, 0, v6, vcc
	global_load_dwordx4 v[5:8], v[5:6], off
	v_add_u32_e32 v9, 0x1000, v4
	s_waitcnt vmcnt(0)
	ds_write2_b64 v9, v[5:6], v[7:8] offset1:1
.LBB138_5:
	s_or_b64 exec, exec, s[12:13]
	s_cmpk_eq_i32 s25, 0x84
	s_cselect_b64 s[12:13], -1, 0
	v_cmp_eq_u32_e32 vcc, v1, v0
	s_and_b64 s[14:15], vcc, s[12:13]
	s_and_saveexec_b64 s[12:13], s[14:15]
; %bb.6:
	v_mov_b32_e32 v5, 0
	v_mov_b32_e32 v6, 0x3ff00000
	;; [unrolled: 1-line block ×4, first 2 shown]
	ds_write_b128 v4, v[5:8]
; %bb.7:
	s_or_b64 exec, exec, s[12:13]
	s_cmpk_lg_i32 s24, 0x79
	s_cbranch_scc0 .LBB138_9
; %bb.8:
	v_cmp_lt_u32_e32 vcc, v0, v1
	s_and_b64 s[12:13], vcc, exec
	s_cbranch_execz .LBB138_10
	s_branch .LBB138_11
.LBB138_9:
	s_mov_b64 s[12:13], 0
.LBB138_10:
	v_cmp_gt_u32_e32 vcc, v0, v1
	s_andn2_b64 s[12:13], s[12:13], exec
	s_and_b64 s[14:15], vcc, exec
	s_or_b64 s[12:13], s[12:13], s[14:15]
.LBB138_11:
	s_and_saveexec_b64 s[14:15], s[12:13]
; %bb.12:
	v_mov_b32_e32 v5, 0
	v_mov_b32_e32 v6, v5
	;; [unrolled: 1-line block ×4, first 2 shown]
	ds_write_b128 v4, v[5:8]
; %bb.13:
	s_or_b64 exec, exec, s[14:15]
	s_waitcnt lgkmcnt(0)
	s_barrier
	s_and_saveexec_b64 s[12:13], s[0:1]
	s_cbranch_execz .LBB138_15
; %bb.14:
	v_lshlrev_b32_e32 v0, 4, v3
	ds_read_b128 v[3:6], v0
	ds_read_b128 v[7:10], v2 offset:4096
	ds_read_b128 v[11:14], v2 offset:4352
	;; [unrolled: 1-line block ×4, first 2 shown]
	s_waitcnt lgkmcnt(3)
	v_mul_f64 v[23:24], v[3:4], v[9:10]
	v_mul_f64 v[9:10], v[5:6], v[9:10]
	s_waitcnt lgkmcnt(1)
	v_mul_f64 v[35:36], v[15:16], v[13:14]
	v_mul_f64 v[13:14], v[17:18], v[13:14]
	v_fma_f64 v[5:6], v[5:6], v[7:8], v[23:24]
	ds_read_b128 v[23:26], v2 offset:4608
	ds_read_b128 v[27:30], v2 offset:4864
	;; [unrolled: 1-line block ×3, first 2 shown]
	v_fma_f64 v[39:40], v[3:4], v[7:8], -v[9:10]
	v_fma_f64 v[17:18], v[17:18], v[11:12], v[35:36]
	s_waitcnt lgkmcnt(2)
	v_mul_f64 v[37:38], v[19:20], v[25:26]
	v_mul_f64 v[25:26], v[21:22], v[25:26]
	s_waitcnt lgkmcnt(0)
	v_mul_f64 v[41:42], v[31:32], v[29:30]
	v_fma_f64 v[43:44], v[15:16], v[11:12], -v[13:14]
	v_add_f64 v[35:36], v[5:6], 0
	ds_read_b128 v[3:6], v2 offset:5120
	ds_read_b128 v[7:10], v0 offset:64
	v_mul_f64 v[29:30], v[33:34], v[29:30]
	v_fma_f64 v[21:22], v[21:22], v[23:24], v[37:38]
	v_add_f64 v[37:38], v[39:40], 0
	s_waitcnt lgkmcnt(0)
	v_mul_f64 v[39:40], v[7:8], v[5:6]
	v_fma_f64 v[45:46], v[19:20], v[23:24], -v[25:26]
	v_add_f64 v[35:36], v[35:36], v[17:18]
	v_fma_f64 v[33:34], v[33:34], v[27:28], v[41:42]
	ds_read_b128 v[11:14], v2 offset:5376
	ds_read_b128 v[15:18], v0 offset:80
	v_mul_f64 v[5:6], v[9:10], v[5:6]
	v_add_f64 v[37:38], v[37:38], v[43:44]
	v_fma_f64 v[43:44], v[31:32], v[27:28], -v[29:30]
	s_waitcnt lgkmcnt(0)
	v_mul_f64 v[41:42], v[15:16], v[13:14]
	v_add_f64 v[35:36], v[35:36], v[21:22]
	v_fma_f64 v[9:10], v[9:10], v[3:4], v[39:40]
	ds_read_b128 v[19:22], v2 offset:5632
	ds_read_b128 v[23:26], v0 offset:96
	v_mul_f64 v[13:14], v[17:18], v[13:14]
	v_add_f64 v[37:38], v[37:38], v[45:46]
	v_fma_f64 v[45:46], v[7:8], v[3:4], -v[5:6]
	s_waitcnt lgkmcnt(0)
	v_mul_f64 v[39:40], v[23:24], v[21:22]
	v_add_f64 v[35:36], v[35:36], v[33:34]
	v_fma_f64 v[17:18], v[17:18], v[11:12], v[41:42]
	ds_read_b128 v[27:30], v2 offset:5888
	ds_read_b128 v[31:34], v0 offset:112
	v_mul_f64 v[21:22], v[25:26], v[21:22]
	v_add_f64 v[37:38], v[37:38], v[43:44]
	v_fma_f64 v[43:44], v[15:16], v[11:12], -v[13:14]
	s_waitcnt lgkmcnt(0)
	v_mul_f64 v[41:42], v[31:32], v[29:30]
	v_add_f64 v[35:36], v[35:36], v[9:10]
	v_fma_f64 v[25:26], v[25:26], v[19:20], v[39:40]
	ds_read_b128 v[3:6], v2 offset:6144
	ds_read_b128 v[7:10], v0 offset:128
	v_mul_f64 v[29:30], v[33:34], v[29:30]
	v_add_f64 v[37:38], v[37:38], v[45:46]
	v_fma_f64 v[45:46], v[23:24], v[19:20], -v[21:22]
	s_waitcnt lgkmcnt(0)
	v_mul_f64 v[39:40], v[7:8], v[5:6]
	v_add_f64 v[35:36], v[35:36], v[17:18]
	v_fma_f64 v[33:34], v[33:34], v[27:28], v[41:42]
	ds_read_b128 v[11:14], v2 offset:6400
	ds_read_b128 v[15:18], v0 offset:144
	v_mul_f64 v[5:6], v[9:10], v[5:6]
	v_add_f64 v[37:38], v[37:38], v[43:44]
	v_fma_f64 v[43:44], v[31:32], v[27:28], -v[29:30]
	s_waitcnt lgkmcnt(0)
	v_mul_f64 v[41:42], v[15:16], v[13:14]
	v_add_f64 v[35:36], v[35:36], v[25:26]
	v_fma_f64 v[9:10], v[9:10], v[3:4], v[39:40]
	ds_read_b128 v[19:22], v2 offset:6656
	ds_read_b128 v[23:26], v0 offset:160
	v_mul_f64 v[13:14], v[17:18], v[13:14]
	v_add_f64 v[37:38], v[37:38], v[45:46]
	v_fma_f64 v[45:46], v[7:8], v[3:4], -v[5:6]
	s_waitcnt lgkmcnt(0)
	v_mul_f64 v[39:40], v[23:24], v[21:22]
	v_add_f64 v[35:36], v[35:36], v[33:34]
	v_fma_f64 v[17:18], v[17:18], v[11:12], v[41:42]
	ds_read_b128 v[27:30], v2 offset:6912
	ds_read_b128 v[31:34], v0 offset:176
	v_mul_f64 v[21:22], v[25:26], v[21:22]
	v_add_f64 v[37:38], v[37:38], v[43:44]
	v_fma_f64 v[43:44], v[15:16], v[11:12], -v[13:14]
	s_waitcnt lgkmcnt(0)
	v_mul_f64 v[41:42], v[31:32], v[29:30]
	v_add_f64 v[35:36], v[35:36], v[9:10]
	v_fma_f64 v[25:26], v[25:26], v[19:20], v[39:40]
	ds_read_b128 v[3:6], v2 offset:7168
	ds_read_b128 v[7:10], v0 offset:192
	v_mul_f64 v[29:30], v[33:34], v[29:30]
	v_add_f64 v[37:38], v[37:38], v[45:46]
	v_fma_f64 v[45:46], v[23:24], v[19:20], -v[21:22]
	s_waitcnt lgkmcnt(0)
	v_mul_f64 v[39:40], v[7:8], v[5:6]
	v_add_f64 v[35:36], v[35:36], v[17:18]
	v_fma_f64 v[33:34], v[33:34], v[27:28], v[41:42]
	ds_read_b128 v[11:14], v2 offset:7424
	ds_read_b128 v[15:18], v0 offset:208
	v_mul_f64 v[5:6], v[9:10], v[5:6]
	v_add_f64 v[37:38], v[37:38], v[43:44]
	v_fma_f64 v[43:44], v[31:32], v[27:28], -v[29:30]
	s_waitcnt lgkmcnt(0)
	v_mul_f64 v[41:42], v[15:16], v[13:14]
	v_add_f64 v[35:36], v[35:36], v[25:26]
	v_fma_f64 v[9:10], v[9:10], v[3:4], v[39:40]
	ds_read_b128 v[19:22], v2 offset:7680
	ds_read_b128 v[23:26], v0 offset:224
	v_mul_f64 v[13:14], v[17:18], v[13:14]
	v_fma_f64 v[3:4], v[7:8], v[3:4], -v[5:6]
	v_add_f64 v[37:38], v[37:38], v[45:46]
	s_waitcnt lgkmcnt(0)
	v_mul_f64 v[39:40], v[23:24], v[21:22]
	v_add_f64 v[35:36], v[35:36], v[33:34]
	v_fma_f64 v[5:6], v[17:18], v[11:12], v[41:42]
	ds_read_b128 v[27:30], v2 offset:7936
	ds_read_b128 v[31:34], v0 offset:240
	v_mul_f64 v[17:18], v[25:26], v[21:22]
	v_fma_f64 v[11:12], v[15:16], v[11:12], -v[13:14]
	v_add_f64 v[7:8], v[37:38], v[43:44]
	s_load_dwordx4 s[12:15], s[4:5], 0x50
	s_load_dwordx2 s[0:1], s[4:5], 0x60
	s_waitcnt lgkmcnt(0)
	v_mul_f64 v[21:22], v[31:32], v[29:30]
	v_add_f64 v[9:10], v[35:36], v[9:10]
	v_fma_f64 v[13:14], v[25:26], v[19:20], v[39:40]
	s_mul_i32 s1, s1, s7
	s_mul_hi_u32 s6, s0, s7
	v_add_f64 v[3:4], v[7:8], v[3:4]
	v_mul_f64 v[7:8], v[33:34], v[29:30]
	v_fma_f64 v[15:16], v[33:34], v[27:28], v[21:22]
	v_add_f64 v[5:6], v[9:10], v[5:6]
	v_fma_f64 v[9:10], v[23:24], v[19:20], -v[17:18]
	s_mul_i32 s0, s0, s7
	s_add_i32 s1, s6, s1
	s_lshl_b64 s[0:1], s[0:1], 4
	v_add_f64 v[3:4], v[3:4], v[11:12]
	v_fma_f64 v[7:8], v[31:32], v[27:28], -v[7:8]
	v_mad_u64_u32 v[11:12], s[4:5], s14, v1, 0
	v_add_f64 v[5:6], v[5:6], v[13:14]
	s_add_u32 s4, s12, s0
	v_mov_b32_e32 v0, v12
	s_addc_u32 s5, s13, s1
	v_add_f64 v[3:4], v[3:4], v[9:10]
	s_lshl_b64 s[0:1], s[2:3], 4
	v_mad_u64_u32 v[0:1], s[2:3], s15, v1, v[0:1]
	v_add_f64 v[5:6], v[5:6], v[15:16]
	s_add_u32 s0, s4, s0
	v_mov_b32_e32 v12, v0
	v_lshlrev_b64 v[0:1], 4, v[11:12]
	v_add_f64 v[3:4], v[3:4], v[7:8]
	s_addc_u32 s1, s5, s1
	v_mov_b32_e32 v13, s1
	v_add_co_u32_e32 v0, vcc, s0, v0
	v_mul_f64 v[7:8], s[8:9], v[5:6]
	v_mul_f64 v[9:10], s[10:11], v[5:6]
	v_addc_co_u32_e32 v1, vcc, v13, v1, vcc
	v_add_co_u32_e32 v0, vcc, v0, v2
	v_addc_co_u32_e32 v1, vcc, 0, v1, vcc
	v_fma_f64 v[5:6], s[10:11], v[3:4], v[7:8]
	v_fma_f64 v[3:4], s[8:9], v[3:4], -v[9:10]
	global_store_dwordx4 v[0:1], v[3:6], off
.LBB138_15:
	s_endpgm
	.section	.rodata,"a",@progbits
	.p2align	6, 0x0
	.amdhsa_kernel _ZL23rocblas_trmm_rNx_kernelILi16E19rocblas_complex_numIdEPKS1_S2_S1_Ev13rocblas_fill_17rocblas_diagonal_iiT1_lPT2_llS8_llPT3_lli
		.amdhsa_group_segment_fixed_size 8192
		.amdhsa_private_segment_fixed_size 0
		.amdhsa_kernarg_size 108
		.amdhsa_user_sgpr_count 6
		.amdhsa_user_sgpr_private_segment_buffer 1
		.amdhsa_user_sgpr_dispatch_ptr 0
		.amdhsa_user_sgpr_queue_ptr 0
		.amdhsa_user_sgpr_kernarg_segment_ptr 1
		.amdhsa_user_sgpr_dispatch_id 0
		.amdhsa_user_sgpr_flat_scratch_init 0
		.amdhsa_user_sgpr_private_segment_size 0
		.amdhsa_uses_dynamic_stack 0
		.amdhsa_system_sgpr_private_segment_wavefront_offset 0
		.amdhsa_system_sgpr_workgroup_id_x 1
		.amdhsa_system_sgpr_workgroup_id_y 0
		.amdhsa_system_sgpr_workgroup_id_z 1
		.amdhsa_system_sgpr_workgroup_info 0
		.amdhsa_system_vgpr_workitem_id 1
		.amdhsa_next_free_vgpr 47
		.amdhsa_next_free_sgpr 61
		.amdhsa_reserve_vcc 1
		.amdhsa_reserve_flat_scratch 0
		.amdhsa_float_round_mode_32 0
		.amdhsa_float_round_mode_16_64 0
		.amdhsa_float_denorm_mode_32 3
		.amdhsa_float_denorm_mode_16_64 3
		.amdhsa_dx10_clamp 1
		.amdhsa_ieee_mode 1
		.amdhsa_fp16_overflow 0
		.amdhsa_exception_fp_ieee_invalid_op 0
		.amdhsa_exception_fp_denorm_src 0
		.amdhsa_exception_fp_ieee_div_zero 0
		.amdhsa_exception_fp_ieee_overflow 0
		.amdhsa_exception_fp_ieee_underflow 0
		.amdhsa_exception_fp_ieee_inexact 0
		.amdhsa_exception_int_div_zero 0
	.end_amdhsa_kernel
	.section	.text._ZL23rocblas_trmm_rNx_kernelILi16E19rocblas_complex_numIdEPKS1_S2_S1_Ev13rocblas_fill_17rocblas_diagonal_iiT1_lPT2_llS8_llPT3_lli,"axG",@progbits,_ZL23rocblas_trmm_rNx_kernelILi16E19rocblas_complex_numIdEPKS1_S2_S1_Ev13rocblas_fill_17rocblas_diagonal_iiT1_lPT2_llS8_llPT3_lli,comdat
.Lfunc_end138:
	.size	_ZL23rocblas_trmm_rNx_kernelILi16E19rocblas_complex_numIdEPKS1_S2_S1_Ev13rocblas_fill_17rocblas_diagonal_iiT1_lPT2_llS8_llPT3_lli, .Lfunc_end138-_ZL23rocblas_trmm_rNx_kernelILi16E19rocblas_complex_numIdEPKS1_S2_S1_Ev13rocblas_fill_17rocblas_diagonal_iiT1_lPT2_llS8_llPT3_lli
                                        ; -- End function
	.set _ZL23rocblas_trmm_rNx_kernelILi16E19rocblas_complex_numIdEPKS1_S2_S1_Ev13rocblas_fill_17rocblas_diagonal_iiT1_lPT2_llS8_llPT3_lli.num_vgpr, 47
	.set _ZL23rocblas_trmm_rNx_kernelILi16E19rocblas_complex_numIdEPKS1_S2_S1_Ev13rocblas_fill_17rocblas_diagonal_iiT1_lPT2_llS8_llPT3_lli.num_agpr, 0
	.set _ZL23rocblas_trmm_rNx_kernelILi16E19rocblas_complex_numIdEPKS1_S2_S1_Ev13rocblas_fill_17rocblas_diagonal_iiT1_lPT2_llS8_llPT3_lli.numbered_sgpr, 28
	.set _ZL23rocblas_trmm_rNx_kernelILi16E19rocblas_complex_numIdEPKS1_S2_S1_Ev13rocblas_fill_17rocblas_diagonal_iiT1_lPT2_llS8_llPT3_lli.num_named_barrier, 0
	.set _ZL23rocblas_trmm_rNx_kernelILi16E19rocblas_complex_numIdEPKS1_S2_S1_Ev13rocblas_fill_17rocblas_diagonal_iiT1_lPT2_llS8_llPT3_lli.private_seg_size, 0
	.set _ZL23rocblas_trmm_rNx_kernelILi16E19rocblas_complex_numIdEPKS1_S2_S1_Ev13rocblas_fill_17rocblas_diagonal_iiT1_lPT2_llS8_llPT3_lli.uses_vcc, 1
	.set _ZL23rocblas_trmm_rNx_kernelILi16E19rocblas_complex_numIdEPKS1_S2_S1_Ev13rocblas_fill_17rocblas_diagonal_iiT1_lPT2_llS8_llPT3_lli.uses_flat_scratch, 0
	.set _ZL23rocblas_trmm_rNx_kernelILi16E19rocblas_complex_numIdEPKS1_S2_S1_Ev13rocblas_fill_17rocblas_diagonal_iiT1_lPT2_llS8_llPT3_lli.has_dyn_sized_stack, 0
	.set _ZL23rocblas_trmm_rNx_kernelILi16E19rocblas_complex_numIdEPKS1_S2_S1_Ev13rocblas_fill_17rocblas_diagonal_iiT1_lPT2_llS8_llPT3_lli.has_recursion, 0
	.set _ZL23rocblas_trmm_rNx_kernelILi16E19rocblas_complex_numIdEPKS1_S2_S1_Ev13rocblas_fill_17rocblas_diagonal_iiT1_lPT2_llS8_llPT3_lli.has_indirect_call, 0
	.section	.AMDGPU.csdata,"",@progbits
; Kernel info:
; codeLenInByte = 1860
; TotalNumSgprs: 32
; NumVgprs: 47
; ScratchSize: 0
; MemoryBound: 0
; FloatMode: 240
; IeeeMode: 1
; LDSByteSize: 8192 bytes/workgroup (compile time only)
; SGPRBlocks: 8
; VGPRBlocks: 11
; NumSGPRsForWavesPerEU: 65
; NumVGPRsForWavesPerEU: 47
; Occupancy: 5
; WaveLimiterHint : 0
; COMPUTE_PGM_RSRC2:SCRATCH_EN: 0
; COMPUTE_PGM_RSRC2:USER_SGPR: 6
; COMPUTE_PGM_RSRC2:TRAP_HANDLER: 0
; COMPUTE_PGM_RSRC2:TGID_X_EN: 1
; COMPUTE_PGM_RSRC2:TGID_Y_EN: 0
; COMPUTE_PGM_RSRC2:TGID_Z_EN: 1
; COMPUTE_PGM_RSRC2:TIDIG_COMP_CNT: 1
	.section	.text._ZL23rocblas_trmm_rNx_kernelILi16E19rocblas_complex_numIdES1_KS1_S1_Ev13rocblas_fill_17rocblas_diagonal_iiT1_lPT2_llS7_llPT3_lli,"axG",@progbits,_ZL23rocblas_trmm_rNx_kernelILi16E19rocblas_complex_numIdES1_KS1_S1_Ev13rocblas_fill_17rocblas_diagonal_iiT1_lPT2_llS7_llPT3_lli,comdat
	.globl	_ZL23rocblas_trmm_rNx_kernelILi16E19rocblas_complex_numIdES1_KS1_S1_Ev13rocblas_fill_17rocblas_diagonal_iiT1_lPT2_llS7_llPT3_lli ; -- Begin function _ZL23rocblas_trmm_rNx_kernelILi16E19rocblas_complex_numIdES1_KS1_S1_Ev13rocblas_fill_17rocblas_diagonal_iiT1_lPT2_llS7_llPT3_lli
	.p2align	8
	.type	_ZL23rocblas_trmm_rNx_kernelILi16E19rocblas_complex_numIdES1_KS1_S1_Ev13rocblas_fill_17rocblas_diagonal_iiT1_lPT2_llS7_llPT3_lli,@function
_ZL23rocblas_trmm_rNx_kernelILi16E19rocblas_complex_numIdES1_KS1_S1_Ev13rocblas_fill_17rocblas_diagonal_iiT1_lPT2_llS7_llPT3_lli: ; @_ZL23rocblas_trmm_rNx_kernelILi16E19rocblas_complex_numIdES1_KS1_S1_Ev13rocblas_fill_17rocblas_diagonal_iiT1_lPT2_llS7_llPT3_lli
; %bb.0:
	s_load_dwordx4 s[24:27], s[4:5], 0x10
	s_waitcnt lgkmcnt(0)
	v_cmp_neq_f64_e64 s[0:1], s[24:25], 0
	v_cmp_neq_f64_e64 s[2:3], s[26:27], 0
	s_or_b64 s[0:1], s[0:1], s[2:3]
	s_andn2_b64 vcc, exec, s[0:1]
	s_cbranch_vccnz .LBB139_15
; %bb.1:
	s_load_dwordx4 s[28:31], s[4:5], 0x0
	s_load_dwordx16 s[8:23], s[4:5], 0x28
	s_mov_b32 s0, 0
	s_mov_b32 s3, s0
	s_mov_b32 s1, s0
	s_mov_b32 s2, s0
	v_mov_b32_e32 v8, s3
	v_lshlrev_b32_e32 v3, 4, v1
	v_mov_b32_e32 v7, s2
	v_mov_b32_e32 v6, s1
	;; [unrolled: 1-line block ×3, first 2 shown]
	s_waitcnt lgkmcnt(0)
	v_cmp_gt_i32_e32 vcc, s31, v1
	v_cmp_gt_i32_e64 s[0:1], s31, v0
	v_add_lshl_u32 v4, v3, v0, 4
	s_and_b64 s[0:1], vcc, s[0:1]
	v_lshlrev_b32_e32 v2, 4, v0
	ds_write_b128 v4, v[5:8]
	ds_write_b128 v4, v[5:8] offset:4096
	s_and_saveexec_b64 s[2:3], s[0:1]
	s_cbranch_execz .LBB139_3
; %bb.2:
	v_mad_u64_u32 v[5:6], s[0:1], s10, v1, 0
	s_mul_i32 s13, s13, s7
	s_mul_hi_u32 s0, s12, s7
	v_mad_u64_u32 v[6:7], s[10:11], s11, v1, v[6:7]
	s_add_i32 s1, s0, s13
	s_mul_i32 s0, s12, s7
	s_lshl_b64 s[0:1], s[0:1], 4
	s_add_u32 s0, s8, s0
	v_lshlrev_b64 v[5:6], 4, v[5:6]
	s_addc_u32 s1, s9, s1
	v_mov_b32_e32 v7, s1
	v_add_co_u32_e64 v5, s[0:1], s0, v5
	v_addc_co_u32_e64 v6, s[0:1], v7, v6, s[0:1]
	v_add_co_u32_e64 v5, s[0:1], v5, v2
	v_addc_co_u32_e64 v6, s[0:1], 0, v6, s[0:1]
	global_load_dwordx4 v[5:8], v[5:6], off
	s_waitcnt vmcnt(0)
	ds_write2_b64 v4, v[5:6], v[7:8] offset1:1
.LBB139_3:
	s_or_b64 exec, exec, s[2:3]
	s_add_i32 s0, s30, -1
	s_ashr_i32 s1, s0, 31
	s_lshr_b32 s1, s1, 28
	s_add_i32 s0, s0, s1
	s_ashr_i32 s1, s0, 4
	s_and_b32 s0, s0, -16
	s_sub_i32 s0, s30, s0
	s_cmp_ge_i32 s6, s1
	s_cselect_b32 s0, s0, 16
	s_lshl_b32 s2, s6, 4
	v_cmp_gt_i32_e64 s[0:1], s0, v0
	s_ashr_i32 s3, s2, 31
	s_and_b64 s[0:1], vcc, s[0:1]
	s_and_saveexec_b64 s[8:9], s[0:1]
	s_cbranch_execz .LBB139_5
; %bb.4:
	s_mul_i32 s6, s19, s7
	s_mul_hi_u32 s10, s18, s7
	v_mad_u64_u32 v[5:6], s[12:13], s16, v1, 0
	s_add_i32 s11, s10, s6
	s_mul_i32 s10, s18, s7
	s_lshl_b64 s[10:11], s[10:11], 4
	s_add_u32 s6, s14, s10
	s_addc_u32 s12, s15, s11
	v_mad_u64_u32 v[6:7], s[10:11], s17, v1, v[6:7]
	s_lshl_b64 s[10:11], s[2:3], 4
	s_add_u32 s6, s6, s10
	v_lshlrev_b64 v[5:6], 4, v[5:6]
	s_addc_u32 s10, s12, s11
	v_mov_b32_e32 v7, s10
	v_add_co_u32_e32 v5, vcc, s6, v5
	v_addc_co_u32_e32 v6, vcc, v7, v6, vcc
	v_add_co_u32_e32 v5, vcc, v5, v2
	v_addc_co_u32_e32 v6, vcc, 0, v6, vcc
	global_load_dwordx4 v[5:8], v[5:6], off
	v_add_u32_e32 v9, 0x1000, v4
	s_waitcnt vmcnt(0)
	ds_write2_b64 v9, v[5:6], v[7:8] offset1:1
.LBB139_5:
	s_or_b64 exec, exec, s[8:9]
	s_cmpk_eq_i32 s29, 0x84
	s_cselect_b64 s[8:9], -1, 0
	v_cmp_eq_u32_e32 vcc, v1, v0
	s_and_b64 s[10:11], vcc, s[8:9]
	s_and_saveexec_b64 s[8:9], s[10:11]
; %bb.6:
	v_mov_b32_e32 v5, 0
	v_mov_b32_e32 v6, 0x3ff00000
	v_mov_b32_e32 v7, v5
	v_mov_b32_e32 v8, v5
	ds_write_b128 v4, v[5:8]
; %bb.7:
	s_or_b64 exec, exec, s[8:9]
	s_cmpk_lg_i32 s28, 0x79
	s_cbranch_scc0 .LBB139_9
; %bb.8:
	v_cmp_lt_u32_e32 vcc, v0, v1
	s_and_b64 s[8:9], vcc, exec
	s_cbranch_execz .LBB139_10
	s_branch .LBB139_11
.LBB139_9:
	s_mov_b64 s[8:9], 0
.LBB139_10:
	v_cmp_gt_u32_e32 vcc, v0, v1
	s_andn2_b64 s[8:9], s[8:9], exec
	s_and_b64 s[10:11], vcc, exec
	s_or_b64 s[8:9], s[8:9], s[10:11]
.LBB139_11:
	s_and_saveexec_b64 s[10:11], s[8:9]
; %bb.12:
	v_mov_b32_e32 v5, 0
	v_mov_b32_e32 v6, v5
	;; [unrolled: 1-line block ×4, first 2 shown]
	ds_write_b128 v4, v[5:8]
; %bb.13:
	s_or_b64 exec, exec, s[10:11]
	s_waitcnt lgkmcnt(0)
	s_barrier
	s_and_saveexec_b64 s[8:9], s[0:1]
	s_cbranch_execz .LBB139_15
; %bb.14:
	v_lshlrev_b32_e32 v0, 4, v3
	ds_read_b128 v[3:6], v0
	ds_read_b128 v[7:10], v2 offset:4096
	ds_read_b128 v[11:14], v2 offset:4352
	;; [unrolled: 1-line block ×4, first 2 shown]
	s_load_dwordx2 s[0:1], s[4:5], 0x68
	s_waitcnt lgkmcnt(0)
	v_mul_f64 v[23:24], v[3:4], v[9:10]
	v_mul_f64 v[9:10], v[5:6], v[9:10]
	;; [unrolled: 1-line block ×4, first 2 shown]
	s_mul_i32 s1, s1, s7
	s_mul_hi_u32 s6, s0, s7
	s_mul_i32 s0, s0, s7
	s_add_i32 s1, s6, s1
	v_fma_f64 v[5:6], v[5:6], v[7:8], v[23:24]
	ds_read_b128 v[23:26], v2 offset:4608
	ds_read_b128 v[27:30], v2 offset:4864
	;; [unrolled: 1-line block ×3, first 2 shown]
	v_fma_f64 v[39:40], v[3:4], v[7:8], -v[9:10]
	v_fma_f64 v[17:18], v[17:18], v[11:12], v[35:36]
	s_waitcnt lgkmcnt(2)
	v_mul_f64 v[37:38], v[19:20], v[25:26]
	v_mul_f64 v[25:26], v[21:22], v[25:26]
	s_waitcnt lgkmcnt(0)
	v_mul_f64 v[41:42], v[31:32], v[29:30]
	v_fma_f64 v[43:44], v[15:16], v[11:12], -v[13:14]
	v_add_f64 v[35:36], v[5:6], 0
	ds_read_b128 v[3:6], v2 offset:5120
	ds_read_b128 v[7:10], v0 offset:64
	v_mul_f64 v[29:30], v[33:34], v[29:30]
	s_lshl_b64 s[0:1], s[0:1], 4
	v_fma_f64 v[21:22], v[21:22], v[23:24], v[37:38]
	v_add_f64 v[37:38], v[39:40], 0
	s_waitcnt lgkmcnt(0)
	v_mul_f64 v[39:40], v[7:8], v[5:6]
	v_fma_f64 v[45:46], v[19:20], v[23:24], -v[25:26]
	v_add_f64 v[35:36], v[35:36], v[17:18]
	v_fma_f64 v[33:34], v[33:34], v[27:28], v[41:42]
	ds_read_b128 v[11:14], v2 offset:5376
	ds_read_b128 v[15:18], v0 offset:80
	v_mul_f64 v[5:6], v[9:10], v[5:6]
	v_add_f64 v[37:38], v[37:38], v[43:44]
	v_fma_f64 v[43:44], v[31:32], v[27:28], -v[29:30]
	s_waitcnt lgkmcnt(0)
	v_mul_f64 v[41:42], v[15:16], v[13:14]
	v_add_f64 v[35:36], v[35:36], v[21:22]
	v_fma_f64 v[9:10], v[9:10], v[3:4], v[39:40]
	ds_read_b128 v[19:22], v2 offset:5632
	ds_read_b128 v[23:26], v0 offset:96
	v_mul_f64 v[13:14], v[17:18], v[13:14]
	v_add_f64 v[37:38], v[37:38], v[45:46]
	v_fma_f64 v[45:46], v[7:8], v[3:4], -v[5:6]
	s_waitcnt lgkmcnt(0)
	v_mul_f64 v[39:40], v[23:24], v[21:22]
	;; [unrolled: 9-line block ×9, first 2 shown]
	v_add_f64 v[35:36], v[35:36], v[25:26]
	v_fma_f64 v[9:10], v[9:10], v[3:4], v[39:40]
	ds_read_b128 v[19:22], v2 offset:7680
	ds_read_b128 v[23:26], v0 offset:224
	v_mul_f64 v[13:14], v[17:18], v[13:14]
	v_fma_f64 v[3:4], v[7:8], v[3:4], -v[5:6]
	v_add_f64 v[37:38], v[37:38], v[45:46]
	s_waitcnt lgkmcnt(0)
	v_mul_f64 v[39:40], v[23:24], v[21:22]
	v_add_f64 v[35:36], v[35:36], v[33:34]
	v_fma_f64 v[5:6], v[17:18], v[11:12], v[41:42]
	ds_read_b128 v[27:30], v2 offset:7936
	ds_read_b128 v[31:34], v0 offset:240
	v_mul_f64 v[17:18], v[25:26], v[21:22]
	v_fma_f64 v[11:12], v[15:16], v[11:12], -v[13:14]
	v_add_f64 v[7:8], v[37:38], v[43:44]
	s_waitcnt lgkmcnt(0)
	v_mul_f64 v[21:22], v[31:32], v[29:30]
	v_add_f64 v[9:10], v[35:36], v[9:10]
	v_fma_f64 v[13:14], v[25:26], v[19:20], v[39:40]
	v_fma_f64 v[15:16], v[23:24], v[19:20], -v[17:18]
	v_add_f64 v[3:4], v[7:8], v[3:4]
	v_mad_u64_u32 v[7:8], s[4:5], s22, v1, 0
	v_add_f64 v[5:6], v[9:10], v[5:6]
	v_mul_f64 v[9:10], v[33:34], v[29:30]
	v_fma_f64 v[17:18], v[33:34], v[27:28], v[21:22]
	v_mov_b32_e32 v0, v8
	v_mad_u64_u32 v[0:1], s[4:5], s23, v1, v[0:1]
	v_add_f64 v[3:4], v[3:4], v[11:12]
	s_add_u32 s4, s20, s0
	v_add_f64 v[5:6], v[5:6], v[13:14]
	v_fma_f64 v[8:9], v[31:32], v[27:28], -v[9:10]
	s_addc_u32 s5, s21, s1
	s_lshl_b64 s[0:1], s[2:3], 4
	s_add_u32 s0, s4, s0
	s_addc_u32 s1, s5, s1
	v_add_f64 v[3:4], v[3:4], v[15:16]
	v_add_f64 v[5:6], v[5:6], v[17:18]
	;; [unrolled: 1-line block ×3, first 2 shown]
	v_mov_b32_e32 v8, v0
	v_mul_f64 v[9:10], s[24:25], v[5:6]
	v_mul_f64 v[11:12], s[26:27], v[5:6]
	v_lshlrev_b64 v[0:1], 4, v[7:8]
	v_mov_b32_e32 v7, s1
	v_add_co_u32_e32 v0, vcc, s0, v0
	v_addc_co_u32_e32 v1, vcc, v7, v1, vcc
	v_fma_f64 v[5:6], s[26:27], v[3:4], v[9:10]
	v_fma_f64 v[3:4], s[24:25], v[3:4], -v[11:12]
	v_add_co_u32_e32 v0, vcc, v0, v2
	v_addc_co_u32_e32 v1, vcc, 0, v1, vcc
	global_store_dwordx4 v[0:1], v[3:6], off
.LBB139_15:
	s_endpgm
	.section	.rodata,"a",@progbits
	.p2align	6, 0x0
	.amdhsa_kernel _ZL23rocblas_trmm_rNx_kernelILi16E19rocblas_complex_numIdES1_KS1_S1_Ev13rocblas_fill_17rocblas_diagonal_iiT1_lPT2_llS7_llPT3_lli
		.amdhsa_group_segment_fixed_size 8192
		.amdhsa_private_segment_fixed_size 0
		.amdhsa_kernarg_size 116
		.amdhsa_user_sgpr_count 6
		.amdhsa_user_sgpr_private_segment_buffer 1
		.amdhsa_user_sgpr_dispatch_ptr 0
		.amdhsa_user_sgpr_queue_ptr 0
		.amdhsa_user_sgpr_kernarg_segment_ptr 1
		.amdhsa_user_sgpr_dispatch_id 0
		.amdhsa_user_sgpr_flat_scratch_init 0
		.amdhsa_user_sgpr_private_segment_size 0
		.amdhsa_uses_dynamic_stack 0
		.amdhsa_system_sgpr_private_segment_wavefront_offset 0
		.amdhsa_system_sgpr_workgroup_id_x 1
		.amdhsa_system_sgpr_workgroup_id_y 0
		.amdhsa_system_sgpr_workgroup_id_z 1
		.amdhsa_system_sgpr_workgroup_info 0
		.amdhsa_system_vgpr_workitem_id 1
		.amdhsa_next_free_vgpr 47
		.amdhsa_next_free_sgpr 61
		.amdhsa_reserve_vcc 1
		.amdhsa_reserve_flat_scratch 0
		.amdhsa_float_round_mode_32 0
		.amdhsa_float_round_mode_16_64 0
		.amdhsa_float_denorm_mode_32 3
		.amdhsa_float_denorm_mode_16_64 3
		.amdhsa_dx10_clamp 1
		.amdhsa_ieee_mode 1
		.amdhsa_fp16_overflow 0
		.amdhsa_exception_fp_ieee_invalid_op 0
		.amdhsa_exception_fp_denorm_src 0
		.amdhsa_exception_fp_ieee_div_zero 0
		.amdhsa_exception_fp_ieee_overflow 0
		.amdhsa_exception_fp_ieee_underflow 0
		.amdhsa_exception_fp_ieee_inexact 0
		.amdhsa_exception_int_div_zero 0
	.end_amdhsa_kernel
	.section	.text._ZL23rocblas_trmm_rNx_kernelILi16E19rocblas_complex_numIdES1_KS1_S1_Ev13rocblas_fill_17rocblas_diagonal_iiT1_lPT2_llS7_llPT3_lli,"axG",@progbits,_ZL23rocblas_trmm_rNx_kernelILi16E19rocblas_complex_numIdES1_KS1_S1_Ev13rocblas_fill_17rocblas_diagonal_iiT1_lPT2_llS7_llPT3_lli,comdat
.Lfunc_end139:
	.size	_ZL23rocblas_trmm_rNx_kernelILi16E19rocblas_complex_numIdES1_KS1_S1_Ev13rocblas_fill_17rocblas_diagonal_iiT1_lPT2_llS7_llPT3_lli, .Lfunc_end139-_ZL23rocblas_trmm_rNx_kernelILi16E19rocblas_complex_numIdES1_KS1_S1_Ev13rocblas_fill_17rocblas_diagonal_iiT1_lPT2_llS7_llPT3_lli
                                        ; -- End function
	.set _ZL23rocblas_trmm_rNx_kernelILi16E19rocblas_complex_numIdES1_KS1_S1_Ev13rocblas_fill_17rocblas_diagonal_iiT1_lPT2_llS7_llPT3_lli.num_vgpr, 47
	.set _ZL23rocblas_trmm_rNx_kernelILi16E19rocblas_complex_numIdES1_KS1_S1_Ev13rocblas_fill_17rocblas_diagonal_iiT1_lPT2_llS7_llPT3_lli.num_agpr, 0
	.set _ZL23rocblas_trmm_rNx_kernelILi16E19rocblas_complex_numIdES1_KS1_S1_Ev13rocblas_fill_17rocblas_diagonal_iiT1_lPT2_llS7_llPT3_lli.numbered_sgpr, 32
	.set _ZL23rocblas_trmm_rNx_kernelILi16E19rocblas_complex_numIdES1_KS1_S1_Ev13rocblas_fill_17rocblas_diagonal_iiT1_lPT2_llS7_llPT3_lli.num_named_barrier, 0
	.set _ZL23rocblas_trmm_rNx_kernelILi16E19rocblas_complex_numIdES1_KS1_S1_Ev13rocblas_fill_17rocblas_diagonal_iiT1_lPT2_llS7_llPT3_lli.private_seg_size, 0
	.set _ZL23rocblas_trmm_rNx_kernelILi16E19rocblas_complex_numIdES1_KS1_S1_Ev13rocblas_fill_17rocblas_diagonal_iiT1_lPT2_llS7_llPT3_lli.uses_vcc, 1
	.set _ZL23rocblas_trmm_rNx_kernelILi16E19rocblas_complex_numIdES1_KS1_S1_Ev13rocblas_fill_17rocblas_diagonal_iiT1_lPT2_llS7_llPT3_lli.uses_flat_scratch, 0
	.set _ZL23rocblas_trmm_rNx_kernelILi16E19rocblas_complex_numIdES1_KS1_S1_Ev13rocblas_fill_17rocblas_diagonal_iiT1_lPT2_llS7_llPT3_lli.has_dyn_sized_stack, 0
	.set _ZL23rocblas_trmm_rNx_kernelILi16E19rocblas_complex_numIdES1_KS1_S1_Ev13rocblas_fill_17rocblas_diagonal_iiT1_lPT2_llS7_llPT3_lli.has_recursion, 0
	.set _ZL23rocblas_trmm_rNx_kernelILi16E19rocblas_complex_numIdES1_KS1_S1_Ev13rocblas_fill_17rocblas_diagonal_iiT1_lPT2_llS7_llPT3_lli.has_indirect_call, 0
	.section	.AMDGPU.csdata,"",@progbits
; Kernel info:
; codeLenInByte = 1816
; TotalNumSgprs: 36
; NumVgprs: 47
; ScratchSize: 0
; MemoryBound: 0
; FloatMode: 240
; IeeeMode: 1
; LDSByteSize: 8192 bytes/workgroup (compile time only)
; SGPRBlocks: 8
; VGPRBlocks: 11
; NumSGPRsForWavesPerEU: 65
; NumVGPRsForWavesPerEU: 47
; Occupancy: 5
; WaveLimiterHint : 0
; COMPUTE_PGM_RSRC2:SCRATCH_EN: 0
; COMPUTE_PGM_RSRC2:USER_SGPR: 6
; COMPUTE_PGM_RSRC2:TRAP_HANDLER: 0
; COMPUTE_PGM_RSRC2:TGID_X_EN: 1
; COMPUTE_PGM_RSRC2:TGID_Y_EN: 0
; COMPUTE_PGM_RSRC2:TGID_Z_EN: 1
; COMPUTE_PGM_RSRC2:TIDIG_COMP_CNT: 1
	.section	.text._ZL23rocblas_trmm_rTx_kernelILi16ELb0E19rocblas_complex_numIdEPKS1_S2_S1_Ev13rocblas_fill_17rocblas_diagonal_iiT2_lPT3_llS8_llPT4_lli,"axG",@progbits,_ZL23rocblas_trmm_rTx_kernelILi16ELb0E19rocblas_complex_numIdEPKS1_S2_S1_Ev13rocblas_fill_17rocblas_diagonal_iiT2_lPT3_llS8_llPT4_lli,comdat
	.globl	_ZL23rocblas_trmm_rTx_kernelILi16ELb0E19rocblas_complex_numIdEPKS1_S2_S1_Ev13rocblas_fill_17rocblas_diagonal_iiT2_lPT3_llS8_llPT4_lli ; -- Begin function _ZL23rocblas_trmm_rTx_kernelILi16ELb0E19rocblas_complex_numIdEPKS1_S2_S1_Ev13rocblas_fill_17rocblas_diagonal_iiT2_lPT3_llS8_llPT4_lli
	.p2align	8
	.type	_ZL23rocblas_trmm_rTx_kernelILi16ELb0E19rocblas_complex_numIdEPKS1_S2_S1_Ev13rocblas_fill_17rocblas_diagonal_iiT2_lPT3_llS8_llPT4_lli,@function
_ZL23rocblas_trmm_rTx_kernelILi16ELb0E19rocblas_complex_numIdEPKS1_S2_S1_Ev13rocblas_fill_17rocblas_diagonal_iiT2_lPT3_llS8_llPT4_lli: ; @_ZL23rocblas_trmm_rTx_kernelILi16ELb0E19rocblas_complex_numIdEPKS1_S2_S1_Ev13rocblas_fill_17rocblas_diagonal_iiT2_lPT3_llS8_llPT4_lli
; %bb.0:
	s_load_dwordx16 s[8:23], s[4:5], 0x10
	s_waitcnt lgkmcnt(0)
	s_mul_i32 s0, s11, s7
	s_mul_hi_u32 s1, s10, s7
	s_add_i32 s1, s1, s0
	s_mul_i32 s0, s10, s7
	s_lshl_b64 s[0:1], s[0:1], 4
	s_add_u32 s0, s8, s0
	s_addc_u32 s1, s9, s1
	s_load_dwordx4 s[8:11], s[0:1], 0x0
	s_waitcnt lgkmcnt(0)
	v_cmp_neq_f64_e64 s[0:1], s[8:9], 0
	v_cmp_neq_f64_e64 s[2:3], s[10:11], 0
	s_or_b64 s[0:1], s[0:1], s[2:3]
	s_andn2_b64 vcc, exec, s[0:1]
	s_cbranch_vccnz .LBB140_15
; %bb.1:
	s_load_dwordx4 s[24:27], s[4:5], 0x0
	s_mov_b32 s0, 0
	s_mov_b32 s3, s0
	;; [unrolled: 1-line block ×4, first 2 shown]
	v_mov_b32_e32 v8, s3
	v_lshlrev_b32_e32 v3, 4, v1
	v_mov_b32_e32 v7, s2
	v_mov_b32_e32 v6, s1
	;; [unrolled: 1-line block ×3, first 2 shown]
	s_waitcnt lgkmcnt(0)
	v_cmp_gt_i32_e32 vcc, s27, v1
	v_cmp_gt_i32_e64 s[0:1], s27, v0
	v_add_lshl_u32 v4, v3, v0, 4
	s_and_b64 s[0:1], vcc, s[0:1]
	v_lshlrev_b32_e32 v2, 4, v0
	ds_write_b128 v4, v[5:8]
	ds_write_b128 v4, v[5:8] offset:4096
	s_and_saveexec_b64 s[2:3], s[0:1]
	s_cbranch_execz .LBB140_3
; %bb.2:
	v_mad_u64_u32 v[5:6], s[0:1], s14, v1, 0
	s_mul_i32 s17, s17, s7
	s_mul_hi_u32 s0, s16, s7
	v_mad_u64_u32 v[6:7], s[14:15], s15, v1, v[6:7]
	s_add_i32 s1, s0, s17
	s_mul_i32 s0, s16, s7
	s_lshl_b64 s[0:1], s[0:1], 4
	s_add_u32 s0, s12, s0
	v_lshlrev_b64 v[5:6], 4, v[5:6]
	s_addc_u32 s1, s13, s1
	v_mov_b32_e32 v7, s1
	v_add_co_u32_e64 v5, s[0:1], s0, v5
	v_addc_co_u32_e64 v6, s[0:1], v7, v6, s[0:1]
	v_add_co_u32_e64 v5, s[0:1], v5, v2
	v_addc_co_u32_e64 v6, s[0:1], 0, v6, s[0:1]
	global_load_dwordx4 v[5:8], v[5:6], off
	s_waitcnt vmcnt(0)
	ds_write2_b64 v4, v[5:6], v[7:8] offset1:1
.LBB140_3:
	s_or_b64 exec, exec, s[2:3]
	s_add_i32 s0, s26, -1
	s_ashr_i32 s1, s0, 31
	s_lshr_b32 s1, s1, 28
	s_add_i32 s0, s0, s1
	s_ashr_i32 s1, s0, 4
	s_and_b32 s0, s0, -16
	s_sub_i32 s0, s26, s0
	s_cmp_ge_i32 s6, s1
	s_cselect_b32 s0, s0, 16
	s_lshl_b32 s2, s6, 4
	v_cmp_gt_i32_e64 s[0:1], s0, v0
	s_ashr_i32 s3, s2, 31
	s_and_b64 s[0:1], vcc, s[0:1]
	s_and_saveexec_b64 s[12:13], s[0:1]
	s_cbranch_execz .LBB140_5
; %bb.4:
	s_mul_i32 s6, s23, s7
	s_mul_hi_u32 s14, s22, s7
	v_mad_u64_u32 v[5:6], s[16:17], s20, v1, 0
	s_add_i32 s15, s14, s6
	s_mul_i32 s14, s22, s7
	s_lshl_b64 s[14:15], s[14:15], 4
	s_add_u32 s6, s18, s14
	s_addc_u32 s16, s19, s15
	v_mad_u64_u32 v[6:7], s[14:15], s21, v1, v[6:7]
	s_lshl_b64 s[14:15], s[2:3], 4
	s_add_u32 s6, s6, s14
	v_lshlrev_b64 v[5:6], 4, v[5:6]
	s_addc_u32 s14, s16, s15
	v_mov_b32_e32 v7, s14
	v_add_co_u32_e32 v5, vcc, s6, v5
	v_addc_co_u32_e32 v6, vcc, v7, v6, vcc
	v_add_co_u32_e32 v5, vcc, v5, v2
	v_addc_co_u32_e32 v6, vcc, 0, v6, vcc
	global_load_dwordx4 v[5:8], v[5:6], off
	v_add_u32_e32 v9, 0x1000, v4
	s_waitcnt vmcnt(0)
	ds_write2_b64 v9, v[5:6], v[7:8] offset1:1
.LBB140_5:
	s_or_b64 exec, exec, s[12:13]
	s_cmpk_eq_i32 s25, 0x84
	s_cselect_b64 s[12:13], -1, 0
	v_cmp_eq_u32_e32 vcc, v1, v0
	s_and_b64 s[14:15], vcc, s[12:13]
	s_and_saveexec_b64 s[12:13], s[14:15]
; %bb.6:
	v_mov_b32_e32 v5, 0
	v_mov_b32_e32 v6, 0x3ff00000
	v_mov_b32_e32 v7, v5
	v_mov_b32_e32 v8, v5
	ds_write_b128 v4, v[5:8]
; %bb.7:
	s_or_b64 exec, exec, s[12:13]
	s_cmpk_lg_i32 s24, 0x79
	s_cbranch_scc0 .LBB140_9
; %bb.8:
	v_cmp_lt_u32_e32 vcc, v0, v1
	s_and_b64 s[12:13], vcc, exec
	s_cbranch_execz .LBB140_10
	s_branch .LBB140_11
.LBB140_9:
	s_mov_b64 s[12:13], 0
.LBB140_10:
	v_cmp_gt_u32_e32 vcc, v0, v1
	s_andn2_b64 s[12:13], s[12:13], exec
	s_and_b64 s[14:15], vcc, exec
	s_or_b64 s[12:13], s[12:13], s[14:15]
.LBB140_11:
	s_and_saveexec_b64 s[14:15], s[12:13]
; %bb.12:
	v_mov_b32_e32 v5, 0
	v_mov_b32_e32 v6, v5
	;; [unrolled: 1-line block ×4, first 2 shown]
	ds_write_b128 v4, v[5:8]
; %bb.13:
	s_or_b64 exec, exec, s[14:15]
	s_waitcnt lgkmcnt(0)
	s_barrier
	s_and_saveexec_b64 s[12:13], s[0:1]
	s_cbranch_execz .LBB140_15
; %bb.14:
	ds_read_b128 v[4:7], v2 offset:4096
	ds_read_b128 v[8:11], v3
	ds_read_b128 v[12:15], v3 offset:256
	ds_read_b128 v[16:19], v2 offset:4352
	;; [unrolled: 1-line block ×3, first 2 shown]
	s_waitcnt lgkmcnt(3)
	v_mul_f64 v[24:25], v[8:9], v[6:7]
	v_mul_f64 v[6:7], v[10:11], v[6:7]
	s_waitcnt lgkmcnt(1)
	v_mul_f64 v[36:37], v[12:13], v[18:19]
	v_mul_f64 v[18:19], v[14:15], v[18:19]
	v_fma_f64 v[10:11], v[10:11], v[4:5], v[24:25]
	ds_read_b128 v[24:27], v3 offset:512
	ds_read_b128 v[28:31], v3 offset:768
	;; [unrolled: 1-line block ×3, first 2 shown]
	v_fma_f64 v[40:41], v[8:9], v[4:5], -v[6:7]
	v_fma_f64 v[14:15], v[14:15], v[16:17], v[36:37]
	s_waitcnt lgkmcnt(2)
	v_mul_f64 v[38:39], v[24:25], v[22:23]
	v_mul_f64 v[22:23], v[26:27], v[22:23]
	s_waitcnt lgkmcnt(0)
	v_mul_f64 v[42:43], v[28:29], v[34:35]
	v_fma_f64 v[44:45], v[12:13], v[16:17], -v[18:19]
	v_add_f64 v[36:37], v[10:11], 0
	ds_read_b128 v[4:7], v2 offset:5120
	ds_read_b128 v[8:11], v3 offset:1024
	v_mul_f64 v[34:35], v[30:31], v[34:35]
	v_fma_f64 v[26:27], v[26:27], v[20:21], v[38:39]
	v_add_f64 v[38:39], v[40:41], 0
	s_waitcnt lgkmcnt(0)
	v_mul_f64 v[40:41], v[8:9], v[6:7]
	v_fma_f64 v[46:47], v[24:25], v[20:21], -v[22:23]
	v_add_f64 v[36:37], v[36:37], v[14:15]
	v_fma_f64 v[30:31], v[30:31], v[32:33], v[42:43]
	ds_read_b128 v[12:15], v3 offset:1280
	ds_read_b128 v[16:19], v2 offset:5376
	v_mul_f64 v[6:7], v[10:11], v[6:7]
	v_add_f64 v[38:39], v[38:39], v[44:45]
	v_fma_f64 v[44:45], v[28:29], v[32:33], -v[34:35]
	s_waitcnt lgkmcnt(0)
	v_mul_f64 v[42:43], v[12:13], v[18:19]
	v_add_f64 v[36:37], v[36:37], v[26:27]
	v_fma_f64 v[10:11], v[10:11], v[4:5], v[40:41]
	ds_read_b128 v[20:23], v2 offset:5632
	ds_read_b128 v[24:27], v3 offset:1536
	v_mul_f64 v[18:19], v[14:15], v[18:19]
	v_add_f64 v[38:39], v[38:39], v[46:47]
	v_fma_f64 v[46:47], v[8:9], v[4:5], -v[6:7]
	s_waitcnt lgkmcnt(0)
	v_mul_f64 v[40:41], v[24:25], v[22:23]
	v_add_f64 v[36:37], v[36:37], v[30:31]
	v_fma_f64 v[14:15], v[14:15], v[16:17], v[42:43]
	ds_read_b128 v[28:31], v3 offset:1792
	ds_read_b128 v[32:35], v2 offset:5888
	v_mul_f64 v[22:23], v[26:27], v[22:23]
	v_add_f64 v[38:39], v[38:39], v[44:45]
	v_fma_f64 v[44:45], v[12:13], v[16:17], -v[18:19]
	s_waitcnt lgkmcnt(0)
	v_mul_f64 v[42:43], v[28:29], v[34:35]
	v_add_f64 v[36:37], v[36:37], v[10:11]
	v_fma_f64 v[26:27], v[26:27], v[20:21], v[40:41]
	ds_read_b128 v[4:7], v2 offset:6144
	ds_read_b128 v[8:11], v3 offset:2048
	v_mul_f64 v[34:35], v[30:31], v[34:35]
	v_add_f64 v[38:39], v[38:39], v[46:47]
	v_fma_f64 v[46:47], v[24:25], v[20:21], -v[22:23]
	s_waitcnt lgkmcnt(0)
	v_mul_f64 v[40:41], v[8:9], v[6:7]
	v_add_f64 v[36:37], v[36:37], v[14:15]
	v_fma_f64 v[30:31], v[30:31], v[32:33], v[42:43]
	ds_read_b128 v[12:15], v3 offset:2304
	ds_read_b128 v[16:19], v2 offset:6400
	v_mul_f64 v[6:7], v[10:11], v[6:7]
	v_add_f64 v[38:39], v[38:39], v[44:45]
	v_fma_f64 v[44:45], v[28:29], v[32:33], -v[34:35]
	s_waitcnt lgkmcnt(0)
	v_mul_f64 v[42:43], v[12:13], v[18:19]
	v_add_f64 v[36:37], v[36:37], v[26:27]
	v_fma_f64 v[10:11], v[10:11], v[4:5], v[40:41]
	ds_read_b128 v[20:23], v2 offset:6656
	ds_read_b128 v[24:27], v3 offset:2560
	v_mul_f64 v[18:19], v[14:15], v[18:19]
	v_add_f64 v[38:39], v[38:39], v[46:47]
	v_fma_f64 v[46:47], v[8:9], v[4:5], -v[6:7]
	s_waitcnt lgkmcnt(0)
	v_mul_f64 v[40:41], v[24:25], v[22:23]
	v_add_f64 v[36:37], v[36:37], v[30:31]
	v_fma_f64 v[14:15], v[14:15], v[16:17], v[42:43]
	ds_read_b128 v[28:31], v3 offset:2816
	ds_read_b128 v[32:35], v2 offset:6912
	v_mul_f64 v[22:23], v[26:27], v[22:23]
	v_add_f64 v[38:39], v[38:39], v[44:45]
	v_fma_f64 v[44:45], v[12:13], v[16:17], -v[18:19]
	s_waitcnt lgkmcnt(0)
	v_mul_f64 v[42:43], v[28:29], v[34:35]
	v_add_f64 v[36:37], v[36:37], v[10:11]
	v_fma_f64 v[26:27], v[26:27], v[20:21], v[40:41]
	ds_read_b128 v[4:7], v2 offset:7168
	ds_read_b128 v[8:11], v3 offset:3072
	v_mul_f64 v[34:35], v[30:31], v[34:35]
	v_add_f64 v[38:39], v[38:39], v[46:47]
	v_fma_f64 v[46:47], v[24:25], v[20:21], -v[22:23]
	s_waitcnt lgkmcnt(0)
	v_mul_f64 v[40:41], v[8:9], v[6:7]
	v_add_f64 v[36:37], v[36:37], v[14:15]
	v_fma_f64 v[30:31], v[30:31], v[32:33], v[42:43]
	ds_read_b128 v[12:15], v3 offset:3328
	ds_read_b128 v[16:19], v2 offset:7424
	v_mul_f64 v[6:7], v[10:11], v[6:7]
	v_add_f64 v[38:39], v[38:39], v[44:45]
	v_fma_f64 v[44:45], v[28:29], v[32:33], -v[34:35]
	s_waitcnt lgkmcnt(0)
	v_mul_f64 v[42:43], v[12:13], v[18:19]
	v_add_f64 v[36:37], v[36:37], v[26:27]
	v_fma_f64 v[10:11], v[10:11], v[4:5], v[40:41]
	ds_read_b128 v[20:23], v3 offset:3584
	ds_read_b128 v[24:27], v2 offset:7680
	v_mul_f64 v[18:19], v[14:15], v[18:19]
	v_add_f64 v[38:39], v[38:39], v[46:47]
	s_waitcnt lgkmcnt(0)
	v_mul_f64 v[40:41], v[20:21], v[26:27]
	v_add_f64 v[36:37], v[36:37], v[30:31]
	ds_read_b128 v[28:31], v3 offset:3840
	ds_read_b128 v[32:35], v2 offset:7936
	v_fma_f64 v[3:4], v[8:9], v[4:5], -v[6:7]
	v_fma_f64 v[5:6], v[14:15], v[16:17], v[42:43]
	v_mul_f64 v[14:15], v[22:23], v[26:27]
	v_add_f64 v[7:8], v[38:39], v[44:45]
	s_waitcnt lgkmcnt(0)
	v_mul_f64 v[26:27], v[28:29], v[34:35]
	s_load_dwordx4 s[12:15], s[4:5], 0x50
	s_load_dwordx2 s[0:1], s[4:5], 0x60
	v_add_f64 v[9:10], v[36:37], v[10:11]
	v_fma_f64 v[11:12], v[12:13], v[16:17], -v[18:19]
	v_fma_f64 v[16:17], v[22:23], v[24:25], v[40:41]
	s_waitcnt lgkmcnt(0)
	s_mul_i32 s1, s1, s7
	v_add_f64 v[3:4], v[7:8], v[3:4]
	v_mul_f64 v[7:8], v[30:31], v[34:35]
	s_mul_hi_u32 s6, s0, s7
	v_add_f64 v[5:6], v[9:10], v[5:6]
	v_fma_f64 v[9:10], v[20:21], v[24:25], -v[14:15]
	v_fma_f64 v[13:14], v[30:31], v[32:33], v[26:27]
	s_mul_i32 s0, s0, s7
	s_add_i32 s1, s6, s1
	v_add_f64 v[3:4], v[3:4], v[11:12]
	v_fma_f64 v[7:8], v[28:29], v[32:33], -v[7:8]
	v_mad_u64_u32 v[11:12], s[4:5], s14, v1, 0
	v_add_f64 v[5:6], v[5:6], v[16:17]
	s_lshl_b64 s[0:1], s[0:1], 4
	s_add_u32 s4, s12, s0
	v_mov_b32_e32 v0, v12
	v_add_f64 v[3:4], v[3:4], v[9:10]
	s_addc_u32 s5, s13, s1
	s_lshl_b64 s[0:1], s[2:3], 4
	v_mad_u64_u32 v[0:1], s[2:3], s15, v1, v[0:1]
	v_add_f64 v[5:6], v[5:6], v[13:14]
	s_add_u32 s0, s4, s0
	v_mov_b32_e32 v12, v0
	v_add_f64 v[3:4], v[3:4], v[7:8]
	v_lshlrev_b64 v[0:1], 4, v[11:12]
	s_addc_u32 s1, s5, s1
	v_mov_b32_e32 v13, s1
	v_add_co_u32_e32 v0, vcc, s0, v0
	v_mul_f64 v[7:8], s[8:9], v[5:6]
	v_mul_f64 v[9:10], s[10:11], v[5:6]
	v_addc_co_u32_e32 v1, vcc, v13, v1, vcc
	v_add_co_u32_e32 v0, vcc, v0, v2
	v_addc_co_u32_e32 v1, vcc, 0, v1, vcc
	v_fma_f64 v[5:6], s[10:11], v[3:4], v[7:8]
	v_fma_f64 v[3:4], s[8:9], v[3:4], -v[9:10]
	global_store_dwordx4 v[0:1], v[3:6], off
.LBB140_15:
	s_endpgm
	.section	.rodata,"a",@progbits
	.p2align	6, 0x0
	.amdhsa_kernel _ZL23rocblas_trmm_rTx_kernelILi16ELb0E19rocblas_complex_numIdEPKS1_S2_S1_Ev13rocblas_fill_17rocblas_diagonal_iiT2_lPT3_llS8_llPT4_lli
		.amdhsa_group_segment_fixed_size 8192
		.amdhsa_private_segment_fixed_size 0
		.amdhsa_kernarg_size 108
		.amdhsa_user_sgpr_count 6
		.amdhsa_user_sgpr_private_segment_buffer 1
		.amdhsa_user_sgpr_dispatch_ptr 0
		.amdhsa_user_sgpr_queue_ptr 0
		.amdhsa_user_sgpr_kernarg_segment_ptr 1
		.amdhsa_user_sgpr_dispatch_id 0
		.amdhsa_user_sgpr_flat_scratch_init 0
		.amdhsa_user_sgpr_private_segment_size 0
		.amdhsa_uses_dynamic_stack 0
		.amdhsa_system_sgpr_private_segment_wavefront_offset 0
		.amdhsa_system_sgpr_workgroup_id_x 1
		.amdhsa_system_sgpr_workgroup_id_y 0
		.amdhsa_system_sgpr_workgroup_id_z 1
		.amdhsa_system_sgpr_workgroup_info 0
		.amdhsa_system_vgpr_workitem_id 1
		.amdhsa_next_free_vgpr 48
		.amdhsa_next_free_sgpr 61
		.amdhsa_reserve_vcc 1
		.amdhsa_reserve_flat_scratch 0
		.amdhsa_float_round_mode_32 0
		.amdhsa_float_round_mode_16_64 0
		.amdhsa_float_denorm_mode_32 3
		.amdhsa_float_denorm_mode_16_64 3
		.amdhsa_dx10_clamp 1
		.amdhsa_ieee_mode 1
		.amdhsa_fp16_overflow 0
		.amdhsa_exception_fp_ieee_invalid_op 0
		.amdhsa_exception_fp_denorm_src 0
		.amdhsa_exception_fp_ieee_div_zero 0
		.amdhsa_exception_fp_ieee_overflow 0
		.amdhsa_exception_fp_ieee_underflow 0
		.amdhsa_exception_fp_ieee_inexact 0
		.amdhsa_exception_int_div_zero 0
	.end_amdhsa_kernel
	.section	.text._ZL23rocblas_trmm_rTx_kernelILi16ELb0E19rocblas_complex_numIdEPKS1_S2_S1_Ev13rocblas_fill_17rocblas_diagonal_iiT2_lPT3_llS8_llPT4_lli,"axG",@progbits,_ZL23rocblas_trmm_rTx_kernelILi16ELb0E19rocblas_complex_numIdEPKS1_S2_S1_Ev13rocblas_fill_17rocblas_diagonal_iiT2_lPT3_llS8_llPT4_lli,comdat
.Lfunc_end140:
	.size	_ZL23rocblas_trmm_rTx_kernelILi16ELb0E19rocblas_complex_numIdEPKS1_S2_S1_Ev13rocblas_fill_17rocblas_diagonal_iiT2_lPT3_llS8_llPT4_lli, .Lfunc_end140-_ZL23rocblas_trmm_rTx_kernelILi16ELb0E19rocblas_complex_numIdEPKS1_S2_S1_Ev13rocblas_fill_17rocblas_diagonal_iiT2_lPT3_llS8_llPT4_lli
                                        ; -- End function
	.set _ZL23rocblas_trmm_rTx_kernelILi16ELb0E19rocblas_complex_numIdEPKS1_S2_S1_Ev13rocblas_fill_17rocblas_diagonal_iiT2_lPT3_llS8_llPT4_lli.num_vgpr, 48
	.set _ZL23rocblas_trmm_rTx_kernelILi16ELb0E19rocblas_complex_numIdEPKS1_S2_S1_Ev13rocblas_fill_17rocblas_diagonal_iiT2_lPT3_llS8_llPT4_lli.num_agpr, 0
	.set _ZL23rocblas_trmm_rTx_kernelILi16ELb0E19rocblas_complex_numIdEPKS1_S2_S1_Ev13rocblas_fill_17rocblas_diagonal_iiT2_lPT3_llS8_llPT4_lli.numbered_sgpr, 28
	.set _ZL23rocblas_trmm_rTx_kernelILi16ELb0E19rocblas_complex_numIdEPKS1_S2_S1_Ev13rocblas_fill_17rocblas_diagonal_iiT2_lPT3_llS8_llPT4_lli.num_named_barrier, 0
	.set _ZL23rocblas_trmm_rTx_kernelILi16ELb0E19rocblas_complex_numIdEPKS1_S2_S1_Ev13rocblas_fill_17rocblas_diagonal_iiT2_lPT3_llS8_llPT4_lli.private_seg_size, 0
	.set _ZL23rocblas_trmm_rTx_kernelILi16ELb0E19rocblas_complex_numIdEPKS1_S2_S1_Ev13rocblas_fill_17rocblas_diagonal_iiT2_lPT3_llS8_llPT4_lli.uses_vcc, 1
	.set _ZL23rocblas_trmm_rTx_kernelILi16ELb0E19rocblas_complex_numIdEPKS1_S2_S1_Ev13rocblas_fill_17rocblas_diagonal_iiT2_lPT3_llS8_llPT4_lli.uses_flat_scratch, 0
	.set _ZL23rocblas_trmm_rTx_kernelILi16ELb0E19rocblas_complex_numIdEPKS1_S2_S1_Ev13rocblas_fill_17rocblas_diagonal_iiT2_lPT3_llS8_llPT4_lli.has_dyn_sized_stack, 0
	.set _ZL23rocblas_trmm_rTx_kernelILi16ELb0E19rocblas_complex_numIdEPKS1_S2_S1_Ev13rocblas_fill_17rocblas_diagonal_iiT2_lPT3_llS8_llPT4_lli.has_recursion, 0
	.set _ZL23rocblas_trmm_rTx_kernelILi16ELb0E19rocblas_complex_numIdEPKS1_S2_S1_Ev13rocblas_fill_17rocblas_diagonal_iiT2_lPT3_llS8_llPT4_lli.has_indirect_call, 0
	.section	.AMDGPU.csdata,"",@progbits
; Kernel info:
; codeLenInByte = 1860
; TotalNumSgprs: 32
; NumVgprs: 48
; ScratchSize: 0
; MemoryBound: 0
; FloatMode: 240
; IeeeMode: 1
; LDSByteSize: 8192 bytes/workgroup (compile time only)
; SGPRBlocks: 8
; VGPRBlocks: 11
; NumSGPRsForWavesPerEU: 65
; NumVGPRsForWavesPerEU: 48
; Occupancy: 5
; WaveLimiterHint : 0
; COMPUTE_PGM_RSRC2:SCRATCH_EN: 0
; COMPUTE_PGM_RSRC2:USER_SGPR: 6
; COMPUTE_PGM_RSRC2:TRAP_HANDLER: 0
; COMPUTE_PGM_RSRC2:TGID_X_EN: 1
; COMPUTE_PGM_RSRC2:TGID_Y_EN: 0
; COMPUTE_PGM_RSRC2:TGID_Z_EN: 1
; COMPUTE_PGM_RSRC2:TIDIG_COMP_CNT: 1
	.section	.text._ZL23rocblas_trmm_rTx_kernelILi16ELb0E19rocblas_complex_numIdES1_KS1_S1_Ev13rocblas_fill_17rocblas_diagonal_iiT2_lPT3_llS7_llPT4_lli,"axG",@progbits,_ZL23rocblas_trmm_rTx_kernelILi16ELb0E19rocblas_complex_numIdES1_KS1_S1_Ev13rocblas_fill_17rocblas_diagonal_iiT2_lPT3_llS7_llPT4_lli,comdat
	.globl	_ZL23rocblas_trmm_rTx_kernelILi16ELb0E19rocblas_complex_numIdES1_KS1_S1_Ev13rocblas_fill_17rocblas_diagonal_iiT2_lPT3_llS7_llPT4_lli ; -- Begin function _ZL23rocblas_trmm_rTx_kernelILi16ELb0E19rocblas_complex_numIdES1_KS1_S1_Ev13rocblas_fill_17rocblas_diagonal_iiT2_lPT3_llS7_llPT4_lli
	.p2align	8
	.type	_ZL23rocblas_trmm_rTx_kernelILi16ELb0E19rocblas_complex_numIdES1_KS1_S1_Ev13rocblas_fill_17rocblas_diagonal_iiT2_lPT3_llS7_llPT4_lli,@function
_ZL23rocblas_trmm_rTx_kernelILi16ELb0E19rocblas_complex_numIdES1_KS1_S1_Ev13rocblas_fill_17rocblas_diagonal_iiT2_lPT3_llS7_llPT4_lli: ; @_ZL23rocblas_trmm_rTx_kernelILi16ELb0E19rocblas_complex_numIdES1_KS1_S1_Ev13rocblas_fill_17rocblas_diagonal_iiT2_lPT3_llS7_llPT4_lli
; %bb.0:
	s_load_dwordx4 s[24:27], s[4:5], 0x10
	s_waitcnt lgkmcnt(0)
	v_cmp_neq_f64_e64 s[0:1], s[24:25], 0
	v_cmp_neq_f64_e64 s[2:3], s[26:27], 0
	s_or_b64 s[0:1], s[0:1], s[2:3]
	s_andn2_b64 vcc, exec, s[0:1]
	s_cbranch_vccnz .LBB141_15
; %bb.1:
	s_load_dwordx4 s[28:31], s[4:5], 0x0
	s_load_dwordx16 s[8:23], s[4:5], 0x28
	s_mov_b32 s0, 0
	s_mov_b32 s3, s0
	;; [unrolled: 1-line block ×4, first 2 shown]
	v_mov_b32_e32 v8, s3
	v_lshlrev_b32_e32 v3, 4, v1
	v_mov_b32_e32 v7, s2
	v_mov_b32_e32 v6, s1
	;; [unrolled: 1-line block ×3, first 2 shown]
	s_waitcnt lgkmcnt(0)
	v_cmp_gt_i32_e32 vcc, s31, v1
	v_cmp_gt_i32_e64 s[0:1], s31, v0
	v_add_lshl_u32 v4, v3, v0, 4
	s_and_b64 s[0:1], vcc, s[0:1]
	v_lshlrev_b32_e32 v2, 4, v0
	ds_write_b128 v4, v[5:8]
	ds_write_b128 v4, v[5:8] offset:4096
	s_and_saveexec_b64 s[2:3], s[0:1]
	s_cbranch_execz .LBB141_3
; %bb.2:
	v_mad_u64_u32 v[5:6], s[0:1], s10, v1, 0
	s_mul_i32 s13, s13, s7
	s_mul_hi_u32 s0, s12, s7
	v_mad_u64_u32 v[6:7], s[10:11], s11, v1, v[6:7]
	s_add_i32 s1, s0, s13
	s_mul_i32 s0, s12, s7
	s_lshl_b64 s[0:1], s[0:1], 4
	s_add_u32 s0, s8, s0
	v_lshlrev_b64 v[5:6], 4, v[5:6]
	s_addc_u32 s1, s9, s1
	v_mov_b32_e32 v7, s1
	v_add_co_u32_e64 v5, s[0:1], s0, v5
	v_addc_co_u32_e64 v6, s[0:1], v7, v6, s[0:1]
	v_add_co_u32_e64 v5, s[0:1], v5, v2
	v_addc_co_u32_e64 v6, s[0:1], 0, v6, s[0:1]
	global_load_dwordx4 v[5:8], v[5:6], off
	s_waitcnt vmcnt(0)
	ds_write2_b64 v4, v[5:6], v[7:8] offset1:1
.LBB141_3:
	s_or_b64 exec, exec, s[2:3]
	s_add_i32 s0, s30, -1
	s_ashr_i32 s1, s0, 31
	s_lshr_b32 s1, s1, 28
	s_add_i32 s0, s0, s1
	s_ashr_i32 s1, s0, 4
	s_and_b32 s0, s0, -16
	s_sub_i32 s0, s30, s0
	s_cmp_ge_i32 s6, s1
	s_cselect_b32 s0, s0, 16
	s_lshl_b32 s2, s6, 4
	v_cmp_gt_i32_e64 s[0:1], s0, v0
	s_ashr_i32 s3, s2, 31
	s_and_b64 s[0:1], vcc, s[0:1]
	s_and_saveexec_b64 s[8:9], s[0:1]
	s_cbranch_execz .LBB141_5
; %bb.4:
	s_mul_i32 s6, s19, s7
	s_mul_hi_u32 s10, s18, s7
	v_mad_u64_u32 v[5:6], s[12:13], s16, v1, 0
	s_add_i32 s11, s10, s6
	s_mul_i32 s10, s18, s7
	s_lshl_b64 s[10:11], s[10:11], 4
	s_add_u32 s6, s14, s10
	s_addc_u32 s12, s15, s11
	v_mad_u64_u32 v[6:7], s[10:11], s17, v1, v[6:7]
	s_lshl_b64 s[10:11], s[2:3], 4
	s_add_u32 s6, s6, s10
	v_lshlrev_b64 v[5:6], 4, v[5:6]
	s_addc_u32 s10, s12, s11
	v_mov_b32_e32 v7, s10
	v_add_co_u32_e32 v5, vcc, s6, v5
	v_addc_co_u32_e32 v6, vcc, v7, v6, vcc
	v_add_co_u32_e32 v5, vcc, v5, v2
	v_addc_co_u32_e32 v6, vcc, 0, v6, vcc
	global_load_dwordx4 v[5:8], v[5:6], off
	v_add_u32_e32 v9, 0x1000, v4
	s_waitcnt vmcnt(0)
	ds_write2_b64 v9, v[5:6], v[7:8] offset1:1
.LBB141_5:
	s_or_b64 exec, exec, s[8:9]
	s_cmpk_eq_i32 s29, 0x84
	s_cselect_b64 s[8:9], -1, 0
	v_cmp_eq_u32_e32 vcc, v1, v0
	s_and_b64 s[10:11], vcc, s[8:9]
	s_and_saveexec_b64 s[8:9], s[10:11]
; %bb.6:
	v_mov_b32_e32 v5, 0
	v_mov_b32_e32 v6, 0x3ff00000
	;; [unrolled: 1-line block ×4, first 2 shown]
	ds_write_b128 v4, v[5:8]
; %bb.7:
	s_or_b64 exec, exec, s[8:9]
	s_cmpk_lg_i32 s28, 0x79
	s_cbranch_scc0 .LBB141_9
; %bb.8:
	v_cmp_lt_u32_e32 vcc, v0, v1
	s_and_b64 s[8:9], vcc, exec
	s_cbranch_execz .LBB141_10
	s_branch .LBB141_11
.LBB141_9:
	s_mov_b64 s[8:9], 0
.LBB141_10:
	v_cmp_gt_u32_e32 vcc, v0, v1
	s_andn2_b64 s[8:9], s[8:9], exec
	s_and_b64 s[10:11], vcc, exec
	s_or_b64 s[8:9], s[8:9], s[10:11]
.LBB141_11:
	s_and_saveexec_b64 s[10:11], s[8:9]
; %bb.12:
	v_mov_b32_e32 v5, 0
	v_mov_b32_e32 v6, v5
	;; [unrolled: 1-line block ×4, first 2 shown]
	ds_write_b128 v4, v[5:8]
; %bb.13:
	s_or_b64 exec, exec, s[10:11]
	s_waitcnt lgkmcnt(0)
	s_barrier
	s_and_saveexec_b64 s[8:9], s[0:1]
	s_cbranch_execz .LBB141_15
; %bb.14:
	ds_read_b128 v[4:7], v2 offset:4096
	ds_read_b128 v[8:11], v3
	ds_read_b128 v[12:15], v3 offset:256
	ds_read_b128 v[16:19], v2 offset:4352
	;; [unrolled: 1-line block ×3, first 2 shown]
	s_load_dwordx2 s[0:1], s[4:5], 0x68
	s_waitcnt lgkmcnt(0)
	v_mul_f64 v[24:25], v[8:9], v[6:7]
	v_mul_f64 v[6:7], v[10:11], v[6:7]
	;; [unrolled: 1-line block ×4, first 2 shown]
	s_mul_i32 s1, s1, s7
	s_mul_hi_u32 s6, s0, s7
	s_mul_i32 s0, s0, s7
	s_add_i32 s1, s6, s1
	v_fma_f64 v[10:11], v[10:11], v[4:5], v[24:25]
	ds_read_b128 v[24:27], v3 offset:512
	ds_read_b128 v[28:31], v3 offset:768
	;; [unrolled: 1-line block ×3, first 2 shown]
	v_fma_f64 v[40:41], v[8:9], v[4:5], -v[6:7]
	v_fma_f64 v[14:15], v[14:15], v[16:17], v[36:37]
	s_waitcnt lgkmcnt(2)
	v_mul_f64 v[38:39], v[24:25], v[22:23]
	v_mul_f64 v[22:23], v[26:27], v[22:23]
	s_waitcnt lgkmcnt(0)
	v_mul_f64 v[42:43], v[28:29], v[34:35]
	v_fma_f64 v[44:45], v[12:13], v[16:17], -v[18:19]
	v_add_f64 v[36:37], v[10:11], 0
	ds_read_b128 v[4:7], v2 offset:5120
	ds_read_b128 v[8:11], v3 offset:1024
	v_mul_f64 v[34:35], v[30:31], v[34:35]
	s_lshl_b64 s[0:1], s[0:1], 4
	v_fma_f64 v[26:27], v[26:27], v[20:21], v[38:39]
	v_add_f64 v[38:39], v[40:41], 0
	s_waitcnt lgkmcnt(0)
	v_mul_f64 v[40:41], v[8:9], v[6:7]
	v_fma_f64 v[46:47], v[24:25], v[20:21], -v[22:23]
	v_add_f64 v[36:37], v[36:37], v[14:15]
	v_fma_f64 v[30:31], v[30:31], v[32:33], v[42:43]
	ds_read_b128 v[12:15], v3 offset:1280
	ds_read_b128 v[16:19], v2 offset:5376
	v_mul_f64 v[6:7], v[10:11], v[6:7]
	v_add_f64 v[38:39], v[38:39], v[44:45]
	v_fma_f64 v[44:45], v[28:29], v[32:33], -v[34:35]
	s_waitcnt lgkmcnt(0)
	v_mul_f64 v[42:43], v[12:13], v[18:19]
	v_add_f64 v[36:37], v[36:37], v[26:27]
	v_fma_f64 v[10:11], v[10:11], v[4:5], v[40:41]
	ds_read_b128 v[20:23], v2 offset:5632
	ds_read_b128 v[24:27], v3 offset:1536
	v_mul_f64 v[18:19], v[14:15], v[18:19]
	v_add_f64 v[38:39], v[38:39], v[46:47]
	v_fma_f64 v[46:47], v[8:9], v[4:5], -v[6:7]
	s_waitcnt lgkmcnt(0)
	v_mul_f64 v[40:41], v[24:25], v[22:23]
	;; [unrolled: 9-line block ×9, first 2 shown]
	v_add_f64 v[36:37], v[36:37], v[26:27]
	v_fma_f64 v[10:11], v[10:11], v[4:5], v[40:41]
	ds_read_b128 v[20:23], v3 offset:3584
	ds_read_b128 v[24:27], v2 offset:7680
	v_mul_f64 v[18:19], v[14:15], v[18:19]
	v_add_f64 v[38:39], v[38:39], v[46:47]
	s_waitcnt lgkmcnt(0)
	v_mul_f64 v[40:41], v[20:21], v[26:27]
	v_add_f64 v[36:37], v[36:37], v[30:31]
	ds_read_b128 v[28:31], v3 offset:3840
	ds_read_b128 v[32:35], v2 offset:7936
	v_fma_f64 v[3:4], v[8:9], v[4:5], -v[6:7]
	v_fma_f64 v[5:6], v[14:15], v[16:17], v[42:43]
	v_mul_f64 v[14:15], v[22:23], v[26:27]
	v_add_f64 v[7:8], v[38:39], v[44:45]
	s_waitcnt lgkmcnt(0)
	v_mul_f64 v[26:27], v[28:29], v[34:35]
	v_add_f64 v[9:10], v[36:37], v[10:11]
	v_fma_f64 v[11:12], v[12:13], v[16:17], -v[18:19]
	v_fma_f64 v[16:17], v[22:23], v[24:25], v[40:41]
	v_fma_f64 v[13:14], v[20:21], v[24:25], -v[14:15]
	v_add_f64 v[3:4], v[7:8], v[3:4]
	v_fma_f64 v[18:19], v[30:31], v[32:33], v[26:27]
	v_mad_u64_u32 v[7:8], s[4:5], s22, v1, 0
	v_add_f64 v[5:6], v[9:10], v[5:6]
	v_mul_f64 v[9:10], v[30:31], v[34:35]
	v_mov_b32_e32 v0, v8
	v_mad_u64_u32 v[0:1], s[4:5], s23, v1, v[0:1]
	v_add_f64 v[3:4], v[3:4], v[11:12]
	s_add_u32 s4, s20, s0
	s_addc_u32 s5, s21, s1
	v_add_f64 v[5:6], v[5:6], v[16:17]
	v_fma_f64 v[8:9], v[28:29], v[32:33], -v[9:10]
	s_lshl_b64 s[0:1], s[2:3], 4
	s_add_u32 s0, s4, s0
	s_addc_u32 s1, s5, s1
	v_add_f64 v[3:4], v[3:4], v[13:14]
	v_add_f64 v[5:6], v[5:6], v[18:19]
	;; [unrolled: 1-line block ×3, first 2 shown]
	v_mov_b32_e32 v8, v0
	v_lshlrev_b64 v[0:1], 4, v[7:8]
	v_mul_f64 v[9:10], s[24:25], v[5:6]
	v_mul_f64 v[11:12], s[26:27], v[5:6]
	v_mov_b32_e32 v7, s1
	v_add_co_u32_e32 v0, vcc, s0, v0
	v_addc_co_u32_e32 v1, vcc, v7, v1, vcc
	v_add_co_u32_e32 v0, vcc, v0, v2
	v_fma_f64 v[5:6], s[26:27], v[3:4], v[9:10]
	v_fma_f64 v[3:4], s[24:25], v[3:4], -v[11:12]
	v_addc_co_u32_e32 v1, vcc, 0, v1, vcc
	global_store_dwordx4 v[0:1], v[3:6], off
.LBB141_15:
	s_endpgm
	.section	.rodata,"a",@progbits
	.p2align	6, 0x0
	.amdhsa_kernel _ZL23rocblas_trmm_rTx_kernelILi16ELb0E19rocblas_complex_numIdES1_KS1_S1_Ev13rocblas_fill_17rocblas_diagonal_iiT2_lPT3_llS7_llPT4_lli
		.amdhsa_group_segment_fixed_size 8192
		.amdhsa_private_segment_fixed_size 0
		.amdhsa_kernarg_size 116
		.amdhsa_user_sgpr_count 6
		.amdhsa_user_sgpr_private_segment_buffer 1
		.amdhsa_user_sgpr_dispatch_ptr 0
		.amdhsa_user_sgpr_queue_ptr 0
		.amdhsa_user_sgpr_kernarg_segment_ptr 1
		.amdhsa_user_sgpr_dispatch_id 0
		.amdhsa_user_sgpr_flat_scratch_init 0
		.amdhsa_user_sgpr_private_segment_size 0
		.amdhsa_uses_dynamic_stack 0
		.amdhsa_system_sgpr_private_segment_wavefront_offset 0
		.amdhsa_system_sgpr_workgroup_id_x 1
		.amdhsa_system_sgpr_workgroup_id_y 0
		.amdhsa_system_sgpr_workgroup_id_z 1
		.amdhsa_system_sgpr_workgroup_info 0
		.amdhsa_system_vgpr_workitem_id 1
		.amdhsa_next_free_vgpr 48
		.amdhsa_next_free_sgpr 61
		.amdhsa_reserve_vcc 1
		.amdhsa_reserve_flat_scratch 0
		.amdhsa_float_round_mode_32 0
		.amdhsa_float_round_mode_16_64 0
		.amdhsa_float_denorm_mode_32 3
		.amdhsa_float_denorm_mode_16_64 3
		.amdhsa_dx10_clamp 1
		.amdhsa_ieee_mode 1
		.amdhsa_fp16_overflow 0
		.amdhsa_exception_fp_ieee_invalid_op 0
		.amdhsa_exception_fp_denorm_src 0
		.amdhsa_exception_fp_ieee_div_zero 0
		.amdhsa_exception_fp_ieee_overflow 0
		.amdhsa_exception_fp_ieee_underflow 0
		.amdhsa_exception_fp_ieee_inexact 0
		.amdhsa_exception_int_div_zero 0
	.end_amdhsa_kernel
	.section	.text._ZL23rocblas_trmm_rTx_kernelILi16ELb0E19rocblas_complex_numIdES1_KS1_S1_Ev13rocblas_fill_17rocblas_diagonal_iiT2_lPT3_llS7_llPT4_lli,"axG",@progbits,_ZL23rocblas_trmm_rTx_kernelILi16ELb0E19rocblas_complex_numIdES1_KS1_S1_Ev13rocblas_fill_17rocblas_diagonal_iiT2_lPT3_llS7_llPT4_lli,comdat
.Lfunc_end141:
	.size	_ZL23rocblas_trmm_rTx_kernelILi16ELb0E19rocblas_complex_numIdES1_KS1_S1_Ev13rocblas_fill_17rocblas_diagonal_iiT2_lPT3_llS7_llPT4_lli, .Lfunc_end141-_ZL23rocblas_trmm_rTx_kernelILi16ELb0E19rocblas_complex_numIdES1_KS1_S1_Ev13rocblas_fill_17rocblas_diagonal_iiT2_lPT3_llS7_llPT4_lli
                                        ; -- End function
	.set _ZL23rocblas_trmm_rTx_kernelILi16ELb0E19rocblas_complex_numIdES1_KS1_S1_Ev13rocblas_fill_17rocblas_diagonal_iiT2_lPT3_llS7_llPT4_lli.num_vgpr, 48
	.set _ZL23rocblas_trmm_rTx_kernelILi16ELb0E19rocblas_complex_numIdES1_KS1_S1_Ev13rocblas_fill_17rocblas_diagonal_iiT2_lPT3_llS7_llPT4_lli.num_agpr, 0
	.set _ZL23rocblas_trmm_rTx_kernelILi16ELb0E19rocblas_complex_numIdES1_KS1_S1_Ev13rocblas_fill_17rocblas_diagonal_iiT2_lPT3_llS7_llPT4_lli.numbered_sgpr, 32
	.set _ZL23rocblas_trmm_rTx_kernelILi16ELb0E19rocblas_complex_numIdES1_KS1_S1_Ev13rocblas_fill_17rocblas_diagonal_iiT2_lPT3_llS7_llPT4_lli.num_named_barrier, 0
	.set _ZL23rocblas_trmm_rTx_kernelILi16ELb0E19rocblas_complex_numIdES1_KS1_S1_Ev13rocblas_fill_17rocblas_diagonal_iiT2_lPT3_llS7_llPT4_lli.private_seg_size, 0
	.set _ZL23rocblas_trmm_rTx_kernelILi16ELb0E19rocblas_complex_numIdES1_KS1_S1_Ev13rocblas_fill_17rocblas_diagonal_iiT2_lPT3_llS7_llPT4_lli.uses_vcc, 1
	.set _ZL23rocblas_trmm_rTx_kernelILi16ELb0E19rocblas_complex_numIdES1_KS1_S1_Ev13rocblas_fill_17rocblas_diagonal_iiT2_lPT3_llS7_llPT4_lli.uses_flat_scratch, 0
	.set _ZL23rocblas_trmm_rTx_kernelILi16ELb0E19rocblas_complex_numIdES1_KS1_S1_Ev13rocblas_fill_17rocblas_diagonal_iiT2_lPT3_llS7_llPT4_lli.has_dyn_sized_stack, 0
	.set _ZL23rocblas_trmm_rTx_kernelILi16ELb0E19rocblas_complex_numIdES1_KS1_S1_Ev13rocblas_fill_17rocblas_diagonal_iiT2_lPT3_llS7_llPT4_lli.has_recursion, 0
	.set _ZL23rocblas_trmm_rTx_kernelILi16ELb0E19rocblas_complex_numIdES1_KS1_S1_Ev13rocblas_fill_17rocblas_diagonal_iiT2_lPT3_llS7_llPT4_lli.has_indirect_call, 0
	.section	.AMDGPU.csdata,"",@progbits
; Kernel info:
; codeLenInByte = 1812
; TotalNumSgprs: 36
; NumVgprs: 48
; ScratchSize: 0
; MemoryBound: 0
; FloatMode: 240
; IeeeMode: 1
; LDSByteSize: 8192 bytes/workgroup (compile time only)
; SGPRBlocks: 8
; VGPRBlocks: 11
; NumSGPRsForWavesPerEU: 65
; NumVGPRsForWavesPerEU: 48
; Occupancy: 5
; WaveLimiterHint : 0
; COMPUTE_PGM_RSRC2:SCRATCH_EN: 0
; COMPUTE_PGM_RSRC2:USER_SGPR: 6
; COMPUTE_PGM_RSRC2:TRAP_HANDLER: 0
; COMPUTE_PGM_RSRC2:TGID_X_EN: 1
; COMPUTE_PGM_RSRC2:TGID_Y_EN: 0
; COMPUTE_PGM_RSRC2:TGID_Z_EN: 1
; COMPUTE_PGM_RSRC2:TIDIG_COMP_CNT: 1
	.section	.text._ZL23rocblas_trmm_rTx_kernelILi16ELb1E19rocblas_complex_numIdEPKS1_S2_S1_Ev13rocblas_fill_17rocblas_diagonal_iiT2_lPT3_llS8_llPT4_lli,"axG",@progbits,_ZL23rocblas_trmm_rTx_kernelILi16ELb1E19rocblas_complex_numIdEPKS1_S2_S1_Ev13rocblas_fill_17rocblas_diagonal_iiT2_lPT3_llS8_llPT4_lli,comdat
	.globl	_ZL23rocblas_trmm_rTx_kernelILi16ELb1E19rocblas_complex_numIdEPKS1_S2_S1_Ev13rocblas_fill_17rocblas_diagonal_iiT2_lPT3_llS8_llPT4_lli ; -- Begin function _ZL23rocblas_trmm_rTx_kernelILi16ELb1E19rocblas_complex_numIdEPKS1_S2_S1_Ev13rocblas_fill_17rocblas_diagonal_iiT2_lPT3_llS8_llPT4_lli
	.p2align	8
	.type	_ZL23rocblas_trmm_rTx_kernelILi16ELb1E19rocblas_complex_numIdEPKS1_S2_S1_Ev13rocblas_fill_17rocblas_diagonal_iiT2_lPT3_llS8_llPT4_lli,@function
_ZL23rocblas_trmm_rTx_kernelILi16ELb1E19rocblas_complex_numIdEPKS1_S2_S1_Ev13rocblas_fill_17rocblas_diagonal_iiT2_lPT3_llS8_llPT4_lli: ; @_ZL23rocblas_trmm_rTx_kernelILi16ELb1E19rocblas_complex_numIdEPKS1_S2_S1_Ev13rocblas_fill_17rocblas_diagonal_iiT2_lPT3_llS8_llPT4_lli
; %bb.0:
	s_load_dwordx16 s[8:23], s[4:5], 0x10
	s_waitcnt lgkmcnt(0)
	s_mul_i32 s0, s11, s7
	s_mul_hi_u32 s1, s10, s7
	s_add_i32 s1, s1, s0
	s_mul_i32 s0, s10, s7
	s_lshl_b64 s[0:1], s[0:1], 4
	s_add_u32 s0, s8, s0
	s_addc_u32 s1, s9, s1
	s_load_dwordx4 s[8:11], s[0:1], 0x0
	s_waitcnt lgkmcnt(0)
	v_cmp_neq_f64_e64 s[0:1], s[8:9], 0
	v_cmp_neq_f64_e64 s[2:3], s[10:11], 0
	s_or_b64 s[0:1], s[0:1], s[2:3]
	s_andn2_b64 vcc, exec, s[0:1]
	s_cbranch_vccnz .LBB142_15
; %bb.1:
	s_load_dwordx4 s[24:27], s[4:5], 0x0
	s_mov_b32 s0, 0
	s_mov_b32 s3, s0
	;; [unrolled: 1-line block ×4, first 2 shown]
	v_mov_b32_e32 v8, s3
	v_lshlrev_b32_e32 v3, 4, v1
	v_mov_b32_e32 v7, s2
	v_mov_b32_e32 v6, s1
	;; [unrolled: 1-line block ×3, first 2 shown]
	s_waitcnt lgkmcnt(0)
	v_cmp_gt_i32_e32 vcc, s27, v1
	v_cmp_gt_i32_e64 s[0:1], s27, v0
	v_add_lshl_u32 v4, v3, v0, 4
	s_and_b64 s[0:1], vcc, s[0:1]
	v_lshlrev_b32_e32 v2, 4, v0
	ds_write_b128 v4, v[5:8]
	ds_write_b128 v4, v[5:8] offset:4096
	s_and_saveexec_b64 s[2:3], s[0:1]
	s_cbranch_execz .LBB142_3
; %bb.2:
	v_mad_u64_u32 v[5:6], s[0:1], s14, v1, 0
	s_mul_i32 s17, s17, s7
	s_mul_hi_u32 s0, s16, s7
	v_mad_u64_u32 v[6:7], s[14:15], s15, v1, v[6:7]
	s_add_i32 s1, s0, s17
	s_mul_i32 s0, s16, s7
	s_lshl_b64 s[0:1], s[0:1], 4
	s_add_u32 s0, s12, s0
	v_lshlrev_b64 v[5:6], 4, v[5:6]
	s_addc_u32 s1, s13, s1
	v_mov_b32_e32 v7, s1
	v_add_co_u32_e64 v5, s[0:1], s0, v5
	v_addc_co_u32_e64 v6, s[0:1], v7, v6, s[0:1]
	v_add_co_u32_e64 v5, s[0:1], v5, v2
	v_addc_co_u32_e64 v6, s[0:1], 0, v6, s[0:1]
	global_load_dwordx4 v[5:8], v[5:6], off
	s_waitcnt vmcnt(0)
	v_xor_b32_e32 v8, 0x80000000, v8
	ds_write_b128 v4, v[5:8]
.LBB142_3:
	s_or_b64 exec, exec, s[2:3]
	s_add_i32 s0, s26, -1
	s_ashr_i32 s1, s0, 31
	s_lshr_b32 s1, s1, 28
	s_add_i32 s0, s0, s1
	s_ashr_i32 s1, s0, 4
	s_and_b32 s0, s0, -16
	s_sub_i32 s0, s26, s0
	s_cmp_ge_i32 s6, s1
	s_cselect_b32 s0, s0, 16
	s_lshl_b32 s2, s6, 4
	v_cmp_gt_i32_e64 s[0:1], s0, v0
	s_ashr_i32 s3, s2, 31
	s_and_b64 s[0:1], vcc, s[0:1]
	s_and_saveexec_b64 s[12:13], s[0:1]
	s_cbranch_execz .LBB142_5
; %bb.4:
	s_mul_i32 s6, s23, s7
	s_mul_hi_u32 s14, s22, s7
	v_mad_u64_u32 v[5:6], s[16:17], s20, v1, 0
	s_add_i32 s15, s14, s6
	s_mul_i32 s14, s22, s7
	s_lshl_b64 s[14:15], s[14:15], 4
	s_add_u32 s6, s18, s14
	s_addc_u32 s16, s19, s15
	v_mad_u64_u32 v[6:7], s[14:15], s21, v1, v[6:7]
	s_lshl_b64 s[14:15], s[2:3], 4
	s_add_u32 s6, s6, s14
	v_lshlrev_b64 v[5:6], 4, v[5:6]
	s_addc_u32 s14, s16, s15
	v_mov_b32_e32 v7, s14
	v_add_co_u32_e32 v5, vcc, s6, v5
	v_addc_co_u32_e32 v6, vcc, v7, v6, vcc
	v_add_co_u32_e32 v5, vcc, v5, v2
	v_addc_co_u32_e32 v6, vcc, 0, v6, vcc
	global_load_dwordx4 v[5:8], v[5:6], off
	v_add_u32_e32 v9, 0x1000, v4
	s_waitcnt vmcnt(0)
	ds_write2_b64 v9, v[5:6], v[7:8] offset1:1
.LBB142_5:
	s_or_b64 exec, exec, s[12:13]
	s_cmpk_eq_i32 s25, 0x84
	s_cselect_b64 s[12:13], -1, 0
	v_cmp_eq_u32_e32 vcc, v1, v0
	s_and_b64 s[14:15], vcc, s[12:13]
	s_and_saveexec_b64 s[12:13], s[14:15]
; %bb.6:
	v_mov_b32_e32 v5, 0
	v_mov_b32_e32 v6, 0x3ff00000
	;; [unrolled: 1-line block ×4, first 2 shown]
	ds_write_b128 v4, v[5:8]
; %bb.7:
	s_or_b64 exec, exec, s[12:13]
	s_cmpk_lg_i32 s24, 0x79
	s_cbranch_scc0 .LBB142_9
; %bb.8:
	v_cmp_lt_u32_e32 vcc, v0, v1
	s_and_b64 s[12:13], vcc, exec
	s_cbranch_execz .LBB142_10
	s_branch .LBB142_11
.LBB142_9:
	s_mov_b64 s[12:13], 0
.LBB142_10:
	v_cmp_gt_u32_e32 vcc, v0, v1
	s_andn2_b64 s[12:13], s[12:13], exec
	s_and_b64 s[14:15], vcc, exec
	s_or_b64 s[12:13], s[12:13], s[14:15]
.LBB142_11:
	s_and_saveexec_b64 s[14:15], s[12:13]
; %bb.12:
	v_mov_b32_e32 v5, 0
	v_mov_b32_e32 v6, v5
	;; [unrolled: 1-line block ×4, first 2 shown]
	ds_write_b128 v4, v[5:8]
; %bb.13:
	s_or_b64 exec, exec, s[14:15]
	s_waitcnt lgkmcnt(0)
	s_barrier
	s_and_saveexec_b64 s[12:13], s[0:1]
	s_cbranch_execz .LBB142_15
; %bb.14:
	ds_read_b128 v[4:7], v2 offset:4096
	ds_read_b128 v[8:11], v3
	ds_read_b128 v[12:15], v3 offset:256
	ds_read_b128 v[16:19], v2 offset:4352
	ds_read_b128 v[20:23], v2 offset:4608
	s_waitcnt lgkmcnt(3)
	v_mul_f64 v[24:25], v[8:9], v[6:7]
	v_mul_f64 v[6:7], v[10:11], v[6:7]
	s_waitcnt lgkmcnt(1)
	v_mul_f64 v[36:37], v[12:13], v[18:19]
	v_mul_f64 v[18:19], v[14:15], v[18:19]
	v_fma_f64 v[10:11], v[10:11], v[4:5], v[24:25]
	ds_read_b128 v[24:27], v3 offset:512
	ds_read_b128 v[28:31], v3 offset:768
	;; [unrolled: 1-line block ×3, first 2 shown]
	v_fma_f64 v[40:41], v[8:9], v[4:5], -v[6:7]
	v_fma_f64 v[14:15], v[14:15], v[16:17], v[36:37]
	s_waitcnt lgkmcnt(2)
	v_mul_f64 v[38:39], v[24:25], v[22:23]
	v_mul_f64 v[22:23], v[26:27], v[22:23]
	s_waitcnt lgkmcnt(0)
	v_mul_f64 v[42:43], v[28:29], v[34:35]
	v_fma_f64 v[44:45], v[12:13], v[16:17], -v[18:19]
	v_add_f64 v[36:37], v[10:11], 0
	ds_read_b128 v[4:7], v2 offset:5120
	ds_read_b128 v[8:11], v3 offset:1024
	v_mul_f64 v[34:35], v[30:31], v[34:35]
	v_fma_f64 v[26:27], v[26:27], v[20:21], v[38:39]
	v_add_f64 v[38:39], v[40:41], 0
	s_waitcnt lgkmcnt(0)
	v_mul_f64 v[40:41], v[8:9], v[6:7]
	v_fma_f64 v[46:47], v[24:25], v[20:21], -v[22:23]
	v_add_f64 v[36:37], v[36:37], v[14:15]
	v_fma_f64 v[30:31], v[30:31], v[32:33], v[42:43]
	ds_read_b128 v[12:15], v3 offset:1280
	ds_read_b128 v[16:19], v2 offset:5376
	v_mul_f64 v[6:7], v[10:11], v[6:7]
	v_add_f64 v[38:39], v[38:39], v[44:45]
	v_fma_f64 v[44:45], v[28:29], v[32:33], -v[34:35]
	s_waitcnt lgkmcnt(0)
	v_mul_f64 v[42:43], v[12:13], v[18:19]
	v_add_f64 v[36:37], v[36:37], v[26:27]
	v_fma_f64 v[10:11], v[10:11], v[4:5], v[40:41]
	ds_read_b128 v[20:23], v2 offset:5632
	ds_read_b128 v[24:27], v3 offset:1536
	v_mul_f64 v[18:19], v[14:15], v[18:19]
	v_add_f64 v[38:39], v[38:39], v[46:47]
	v_fma_f64 v[46:47], v[8:9], v[4:5], -v[6:7]
	s_waitcnt lgkmcnt(0)
	v_mul_f64 v[40:41], v[24:25], v[22:23]
	;; [unrolled: 9-line block ×9, first 2 shown]
	v_add_f64 v[36:37], v[36:37], v[26:27]
	v_fma_f64 v[10:11], v[10:11], v[4:5], v[40:41]
	ds_read_b128 v[20:23], v3 offset:3584
	ds_read_b128 v[24:27], v2 offset:7680
	v_mul_f64 v[18:19], v[14:15], v[18:19]
	v_add_f64 v[38:39], v[38:39], v[46:47]
	s_waitcnt lgkmcnt(0)
	v_mul_f64 v[40:41], v[20:21], v[26:27]
	v_add_f64 v[36:37], v[36:37], v[30:31]
	ds_read_b128 v[28:31], v3 offset:3840
	ds_read_b128 v[32:35], v2 offset:7936
	v_fma_f64 v[3:4], v[8:9], v[4:5], -v[6:7]
	v_fma_f64 v[5:6], v[14:15], v[16:17], v[42:43]
	v_mul_f64 v[14:15], v[22:23], v[26:27]
	v_add_f64 v[7:8], v[38:39], v[44:45]
	s_waitcnt lgkmcnt(0)
	v_mul_f64 v[26:27], v[28:29], v[34:35]
	s_load_dwordx4 s[12:15], s[4:5], 0x50
	s_load_dwordx2 s[0:1], s[4:5], 0x60
	v_add_f64 v[9:10], v[36:37], v[10:11]
	v_fma_f64 v[11:12], v[12:13], v[16:17], -v[18:19]
	v_fma_f64 v[16:17], v[22:23], v[24:25], v[40:41]
	s_waitcnt lgkmcnt(0)
	s_mul_i32 s1, s1, s7
	v_add_f64 v[3:4], v[7:8], v[3:4]
	v_mul_f64 v[7:8], v[30:31], v[34:35]
	s_mul_hi_u32 s6, s0, s7
	v_add_f64 v[5:6], v[9:10], v[5:6]
	v_fma_f64 v[9:10], v[20:21], v[24:25], -v[14:15]
	v_fma_f64 v[13:14], v[30:31], v[32:33], v[26:27]
	s_mul_i32 s0, s0, s7
	s_add_i32 s1, s6, s1
	v_add_f64 v[3:4], v[3:4], v[11:12]
	v_fma_f64 v[7:8], v[28:29], v[32:33], -v[7:8]
	v_mad_u64_u32 v[11:12], s[4:5], s14, v1, 0
	v_add_f64 v[5:6], v[5:6], v[16:17]
	s_lshl_b64 s[0:1], s[0:1], 4
	s_add_u32 s4, s12, s0
	v_mov_b32_e32 v0, v12
	v_add_f64 v[3:4], v[3:4], v[9:10]
	s_addc_u32 s5, s13, s1
	s_lshl_b64 s[0:1], s[2:3], 4
	v_mad_u64_u32 v[0:1], s[2:3], s15, v1, v[0:1]
	v_add_f64 v[5:6], v[5:6], v[13:14]
	s_add_u32 s0, s4, s0
	v_mov_b32_e32 v12, v0
	v_add_f64 v[3:4], v[3:4], v[7:8]
	v_lshlrev_b64 v[0:1], 4, v[11:12]
	s_addc_u32 s1, s5, s1
	v_mov_b32_e32 v13, s1
	v_add_co_u32_e32 v0, vcc, s0, v0
	v_mul_f64 v[7:8], s[8:9], v[5:6]
	v_mul_f64 v[9:10], s[10:11], v[5:6]
	v_addc_co_u32_e32 v1, vcc, v13, v1, vcc
	v_add_co_u32_e32 v0, vcc, v0, v2
	v_addc_co_u32_e32 v1, vcc, 0, v1, vcc
	v_fma_f64 v[5:6], s[10:11], v[3:4], v[7:8]
	v_fma_f64 v[3:4], s[8:9], v[3:4], -v[9:10]
	global_store_dwordx4 v[0:1], v[3:6], off
.LBB142_15:
	s_endpgm
	.section	.rodata,"a",@progbits
	.p2align	6, 0x0
	.amdhsa_kernel _ZL23rocblas_trmm_rTx_kernelILi16ELb1E19rocblas_complex_numIdEPKS1_S2_S1_Ev13rocblas_fill_17rocblas_diagonal_iiT2_lPT3_llS8_llPT4_lli
		.amdhsa_group_segment_fixed_size 8192
		.amdhsa_private_segment_fixed_size 0
		.amdhsa_kernarg_size 108
		.amdhsa_user_sgpr_count 6
		.amdhsa_user_sgpr_private_segment_buffer 1
		.amdhsa_user_sgpr_dispatch_ptr 0
		.amdhsa_user_sgpr_queue_ptr 0
		.amdhsa_user_sgpr_kernarg_segment_ptr 1
		.amdhsa_user_sgpr_dispatch_id 0
		.amdhsa_user_sgpr_flat_scratch_init 0
		.amdhsa_user_sgpr_private_segment_size 0
		.amdhsa_uses_dynamic_stack 0
		.amdhsa_system_sgpr_private_segment_wavefront_offset 0
		.amdhsa_system_sgpr_workgroup_id_x 1
		.amdhsa_system_sgpr_workgroup_id_y 0
		.amdhsa_system_sgpr_workgroup_id_z 1
		.amdhsa_system_sgpr_workgroup_info 0
		.amdhsa_system_vgpr_workitem_id 1
		.amdhsa_next_free_vgpr 48
		.amdhsa_next_free_sgpr 61
		.amdhsa_reserve_vcc 1
		.amdhsa_reserve_flat_scratch 0
		.amdhsa_float_round_mode_32 0
		.amdhsa_float_round_mode_16_64 0
		.amdhsa_float_denorm_mode_32 3
		.amdhsa_float_denorm_mode_16_64 3
		.amdhsa_dx10_clamp 1
		.amdhsa_ieee_mode 1
		.amdhsa_fp16_overflow 0
		.amdhsa_exception_fp_ieee_invalid_op 0
		.amdhsa_exception_fp_denorm_src 0
		.amdhsa_exception_fp_ieee_div_zero 0
		.amdhsa_exception_fp_ieee_overflow 0
		.amdhsa_exception_fp_ieee_underflow 0
		.amdhsa_exception_fp_ieee_inexact 0
		.amdhsa_exception_int_div_zero 0
	.end_amdhsa_kernel
	.section	.text._ZL23rocblas_trmm_rTx_kernelILi16ELb1E19rocblas_complex_numIdEPKS1_S2_S1_Ev13rocblas_fill_17rocblas_diagonal_iiT2_lPT3_llS8_llPT4_lli,"axG",@progbits,_ZL23rocblas_trmm_rTx_kernelILi16ELb1E19rocblas_complex_numIdEPKS1_S2_S1_Ev13rocblas_fill_17rocblas_diagonal_iiT2_lPT3_llS8_llPT4_lli,comdat
.Lfunc_end142:
	.size	_ZL23rocblas_trmm_rTx_kernelILi16ELb1E19rocblas_complex_numIdEPKS1_S2_S1_Ev13rocblas_fill_17rocblas_diagonal_iiT2_lPT3_llS8_llPT4_lli, .Lfunc_end142-_ZL23rocblas_trmm_rTx_kernelILi16ELb1E19rocblas_complex_numIdEPKS1_S2_S1_Ev13rocblas_fill_17rocblas_diagonal_iiT2_lPT3_llS8_llPT4_lli
                                        ; -- End function
	.set _ZL23rocblas_trmm_rTx_kernelILi16ELb1E19rocblas_complex_numIdEPKS1_S2_S1_Ev13rocblas_fill_17rocblas_diagonal_iiT2_lPT3_llS8_llPT4_lli.num_vgpr, 48
	.set _ZL23rocblas_trmm_rTx_kernelILi16ELb1E19rocblas_complex_numIdEPKS1_S2_S1_Ev13rocblas_fill_17rocblas_diagonal_iiT2_lPT3_llS8_llPT4_lli.num_agpr, 0
	.set _ZL23rocblas_trmm_rTx_kernelILi16ELb1E19rocblas_complex_numIdEPKS1_S2_S1_Ev13rocblas_fill_17rocblas_diagonal_iiT2_lPT3_llS8_llPT4_lli.numbered_sgpr, 28
	.set _ZL23rocblas_trmm_rTx_kernelILi16ELb1E19rocblas_complex_numIdEPKS1_S2_S1_Ev13rocblas_fill_17rocblas_diagonal_iiT2_lPT3_llS8_llPT4_lli.num_named_barrier, 0
	.set _ZL23rocblas_trmm_rTx_kernelILi16ELb1E19rocblas_complex_numIdEPKS1_S2_S1_Ev13rocblas_fill_17rocblas_diagonal_iiT2_lPT3_llS8_llPT4_lli.private_seg_size, 0
	.set _ZL23rocblas_trmm_rTx_kernelILi16ELb1E19rocblas_complex_numIdEPKS1_S2_S1_Ev13rocblas_fill_17rocblas_diagonal_iiT2_lPT3_llS8_llPT4_lli.uses_vcc, 1
	.set _ZL23rocblas_trmm_rTx_kernelILi16ELb1E19rocblas_complex_numIdEPKS1_S2_S1_Ev13rocblas_fill_17rocblas_diagonal_iiT2_lPT3_llS8_llPT4_lli.uses_flat_scratch, 0
	.set _ZL23rocblas_trmm_rTx_kernelILi16ELb1E19rocblas_complex_numIdEPKS1_S2_S1_Ev13rocblas_fill_17rocblas_diagonal_iiT2_lPT3_llS8_llPT4_lli.has_dyn_sized_stack, 0
	.set _ZL23rocblas_trmm_rTx_kernelILi16ELb1E19rocblas_complex_numIdEPKS1_S2_S1_Ev13rocblas_fill_17rocblas_diagonal_iiT2_lPT3_llS8_llPT4_lli.has_recursion, 0
	.set _ZL23rocblas_trmm_rTx_kernelILi16ELb1E19rocblas_complex_numIdEPKS1_S2_S1_Ev13rocblas_fill_17rocblas_diagonal_iiT2_lPT3_llS8_llPT4_lli.has_indirect_call, 0
	.section	.AMDGPU.csdata,"",@progbits
; Kernel info:
; codeLenInByte = 1868
; TotalNumSgprs: 32
; NumVgprs: 48
; ScratchSize: 0
; MemoryBound: 0
; FloatMode: 240
; IeeeMode: 1
; LDSByteSize: 8192 bytes/workgroup (compile time only)
; SGPRBlocks: 8
; VGPRBlocks: 11
; NumSGPRsForWavesPerEU: 65
; NumVGPRsForWavesPerEU: 48
; Occupancy: 5
; WaveLimiterHint : 0
; COMPUTE_PGM_RSRC2:SCRATCH_EN: 0
; COMPUTE_PGM_RSRC2:USER_SGPR: 6
; COMPUTE_PGM_RSRC2:TRAP_HANDLER: 0
; COMPUTE_PGM_RSRC2:TGID_X_EN: 1
; COMPUTE_PGM_RSRC2:TGID_Y_EN: 0
; COMPUTE_PGM_RSRC2:TGID_Z_EN: 1
; COMPUTE_PGM_RSRC2:TIDIG_COMP_CNT: 1
	.section	.text._ZL23rocblas_trmm_rTx_kernelILi16ELb1E19rocblas_complex_numIdES1_KS1_S1_Ev13rocblas_fill_17rocblas_diagonal_iiT2_lPT3_llS7_llPT4_lli,"axG",@progbits,_ZL23rocblas_trmm_rTx_kernelILi16ELb1E19rocblas_complex_numIdES1_KS1_S1_Ev13rocblas_fill_17rocblas_diagonal_iiT2_lPT3_llS7_llPT4_lli,comdat
	.globl	_ZL23rocblas_trmm_rTx_kernelILi16ELb1E19rocblas_complex_numIdES1_KS1_S1_Ev13rocblas_fill_17rocblas_diagonal_iiT2_lPT3_llS7_llPT4_lli ; -- Begin function _ZL23rocblas_trmm_rTx_kernelILi16ELb1E19rocblas_complex_numIdES1_KS1_S1_Ev13rocblas_fill_17rocblas_diagonal_iiT2_lPT3_llS7_llPT4_lli
	.p2align	8
	.type	_ZL23rocblas_trmm_rTx_kernelILi16ELb1E19rocblas_complex_numIdES1_KS1_S1_Ev13rocblas_fill_17rocblas_diagonal_iiT2_lPT3_llS7_llPT4_lli,@function
_ZL23rocblas_trmm_rTx_kernelILi16ELb1E19rocblas_complex_numIdES1_KS1_S1_Ev13rocblas_fill_17rocblas_diagonal_iiT2_lPT3_llS7_llPT4_lli: ; @_ZL23rocblas_trmm_rTx_kernelILi16ELb1E19rocblas_complex_numIdES1_KS1_S1_Ev13rocblas_fill_17rocblas_diagonal_iiT2_lPT3_llS7_llPT4_lli
; %bb.0:
	s_load_dwordx4 s[24:27], s[4:5], 0x10
	s_waitcnt lgkmcnt(0)
	v_cmp_neq_f64_e64 s[0:1], s[24:25], 0
	v_cmp_neq_f64_e64 s[2:3], s[26:27], 0
	s_or_b64 s[0:1], s[0:1], s[2:3]
	s_andn2_b64 vcc, exec, s[0:1]
	s_cbranch_vccnz .LBB143_15
; %bb.1:
	s_load_dwordx4 s[28:31], s[4:5], 0x0
	s_load_dwordx16 s[8:23], s[4:5], 0x28
	s_mov_b32 s0, 0
	s_mov_b32 s3, s0
	s_mov_b32 s1, s0
	s_mov_b32 s2, s0
	v_mov_b32_e32 v8, s3
	v_lshlrev_b32_e32 v3, 4, v1
	v_mov_b32_e32 v7, s2
	v_mov_b32_e32 v6, s1
	;; [unrolled: 1-line block ×3, first 2 shown]
	s_waitcnt lgkmcnt(0)
	v_cmp_gt_i32_e32 vcc, s31, v1
	v_cmp_gt_i32_e64 s[0:1], s31, v0
	v_add_lshl_u32 v4, v3, v0, 4
	s_and_b64 s[0:1], vcc, s[0:1]
	v_lshlrev_b32_e32 v2, 4, v0
	ds_write_b128 v4, v[5:8]
	ds_write_b128 v4, v[5:8] offset:4096
	s_and_saveexec_b64 s[2:3], s[0:1]
	s_cbranch_execz .LBB143_3
; %bb.2:
	v_mad_u64_u32 v[5:6], s[0:1], s10, v1, 0
	s_mul_i32 s13, s13, s7
	s_mul_hi_u32 s0, s12, s7
	v_mad_u64_u32 v[6:7], s[10:11], s11, v1, v[6:7]
	s_add_i32 s1, s0, s13
	s_mul_i32 s0, s12, s7
	s_lshl_b64 s[0:1], s[0:1], 4
	s_add_u32 s0, s8, s0
	v_lshlrev_b64 v[5:6], 4, v[5:6]
	s_addc_u32 s1, s9, s1
	v_mov_b32_e32 v7, s1
	v_add_co_u32_e64 v5, s[0:1], s0, v5
	v_addc_co_u32_e64 v6, s[0:1], v7, v6, s[0:1]
	v_add_co_u32_e64 v5, s[0:1], v5, v2
	v_addc_co_u32_e64 v6, s[0:1], 0, v6, s[0:1]
	global_load_dwordx4 v[5:8], v[5:6], off
	s_waitcnt vmcnt(0)
	v_xor_b32_e32 v8, 0x80000000, v8
	ds_write_b128 v4, v[5:8]
.LBB143_3:
	s_or_b64 exec, exec, s[2:3]
	s_add_i32 s0, s30, -1
	s_ashr_i32 s1, s0, 31
	s_lshr_b32 s1, s1, 28
	s_add_i32 s0, s0, s1
	s_ashr_i32 s1, s0, 4
	s_and_b32 s0, s0, -16
	s_sub_i32 s0, s30, s0
	s_cmp_ge_i32 s6, s1
	s_cselect_b32 s0, s0, 16
	s_lshl_b32 s2, s6, 4
	v_cmp_gt_i32_e64 s[0:1], s0, v0
	s_ashr_i32 s3, s2, 31
	s_and_b64 s[0:1], vcc, s[0:1]
	s_and_saveexec_b64 s[8:9], s[0:1]
	s_cbranch_execz .LBB143_5
; %bb.4:
	s_mul_i32 s6, s19, s7
	s_mul_hi_u32 s10, s18, s7
	v_mad_u64_u32 v[5:6], s[12:13], s16, v1, 0
	s_add_i32 s11, s10, s6
	s_mul_i32 s10, s18, s7
	s_lshl_b64 s[10:11], s[10:11], 4
	s_add_u32 s6, s14, s10
	s_addc_u32 s12, s15, s11
	v_mad_u64_u32 v[6:7], s[10:11], s17, v1, v[6:7]
	s_lshl_b64 s[10:11], s[2:3], 4
	s_add_u32 s6, s6, s10
	v_lshlrev_b64 v[5:6], 4, v[5:6]
	s_addc_u32 s10, s12, s11
	v_mov_b32_e32 v7, s10
	v_add_co_u32_e32 v5, vcc, s6, v5
	v_addc_co_u32_e32 v6, vcc, v7, v6, vcc
	v_add_co_u32_e32 v5, vcc, v5, v2
	v_addc_co_u32_e32 v6, vcc, 0, v6, vcc
	global_load_dwordx4 v[5:8], v[5:6], off
	v_add_u32_e32 v9, 0x1000, v4
	s_waitcnt vmcnt(0)
	ds_write2_b64 v9, v[5:6], v[7:8] offset1:1
.LBB143_5:
	s_or_b64 exec, exec, s[8:9]
	s_cmpk_eq_i32 s29, 0x84
	s_cselect_b64 s[8:9], -1, 0
	v_cmp_eq_u32_e32 vcc, v1, v0
	s_and_b64 s[10:11], vcc, s[8:9]
	s_and_saveexec_b64 s[8:9], s[10:11]
; %bb.6:
	v_mov_b32_e32 v5, 0
	v_mov_b32_e32 v6, 0x3ff00000
	;; [unrolled: 1-line block ×4, first 2 shown]
	ds_write_b128 v4, v[5:8]
; %bb.7:
	s_or_b64 exec, exec, s[8:9]
	s_cmpk_lg_i32 s28, 0x79
	s_cbranch_scc0 .LBB143_9
; %bb.8:
	v_cmp_lt_u32_e32 vcc, v0, v1
	s_and_b64 s[8:9], vcc, exec
	s_cbranch_execz .LBB143_10
	s_branch .LBB143_11
.LBB143_9:
	s_mov_b64 s[8:9], 0
.LBB143_10:
	v_cmp_gt_u32_e32 vcc, v0, v1
	s_andn2_b64 s[8:9], s[8:9], exec
	s_and_b64 s[10:11], vcc, exec
	s_or_b64 s[8:9], s[8:9], s[10:11]
.LBB143_11:
	s_and_saveexec_b64 s[10:11], s[8:9]
; %bb.12:
	v_mov_b32_e32 v5, 0
	v_mov_b32_e32 v6, v5
	;; [unrolled: 1-line block ×4, first 2 shown]
	ds_write_b128 v4, v[5:8]
; %bb.13:
	s_or_b64 exec, exec, s[10:11]
	s_waitcnt lgkmcnt(0)
	s_barrier
	s_and_saveexec_b64 s[8:9], s[0:1]
	s_cbranch_execz .LBB143_15
; %bb.14:
	ds_read_b128 v[4:7], v2 offset:4096
	ds_read_b128 v[8:11], v3
	ds_read_b128 v[12:15], v3 offset:256
	ds_read_b128 v[16:19], v2 offset:4352
	;; [unrolled: 1-line block ×3, first 2 shown]
	s_load_dwordx2 s[0:1], s[4:5], 0x68
	s_waitcnt lgkmcnt(0)
	v_mul_f64 v[24:25], v[8:9], v[6:7]
	v_mul_f64 v[6:7], v[10:11], v[6:7]
	;; [unrolled: 1-line block ×4, first 2 shown]
	s_mul_i32 s1, s1, s7
	s_mul_hi_u32 s6, s0, s7
	s_mul_i32 s0, s0, s7
	s_add_i32 s1, s6, s1
	v_fma_f64 v[10:11], v[10:11], v[4:5], v[24:25]
	ds_read_b128 v[24:27], v3 offset:512
	ds_read_b128 v[28:31], v3 offset:768
	;; [unrolled: 1-line block ×3, first 2 shown]
	v_fma_f64 v[40:41], v[8:9], v[4:5], -v[6:7]
	v_fma_f64 v[14:15], v[14:15], v[16:17], v[36:37]
	s_waitcnt lgkmcnt(2)
	v_mul_f64 v[38:39], v[24:25], v[22:23]
	v_mul_f64 v[22:23], v[26:27], v[22:23]
	s_waitcnt lgkmcnt(0)
	v_mul_f64 v[42:43], v[28:29], v[34:35]
	v_fma_f64 v[44:45], v[12:13], v[16:17], -v[18:19]
	v_add_f64 v[36:37], v[10:11], 0
	ds_read_b128 v[4:7], v2 offset:5120
	ds_read_b128 v[8:11], v3 offset:1024
	v_mul_f64 v[34:35], v[30:31], v[34:35]
	s_lshl_b64 s[0:1], s[0:1], 4
	v_fma_f64 v[26:27], v[26:27], v[20:21], v[38:39]
	v_add_f64 v[38:39], v[40:41], 0
	s_waitcnt lgkmcnt(0)
	v_mul_f64 v[40:41], v[8:9], v[6:7]
	v_fma_f64 v[46:47], v[24:25], v[20:21], -v[22:23]
	v_add_f64 v[36:37], v[36:37], v[14:15]
	v_fma_f64 v[30:31], v[30:31], v[32:33], v[42:43]
	ds_read_b128 v[12:15], v3 offset:1280
	ds_read_b128 v[16:19], v2 offset:5376
	v_mul_f64 v[6:7], v[10:11], v[6:7]
	v_add_f64 v[38:39], v[38:39], v[44:45]
	v_fma_f64 v[44:45], v[28:29], v[32:33], -v[34:35]
	s_waitcnt lgkmcnt(0)
	v_mul_f64 v[42:43], v[12:13], v[18:19]
	v_add_f64 v[36:37], v[36:37], v[26:27]
	v_fma_f64 v[10:11], v[10:11], v[4:5], v[40:41]
	ds_read_b128 v[20:23], v2 offset:5632
	ds_read_b128 v[24:27], v3 offset:1536
	v_mul_f64 v[18:19], v[14:15], v[18:19]
	v_add_f64 v[38:39], v[38:39], v[46:47]
	v_fma_f64 v[46:47], v[8:9], v[4:5], -v[6:7]
	s_waitcnt lgkmcnt(0)
	v_mul_f64 v[40:41], v[24:25], v[22:23]
	v_add_f64 v[36:37], v[36:37], v[30:31]
	v_fma_f64 v[14:15], v[14:15], v[16:17], v[42:43]
	ds_read_b128 v[28:31], v3 offset:1792
	ds_read_b128 v[32:35], v2 offset:5888
	v_mul_f64 v[22:23], v[26:27], v[22:23]
	v_add_f64 v[38:39], v[38:39], v[44:45]
	v_fma_f64 v[44:45], v[12:13], v[16:17], -v[18:19]
	s_waitcnt lgkmcnt(0)
	v_mul_f64 v[42:43], v[28:29], v[34:35]
	v_add_f64 v[36:37], v[36:37], v[10:11]
	v_fma_f64 v[26:27], v[26:27], v[20:21], v[40:41]
	ds_read_b128 v[4:7], v2 offset:6144
	ds_read_b128 v[8:11], v3 offset:2048
	v_mul_f64 v[34:35], v[30:31], v[34:35]
	v_add_f64 v[38:39], v[38:39], v[46:47]
	v_fma_f64 v[46:47], v[24:25], v[20:21], -v[22:23]
	s_waitcnt lgkmcnt(0)
	v_mul_f64 v[40:41], v[8:9], v[6:7]
	v_add_f64 v[36:37], v[36:37], v[14:15]
	v_fma_f64 v[30:31], v[30:31], v[32:33], v[42:43]
	ds_read_b128 v[12:15], v3 offset:2304
	ds_read_b128 v[16:19], v2 offset:6400
	v_mul_f64 v[6:7], v[10:11], v[6:7]
	v_add_f64 v[38:39], v[38:39], v[44:45]
	v_fma_f64 v[44:45], v[28:29], v[32:33], -v[34:35]
	s_waitcnt lgkmcnt(0)
	v_mul_f64 v[42:43], v[12:13], v[18:19]
	v_add_f64 v[36:37], v[36:37], v[26:27]
	v_fma_f64 v[10:11], v[10:11], v[4:5], v[40:41]
	ds_read_b128 v[20:23], v2 offset:6656
	ds_read_b128 v[24:27], v3 offset:2560
	v_mul_f64 v[18:19], v[14:15], v[18:19]
	v_add_f64 v[38:39], v[38:39], v[46:47]
	v_fma_f64 v[46:47], v[8:9], v[4:5], -v[6:7]
	s_waitcnt lgkmcnt(0)
	v_mul_f64 v[40:41], v[24:25], v[22:23]
	v_add_f64 v[36:37], v[36:37], v[30:31]
	v_fma_f64 v[14:15], v[14:15], v[16:17], v[42:43]
	ds_read_b128 v[28:31], v3 offset:2816
	ds_read_b128 v[32:35], v2 offset:6912
	v_mul_f64 v[22:23], v[26:27], v[22:23]
	v_add_f64 v[38:39], v[38:39], v[44:45]
	v_fma_f64 v[44:45], v[12:13], v[16:17], -v[18:19]
	s_waitcnt lgkmcnt(0)
	v_mul_f64 v[42:43], v[28:29], v[34:35]
	v_add_f64 v[36:37], v[36:37], v[10:11]
	v_fma_f64 v[26:27], v[26:27], v[20:21], v[40:41]
	ds_read_b128 v[4:7], v2 offset:7168
	ds_read_b128 v[8:11], v3 offset:3072
	v_mul_f64 v[34:35], v[30:31], v[34:35]
	v_add_f64 v[38:39], v[38:39], v[46:47]
	v_fma_f64 v[46:47], v[24:25], v[20:21], -v[22:23]
	s_waitcnt lgkmcnt(0)
	v_mul_f64 v[40:41], v[8:9], v[6:7]
	v_add_f64 v[36:37], v[36:37], v[14:15]
	v_fma_f64 v[30:31], v[30:31], v[32:33], v[42:43]
	ds_read_b128 v[12:15], v3 offset:3328
	ds_read_b128 v[16:19], v2 offset:7424
	v_mul_f64 v[6:7], v[10:11], v[6:7]
	v_add_f64 v[38:39], v[38:39], v[44:45]
	v_fma_f64 v[44:45], v[28:29], v[32:33], -v[34:35]
	s_waitcnt lgkmcnt(0)
	v_mul_f64 v[42:43], v[12:13], v[18:19]
	v_add_f64 v[36:37], v[36:37], v[26:27]
	v_fma_f64 v[10:11], v[10:11], v[4:5], v[40:41]
	ds_read_b128 v[20:23], v3 offset:3584
	ds_read_b128 v[24:27], v2 offset:7680
	v_mul_f64 v[18:19], v[14:15], v[18:19]
	v_add_f64 v[38:39], v[38:39], v[46:47]
	s_waitcnt lgkmcnt(0)
	v_mul_f64 v[40:41], v[20:21], v[26:27]
	v_add_f64 v[36:37], v[36:37], v[30:31]
	ds_read_b128 v[28:31], v3 offset:3840
	ds_read_b128 v[32:35], v2 offset:7936
	v_fma_f64 v[3:4], v[8:9], v[4:5], -v[6:7]
	v_fma_f64 v[5:6], v[14:15], v[16:17], v[42:43]
	v_mul_f64 v[14:15], v[22:23], v[26:27]
	v_add_f64 v[7:8], v[38:39], v[44:45]
	s_waitcnt lgkmcnt(0)
	v_mul_f64 v[26:27], v[28:29], v[34:35]
	v_add_f64 v[9:10], v[36:37], v[10:11]
	v_fma_f64 v[11:12], v[12:13], v[16:17], -v[18:19]
	v_fma_f64 v[16:17], v[22:23], v[24:25], v[40:41]
	v_fma_f64 v[13:14], v[20:21], v[24:25], -v[14:15]
	v_add_f64 v[3:4], v[7:8], v[3:4]
	v_fma_f64 v[18:19], v[30:31], v[32:33], v[26:27]
	v_mad_u64_u32 v[7:8], s[4:5], s22, v1, 0
	v_add_f64 v[5:6], v[9:10], v[5:6]
	v_mul_f64 v[9:10], v[30:31], v[34:35]
	v_mov_b32_e32 v0, v8
	v_mad_u64_u32 v[0:1], s[4:5], s23, v1, v[0:1]
	v_add_f64 v[3:4], v[3:4], v[11:12]
	s_add_u32 s4, s20, s0
	s_addc_u32 s5, s21, s1
	v_add_f64 v[5:6], v[5:6], v[16:17]
	v_fma_f64 v[8:9], v[28:29], v[32:33], -v[9:10]
	s_lshl_b64 s[0:1], s[2:3], 4
	s_add_u32 s0, s4, s0
	s_addc_u32 s1, s5, s1
	v_add_f64 v[3:4], v[3:4], v[13:14]
	v_add_f64 v[5:6], v[5:6], v[18:19]
	;; [unrolled: 1-line block ×3, first 2 shown]
	v_mov_b32_e32 v8, v0
	v_lshlrev_b64 v[0:1], 4, v[7:8]
	v_mul_f64 v[9:10], s[24:25], v[5:6]
	v_mul_f64 v[11:12], s[26:27], v[5:6]
	v_mov_b32_e32 v7, s1
	v_add_co_u32_e32 v0, vcc, s0, v0
	v_addc_co_u32_e32 v1, vcc, v7, v1, vcc
	v_add_co_u32_e32 v0, vcc, v0, v2
	v_fma_f64 v[5:6], s[26:27], v[3:4], v[9:10]
	v_fma_f64 v[3:4], s[24:25], v[3:4], -v[11:12]
	v_addc_co_u32_e32 v1, vcc, 0, v1, vcc
	global_store_dwordx4 v[0:1], v[3:6], off
.LBB143_15:
	s_endpgm
	.section	.rodata,"a",@progbits
	.p2align	6, 0x0
	.amdhsa_kernel _ZL23rocblas_trmm_rTx_kernelILi16ELb1E19rocblas_complex_numIdES1_KS1_S1_Ev13rocblas_fill_17rocblas_diagonal_iiT2_lPT3_llS7_llPT4_lli
		.amdhsa_group_segment_fixed_size 8192
		.amdhsa_private_segment_fixed_size 0
		.amdhsa_kernarg_size 116
		.amdhsa_user_sgpr_count 6
		.amdhsa_user_sgpr_private_segment_buffer 1
		.amdhsa_user_sgpr_dispatch_ptr 0
		.amdhsa_user_sgpr_queue_ptr 0
		.amdhsa_user_sgpr_kernarg_segment_ptr 1
		.amdhsa_user_sgpr_dispatch_id 0
		.amdhsa_user_sgpr_flat_scratch_init 0
		.amdhsa_user_sgpr_private_segment_size 0
		.amdhsa_uses_dynamic_stack 0
		.amdhsa_system_sgpr_private_segment_wavefront_offset 0
		.amdhsa_system_sgpr_workgroup_id_x 1
		.amdhsa_system_sgpr_workgroup_id_y 0
		.amdhsa_system_sgpr_workgroup_id_z 1
		.amdhsa_system_sgpr_workgroup_info 0
		.amdhsa_system_vgpr_workitem_id 1
		.amdhsa_next_free_vgpr 48
		.amdhsa_next_free_sgpr 61
		.amdhsa_reserve_vcc 1
		.amdhsa_reserve_flat_scratch 0
		.amdhsa_float_round_mode_32 0
		.amdhsa_float_round_mode_16_64 0
		.amdhsa_float_denorm_mode_32 3
		.amdhsa_float_denorm_mode_16_64 3
		.amdhsa_dx10_clamp 1
		.amdhsa_ieee_mode 1
		.amdhsa_fp16_overflow 0
		.amdhsa_exception_fp_ieee_invalid_op 0
		.amdhsa_exception_fp_denorm_src 0
		.amdhsa_exception_fp_ieee_div_zero 0
		.amdhsa_exception_fp_ieee_overflow 0
		.amdhsa_exception_fp_ieee_underflow 0
		.amdhsa_exception_fp_ieee_inexact 0
		.amdhsa_exception_int_div_zero 0
	.end_amdhsa_kernel
	.section	.text._ZL23rocblas_trmm_rTx_kernelILi16ELb1E19rocblas_complex_numIdES1_KS1_S1_Ev13rocblas_fill_17rocblas_diagonal_iiT2_lPT3_llS7_llPT4_lli,"axG",@progbits,_ZL23rocblas_trmm_rTx_kernelILi16ELb1E19rocblas_complex_numIdES1_KS1_S1_Ev13rocblas_fill_17rocblas_diagonal_iiT2_lPT3_llS7_llPT4_lli,comdat
.Lfunc_end143:
	.size	_ZL23rocblas_trmm_rTx_kernelILi16ELb1E19rocblas_complex_numIdES1_KS1_S1_Ev13rocblas_fill_17rocblas_diagonal_iiT2_lPT3_llS7_llPT4_lli, .Lfunc_end143-_ZL23rocblas_trmm_rTx_kernelILi16ELb1E19rocblas_complex_numIdES1_KS1_S1_Ev13rocblas_fill_17rocblas_diagonal_iiT2_lPT3_llS7_llPT4_lli
                                        ; -- End function
	.set _ZL23rocblas_trmm_rTx_kernelILi16ELb1E19rocblas_complex_numIdES1_KS1_S1_Ev13rocblas_fill_17rocblas_diagonal_iiT2_lPT3_llS7_llPT4_lli.num_vgpr, 48
	.set _ZL23rocblas_trmm_rTx_kernelILi16ELb1E19rocblas_complex_numIdES1_KS1_S1_Ev13rocblas_fill_17rocblas_diagonal_iiT2_lPT3_llS7_llPT4_lli.num_agpr, 0
	.set _ZL23rocblas_trmm_rTx_kernelILi16ELb1E19rocblas_complex_numIdES1_KS1_S1_Ev13rocblas_fill_17rocblas_diagonal_iiT2_lPT3_llS7_llPT4_lli.numbered_sgpr, 32
	.set _ZL23rocblas_trmm_rTx_kernelILi16ELb1E19rocblas_complex_numIdES1_KS1_S1_Ev13rocblas_fill_17rocblas_diagonal_iiT2_lPT3_llS7_llPT4_lli.num_named_barrier, 0
	.set _ZL23rocblas_trmm_rTx_kernelILi16ELb1E19rocblas_complex_numIdES1_KS1_S1_Ev13rocblas_fill_17rocblas_diagonal_iiT2_lPT3_llS7_llPT4_lli.private_seg_size, 0
	.set _ZL23rocblas_trmm_rTx_kernelILi16ELb1E19rocblas_complex_numIdES1_KS1_S1_Ev13rocblas_fill_17rocblas_diagonal_iiT2_lPT3_llS7_llPT4_lli.uses_vcc, 1
	.set _ZL23rocblas_trmm_rTx_kernelILi16ELb1E19rocblas_complex_numIdES1_KS1_S1_Ev13rocblas_fill_17rocblas_diagonal_iiT2_lPT3_llS7_llPT4_lli.uses_flat_scratch, 0
	.set _ZL23rocblas_trmm_rTx_kernelILi16ELb1E19rocblas_complex_numIdES1_KS1_S1_Ev13rocblas_fill_17rocblas_diagonal_iiT2_lPT3_llS7_llPT4_lli.has_dyn_sized_stack, 0
	.set _ZL23rocblas_trmm_rTx_kernelILi16ELb1E19rocblas_complex_numIdES1_KS1_S1_Ev13rocblas_fill_17rocblas_diagonal_iiT2_lPT3_llS7_llPT4_lli.has_recursion, 0
	.set _ZL23rocblas_trmm_rTx_kernelILi16ELb1E19rocblas_complex_numIdES1_KS1_S1_Ev13rocblas_fill_17rocblas_diagonal_iiT2_lPT3_llS7_llPT4_lli.has_indirect_call, 0
	.section	.AMDGPU.csdata,"",@progbits
; Kernel info:
; codeLenInByte = 1820
; TotalNumSgprs: 36
; NumVgprs: 48
; ScratchSize: 0
; MemoryBound: 0
; FloatMode: 240
; IeeeMode: 1
; LDSByteSize: 8192 bytes/workgroup (compile time only)
; SGPRBlocks: 8
; VGPRBlocks: 11
; NumSGPRsForWavesPerEU: 65
; NumVGPRsForWavesPerEU: 48
; Occupancy: 5
; WaveLimiterHint : 0
; COMPUTE_PGM_RSRC2:SCRATCH_EN: 0
; COMPUTE_PGM_RSRC2:USER_SGPR: 6
; COMPUTE_PGM_RSRC2:TRAP_HANDLER: 0
; COMPUTE_PGM_RSRC2:TGID_X_EN: 1
; COMPUTE_PGM_RSRC2:TGID_Y_EN: 0
; COMPUTE_PGM_RSRC2:TGID_Z_EN: 1
; COMPUTE_PGM_RSRC2:TIDIG_COMP_CNT: 1
	.section	.text._ZL23rocblas_trmm_lNx_kernelILi32EfPKfKS1_KPfEv13rocblas_fill_17rocblas_diagonal_iiT1_lPT2_llS9_llPT3_lli,"axG",@progbits,_ZL23rocblas_trmm_lNx_kernelILi32EfPKfKS1_KPfEv13rocblas_fill_17rocblas_diagonal_iiT1_lPT2_llS9_llPT3_lli,comdat
	.globl	_ZL23rocblas_trmm_lNx_kernelILi32EfPKfKS1_KPfEv13rocblas_fill_17rocblas_diagonal_iiT1_lPT2_llS9_llPT3_lli ; -- Begin function _ZL23rocblas_trmm_lNx_kernelILi32EfPKfKS1_KPfEv13rocblas_fill_17rocblas_diagonal_iiT1_lPT2_llS9_llPT3_lli
	.p2align	8
	.type	_ZL23rocblas_trmm_lNx_kernelILi32EfPKfKS1_KPfEv13rocblas_fill_17rocblas_diagonal_iiT1_lPT2_llS9_llPT3_lli,@function
_ZL23rocblas_trmm_lNx_kernelILi32EfPKfKS1_KPfEv13rocblas_fill_17rocblas_diagonal_iiT1_lPT2_llS9_llPT3_lli: ; @_ZL23rocblas_trmm_lNx_kernelILi32EfPKfKS1_KPfEv13rocblas_fill_17rocblas_diagonal_iiT1_lPT2_llS9_llPT3_lli
; %bb.0:
	s_load_dwordx16 s[8:23], s[4:5], 0x10
	s_waitcnt lgkmcnt(0)
	s_mul_i32 s0, s11, s7
	s_mul_hi_u32 s1, s10, s7
	s_add_i32 s1, s1, s0
	s_mul_i32 s0, s10, s7
	s_lshl_b64 s[0:1], s[0:1], 2
	s_add_u32 s0, s8, s0
	s_addc_u32 s1, s9, s1
	s_load_dword s30, s[0:1], 0x0
	s_waitcnt lgkmcnt(0)
	v_cmp_eq_f32_e64 s[0:1], s30, 0
	s_and_b64 vcc, exec, s[0:1]
	s_cbranch_vccnz .LBB144_15
; %bb.1:
	s_load_dwordx4 s[8:11], s[4:5], 0x0
	s_load_dwordx4 s[0:3], s[4:5], 0x50
	s_mov_b32 s24, s7
	s_mov_b32 s25, 0
	s_lshl_b64 s[28:29], s[24:25], 3
	s_add_u32 s18, s18, s28
	s_addc_u32 s19, s19, s29
	s_waitcnt lgkmcnt(0)
	s_add_u32 s0, s0, s28
	s_addc_u32 s1, s1, s29
	s_load_dwordx2 s[24:25], s[18:19], 0x0
	v_lshlrev_b32_e32 v3, 5, v1
	s_load_dwordx2 s[18:19], s[0:1], 0x0
	v_add_lshl_u32 v4, v3, v0, 2
	v_mov_b32_e32 v2, 0
	v_cmp_gt_i32_e64 s[0:1], s10, v1
	v_cmp_gt_i32_e32 vcc, s10, v0
	ds_write2st64_b32 v4, v2, v2 offset1:16
	s_and_b64 s[0:1], s[0:1], vcc
	v_lshlrev_b32_e32 v2, 2, v0
	s_and_saveexec_b64 s[26:27], s[0:1]
	s_cbranch_execz .LBB144_3
; %bb.2:
	v_mad_u64_u32 v[5:6], s[0:1], s14, v1, 0
	s_add_u32 s0, s12, s28
	s_addc_u32 s1, s13, s29
	s_load_dwordx2 s[0:1], s[0:1], 0x0
	v_mad_u64_u32 v[6:7], s[12:13], s15, v1, v[6:7]
	s_lshl_b64 s[12:13], s[16:17], 2
	s_waitcnt lgkmcnt(0)
	s_add_u32 s0, s0, s12
	v_lshlrev_b64 v[5:6], 2, v[5:6]
	s_addc_u32 s1, s1, s13
	v_mov_b32_e32 v7, s1
	v_add_co_u32_e64 v5, s[0:1], s0, v5
	v_addc_co_u32_e64 v6, s[0:1], v7, v6, s[0:1]
	v_add_co_u32_e64 v5, s[0:1], v5, v2
	v_addc_co_u32_e64 v6, s[0:1], 0, v6, s[0:1]
	flat_load_dword v5, v[5:6]
	s_waitcnt vmcnt(0) lgkmcnt(0)
	ds_write_b32 v4, v5
.LBB144_3:
	s_or_b64 exec, exec, s[26:27]
	s_add_i32 s0, s11, -1
	s_ashr_i32 s1, s0, 31
	s_lshr_b32 s1, s1, 27
	s_add_i32 s0, s0, s1
	s_ashr_i32 s1, s0, 5
	s_andn2_b32 s0, s0, 31
	s_sub_i32 s0, s11, s0
	s_cmp_ge_i32 s6, s1
	s_cselect_b32 s0, s0, 32
	s_lshl_b32 s10, s6, 5
	v_cmp_gt_i32_e64 s[0:1], s0, v1
	s_ashr_i32 s11, s10, 31
	s_and_b64 s[0:1], vcc, s[0:1]
	s_and_saveexec_b64 s[6:7], s[0:1]
	s_cbranch_execz .LBB144_5
; %bb.4:
	s_lshl_b64 s[12:13], s[22:23], 2
	s_waitcnt lgkmcnt(0)
	s_add_u32 s16, s24, s12
	s_addc_u32 s17, s25, s13
	s_mul_i32 s12, s20, s11
	s_mul_hi_u32 s13, s20, s10
	s_add_i32 s14, s13, s12
	v_mad_u64_u32 v[5:6], s[12:13], s20, v1, 0
	s_mul_i32 s12, s21, s10
	s_add_i32 s13, s14, s12
	v_mad_u64_u32 v[6:7], s[14:15], s21, v1, v[6:7]
	s_mul_i32 s12, s20, s10
	s_lshl_b64 s[12:13], s[12:13], 2
	s_add_u32 s12, s16, s12
	v_lshlrev_b64 v[5:6], 2, v[5:6]
	s_addc_u32 s13, s17, s13
	v_mov_b32_e32 v7, s13
	v_add_co_u32_e32 v5, vcc, s12, v5
	v_addc_co_u32_e32 v6, vcc, v7, v6, vcc
	v_add_co_u32_e32 v5, vcc, v5, v2
	v_addc_co_u32_e32 v6, vcc, 0, v6, vcc
	flat_load_dword v5, v[5:6]
	v_add_u32_e32 v6, 0x1000, v4
	s_waitcnt vmcnt(0) lgkmcnt(0)
	ds_write_b32 v6, v5
.LBB144_5:
	s_or_b64 exec, exec, s[6:7]
	s_cmpk_eq_i32 s9, 0x84
	s_cselect_b64 s[6:7], -1, 0
	v_cmp_eq_u32_e32 vcc, v1, v0
	s_and_b64 s[12:13], vcc, s[6:7]
	s_and_saveexec_b64 s[6:7], s[12:13]
; %bb.6:
	v_mov_b32_e32 v5, 1.0
	ds_write_b32 v4, v5
; %bb.7:
	s_or_b64 exec, exec, s[6:7]
	s_cmpk_lg_i32 s8, 0x79
	s_cbranch_scc0 .LBB144_9
; %bb.8:
	v_cmp_lt_u32_e32 vcc, v0, v1
	s_and_b64 s[6:7], vcc, exec
	s_cbranch_execz .LBB144_10
	s_branch .LBB144_11
.LBB144_9:
	s_mov_b64 s[6:7], 0
.LBB144_10:
	v_cmp_gt_u32_e32 vcc, v0, v1
	s_andn2_b64 s[6:7], s[6:7], exec
	s_and_b64 s[8:9], vcc, exec
	s_or_b64 s[6:7], s[6:7], s[8:9]
.LBB144_11:
	s_and_saveexec_b64 s[8:9], s[6:7]
; %bb.12:
	v_mov_b32_e32 v0, 0
	ds_write_b32 v4, v0
; %bb.13:
	s_or_b64 exec, exec, s[8:9]
	s_waitcnt lgkmcnt(0)
	s_barrier
	s_and_saveexec_b64 s[6:7], s[0:1]
	s_cbranch_execz .LBB144_15
; %bb.14:
	ds_read2_b32 v[19:20], v2 offset1:32
	v_lshlrev_b32_e32 v0, 2, v3
	ds_read_b128 v[3:6], v0 offset:4096
	ds_read_b128 v[7:10], v0 offset:4112
	ds_read2_b32 v[21:22], v2 offset0:64 offset1:96
	ds_read_b128 v[11:14], v0 offset:4128
	ds_read_b128 v[15:18], v0 offset:4144
	ds_read2_b32 v[23:24], v2 offset0:128 offset1:160
	s_load_dwordx2 s[0:1], s[4:5], 0x60
	s_waitcnt lgkmcnt(0)
	v_fma_f32 v19, v19, v3, 0
	v_fmac_f32_e32 v19, v20, v4
	ds_read2_b32 v[3:4], v2 offset0:192 offset1:224
	v_fmac_f32_e32 v19, v21, v5
	v_fmac_f32_e32 v19, v22, v6
	;; [unrolled: 1-line block ×3, first 2 shown]
	v_add_u32_e32 v20, 0x400, v2
	ds_read2_b32 v[5:6], v20 offset1:32
	v_fmac_f32_e32 v19, v24, v8
	s_waitcnt lgkmcnt(1)
	v_fmac_f32_e32 v19, v3, v9
	v_fmac_f32_e32 v19, v4, v10
	ds_read2_b32 v[3:4], v20 offset0:64 offset1:96
	ds_read2_b32 v[7:8], v20 offset0:128 offset1:160
	s_waitcnt lgkmcnt(2)
	v_fmac_f32_e32 v19, v5, v11
	v_fmac_f32_e32 v19, v6, v12
	ds_read2_b32 v[9:10], v20 offset0:192 offset1:224
	s_waitcnt lgkmcnt(2)
	v_fmac_f32_e32 v19, v3, v13
	v_fmac_f32_e32 v19, v4, v14
	s_waitcnt lgkmcnt(1)
	v_fmac_f32_e32 v19, v7, v15
	v_fmac_f32_e32 v19, v8, v16
	s_waitcnt lgkmcnt(0)
	v_fmac_f32_e32 v19, v9, v17
	v_add_u32_e32 v17, 0x800, v2
	ds_read2_b32 v[11:12], v17 offset1:32
	ds_read_b128 v[3:6], v0 offset:4160
	v_fmac_f32_e32 v19, v10, v18
	ds_read2_b32 v[13:14], v17 offset0:64 offset1:96
	ds_read2_b32 v[15:16], v17 offset0:128 offset1:160
	ds_read_b128 v[7:10], v0 offset:4176
	s_lshl_b64 s[0:1], s[0:1], 2
	s_mul_i32 s4, s2, s11
	s_waitcnt lgkmcnt(3)
	v_fmac_f32_e32 v19, v11, v3
	v_fmac_f32_e32 v19, v12, v4
	s_waitcnt lgkmcnt(2)
	v_fmac_f32_e32 v19, v13, v5
	ds_read2_b32 v[11:12], v17 offset0:192 offset1:224
	v_fmac_f32_e32 v19, v14, v6
	s_waitcnt lgkmcnt(1)
	v_fmac_f32_e32 v19, v15, v7
	v_add_u32_e32 v15, 0xc00, v2
	ds_read2_b32 v[13:14], v15 offset1:32
	ds_read_b128 v[3:6], v0 offset:4192
	v_fmac_f32_e32 v19, v16, v8
	s_waitcnt lgkmcnt(2)
	v_fmac_f32_e32 v19, v11, v9
	s_mul_hi_u32 s5, s2, s10
	s_add_u32 s7, s18, s0
	v_fmac_f32_e32 v19, v12, v10
	ds_read2_b32 v[11:12], v15 offset0:64 offset1:96
	ds_read_b128 v[7:10], v0 offset:4208
	s_mul_i32 s6, s3, s10
	s_addc_u32 s8, s19, s1
	s_add_i32 s0, s5, s4
	s_add_i32 s1, s0, s6
	s_mul_i32 s0, s2, s10
	s_waitcnt lgkmcnt(2)
	v_fmac_f32_e32 v19, v13, v3
	s_lshl_b64 s[0:1], s[0:1], 2
	v_fmac_f32_e32 v19, v14, v4
	s_add_u32 s4, s7, s0
	s_waitcnt lgkmcnt(1)
	v_fmac_f32_e32 v19, v11, v5
	s_addc_u32 s5, s8, s1
	v_fmac_f32_e32 v19, v12, v6
	v_mad_u64_u32 v[5:6], s[0:1], s2, v1, 0
	ds_read2_b32 v[3:4], v15 offset0:128 offset1:160
	ds_read2_b32 v[11:12], v15 offset0:192 offset1:224
	v_mov_b32_e32 v0, v6
	v_mad_u64_u32 v[0:1], s[0:1], s3, v1, v[0:1]
	s_waitcnt lgkmcnt(1)
	v_fmac_f32_e32 v19, v3, v7
	v_fmac_f32_e32 v19, v4, v8
	v_mov_b32_e32 v6, v0
	v_lshlrev_b64 v[0:1], 2, v[5:6]
	v_mov_b32_e32 v4, s5
	v_add_co_u32_e32 v0, vcc, s4, v0
	s_waitcnt lgkmcnt(0)
	v_fmac_f32_e32 v19, v11, v9
	v_addc_co_u32_e32 v1, vcc, v4, v1, vcc
	v_fmac_f32_e32 v19, v12, v10
	v_add_co_u32_e32 v0, vcc, v0, v2
	v_mul_f32_e32 v3, s30, v19
	v_addc_co_u32_e32 v1, vcc, 0, v1, vcc
	flat_store_dword v[0:1], v3
.LBB144_15:
	s_endpgm
	.section	.rodata,"a",@progbits
	.p2align	6, 0x0
	.amdhsa_kernel _ZL23rocblas_trmm_lNx_kernelILi32EfPKfKS1_KPfEv13rocblas_fill_17rocblas_diagonal_iiT1_lPT2_llS9_llPT3_lli
		.amdhsa_group_segment_fixed_size 8192
		.amdhsa_private_segment_fixed_size 0
		.amdhsa_kernarg_size 108
		.amdhsa_user_sgpr_count 6
		.amdhsa_user_sgpr_private_segment_buffer 1
		.amdhsa_user_sgpr_dispatch_ptr 0
		.amdhsa_user_sgpr_queue_ptr 0
		.amdhsa_user_sgpr_kernarg_segment_ptr 1
		.amdhsa_user_sgpr_dispatch_id 0
		.amdhsa_user_sgpr_flat_scratch_init 0
		.amdhsa_user_sgpr_private_segment_size 0
		.amdhsa_uses_dynamic_stack 0
		.amdhsa_system_sgpr_private_segment_wavefront_offset 0
		.amdhsa_system_sgpr_workgroup_id_x 1
		.amdhsa_system_sgpr_workgroup_id_y 0
		.amdhsa_system_sgpr_workgroup_id_z 1
		.amdhsa_system_sgpr_workgroup_info 0
		.amdhsa_system_vgpr_workitem_id 1
		.amdhsa_next_free_vgpr 29
		.amdhsa_next_free_sgpr 61
		.amdhsa_reserve_vcc 1
		.amdhsa_reserve_flat_scratch 0
		.amdhsa_float_round_mode_32 0
		.amdhsa_float_round_mode_16_64 0
		.amdhsa_float_denorm_mode_32 3
		.amdhsa_float_denorm_mode_16_64 3
		.amdhsa_dx10_clamp 1
		.amdhsa_ieee_mode 1
		.amdhsa_fp16_overflow 0
		.amdhsa_exception_fp_ieee_invalid_op 0
		.amdhsa_exception_fp_denorm_src 0
		.amdhsa_exception_fp_ieee_div_zero 0
		.amdhsa_exception_fp_ieee_overflow 0
		.amdhsa_exception_fp_ieee_underflow 0
		.amdhsa_exception_fp_ieee_inexact 0
		.amdhsa_exception_int_div_zero 0
	.end_amdhsa_kernel
	.section	.text._ZL23rocblas_trmm_lNx_kernelILi32EfPKfKS1_KPfEv13rocblas_fill_17rocblas_diagonal_iiT1_lPT2_llS9_llPT3_lli,"axG",@progbits,_ZL23rocblas_trmm_lNx_kernelILi32EfPKfKS1_KPfEv13rocblas_fill_17rocblas_diagonal_iiT1_lPT2_llS9_llPT3_lli,comdat
.Lfunc_end144:
	.size	_ZL23rocblas_trmm_lNx_kernelILi32EfPKfKS1_KPfEv13rocblas_fill_17rocblas_diagonal_iiT1_lPT2_llS9_llPT3_lli, .Lfunc_end144-_ZL23rocblas_trmm_lNx_kernelILi32EfPKfKS1_KPfEv13rocblas_fill_17rocblas_diagonal_iiT1_lPT2_llS9_llPT3_lli
                                        ; -- End function
	.set _ZL23rocblas_trmm_lNx_kernelILi32EfPKfKS1_KPfEv13rocblas_fill_17rocblas_diagonal_iiT1_lPT2_llS9_llPT3_lli.num_vgpr, 25
	.set _ZL23rocblas_trmm_lNx_kernelILi32EfPKfKS1_KPfEv13rocblas_fill_17rocblas_diagonal_iiT1_lPT2_llS9_llPT3_lli.num_agpr, 0
	.set _ZL23rocblas_trmm_lNx_kernelILi32EfPKfKS1_KPfEv13rocblas_fill_17rocblas_diagonal_iiT1_lPT2_llS9_llPT3_lli.numbered_sgpr, 31
	.set _ZL23rocblas_trmm_lNx_kernelILi32EfPKfKS1_KPfEv13rocblas_fill_17rocblas_diagonal_iiT1_lPT2_llS9_llPT3_lli.num_named_barrier, 0
	.set _ZL23rocblas_trmm_lNx_kernelILi32EfPKfKS1_KPfEv13rocblas_fill_17rocblas_diagonal_iiT1_lPT2_llS9_llPT3_lli.private_seg_size, 0
	.set _ZL23rocblas_trmm_lNx_kernelILi32EfPKfKS1_KPfEv13rocblas_fill_17rocblas_diagonal_iiT1_lPT2_llS9_llPT3_lli.uses_vcc, 1
	.set _ZL23rocblas_trmm_lNx_kernelILi32EfPKfKS1_KPfEv13rocblas_fill_17rocblas_diagonal_iiT1_lPT2_llS9_llPT3_lli.uses_flat_scratch, 0
	.set _ZL23rocblas_trmm_lNx_kernelILi32EfPKfKS1_KPfEv13rocblas_fill_17rocblas_diagonal_iiT1_lPT2_llS9_llPT3_lli.has_dyn_sized_stack, 0
	.set _ZL23rocblas_trmm_lNx_kernelILi32EfPKfKS1_KPfEv13rocblas_fill_17rocblas_diagonal_iiT1_lPT2_llS9_llPT3_lli.has_recursion, 0
	.set _ZL23rocblas_trmm_lNx_kernelILi32EfPKfKS1_KPfEv13rocblas_fill_17rocblas_diagonal_iiT1_lPT2_llS9_llPT3_lli.has_indirect_call, 0
	.section	.AMDGPU.csdata,"",@progbits
; Kernel info:
; codeLenInByte = 1140
; TotalNumSgprs: 35
; NumVgprs: 25
; ScratchSize: 0
; MemoryBound: 0
; FloatMode: 240
; IeeeMode: 1
; LDSByteSize: 8192 bytes/workgroup (compile time only)
; SGPRBlocks: 8
; VGPRBlocks: 7
; NumSGPRsForWavesPerEU: 65
; NumVGPRsForWavesPerEU: 29
; Occupancy: 8
; WaveLimiterHint : 1
; COMPUTE_PGM_RSRC2:SCRATCH_EN: 0
; COMPUTE_PGM_RSRC2:USER_SGPR: 6
; COMPUTE_PGM_RSRC2:TRAP_HANDLER: 0
; COMPUTE_PGM_RSRC2:TGID_X_EN: 1
; COMPUTE_PGM_RSRC2:TGID_Y_EN: 0
; COMPUTE_PGM_RSRC2:TGID_Z_EN: 1
; COMPUTE_PGM_RSRC2:TIDIG_COMP_CNT: 1
	.section	.text._ZL23rocblas_trmm_lNx_kernelILi32EffKPKfKPfEv13rocblas_fill_17rocblas_diagonal_iiT1_lPT2_llS9_llPT3_lli,"axG",@progbits,_ZL23rocblas_trmm_lNx_kernelILi32EffKPKfKPfEv13rocblas_fill_17rocblas_diagonal_iiT1_lPT2_llS9_llPT3_lli,comdat
	.globl	_ZL23rocblas_trmm_lNx_kernelILi32EffKPKfKPfEv13rocblas_fill_17rocblas_diagonal_iiT1_lPT2_llS9_llPT3_lli ; -- Begin function _ZL23rocblas_trmm_lNx_kernelILi32EffKPKfKPfEv13rocblas_fill_17rocblas_diagonal_iiT1_lPT2_llS9_llPT3_lli
	.p2align	8
	.type	_ZL23rocblas_trmm_lNx_kernelILi32EffKPKfKPfEv13rocblas_fill_17rocblas_diagonal_iiT1_lPT2_llS9_llPT3_lli,@function
_ZL23rocblas_trmm_lNx_kernelILi32EffKPKfKPfEv13rocblas_fill_17rocblas_diagonal_iiT1_lPT2_llS9_llPT3_lli: ; @_ZL23rocblas_trmm_lNx_kernelILi32EffKPKfKPfEv13rocblas_fill_17rocblas_diagonal_iiT1_lPT2_llS9_llPT3_lli
; %bb.0:
	s_load_dword s30, s[4:5], 0x10
	s_mov_b32 s1, 0
	s_waitcnt lgkmcnt(0)
	v_cmp_eq_f32_e64 s[2:3], s30, 0
	s_and_b64 vcc, exec, s[2:3]
	s_cbranch_vccnz .LBB145_15
; %bb.1:
	s_load_dwordx16 s[8:23], s[4:5], 0x20
	s_load_dwordx4 s[24:27], s[4:5], 0x0
	s_mov_b32 s0, s7
	s_lshl_b64 s[28:29], s[0:1], 3
	v_lshlrev_b32_e32 v3, 5, v1
	s_waitcnt lgkmcnt(0)
	s_add_u32 s0, s14, s28
	s_addc_u32 s1, s15, s29
	s_load_dwordx2 s[14:15], s[0:1], 0x0
	s_add_u32 s0, s20, s28
	s_addc_u32 s1, s21, s29
	s_load_dwordx2 s[2:3], s[0:1], 0x0
	v_add_lshl_u32 v4, v3, v0, 2
	v_mov_b32_e32 v2, 0
	v_cmp_gt_i32_e64 s[0:1], s26, v1
	v_cmp_gt_i32_e32 vcc, s26, v0
	ds_write2st64_b32 v4, v2, v2 offset1:16
	s_and_b64 s[0:1], s[0:1], vcc
	v_lshlrev_b32_e32 v2, 2, v0
	s_and_saveexec_b64 s[20:21], s[0:1]
	s_cbranch_execz .LBB145_3
; %bb.2:
	v_mad_u64_u32 v[5:6], s[0:1], s10, v1, 0
	s_add_u32 s0, s8, s28
	s_addc_u32 s1, s9, s29
	s_load_dwordx2 s[0:1], s[0:1], 0x0
	v_mad_u64_u32 v[6:7], s[8:9], s11, v1, v[6:7]
	s_lshl_b64 s[8:9], s[12:13], 2
	s_waitcnt lgkmcnt(0)
	s_add_u32 s0, s0, s8
	v_lshlrev_b64 v[5:6], 2, v[5:6]
	s_addc_u32 s1, s1, s9
	v_mov_b32_e32 v7, s1
	v_add_co_u32_e64 v5, s[0:1], s0, v5
	v_addc_co_u32_e64 v6, s[0:1], v7, v6, s[0:1]
	v_add_co_u32_e64 v5, s[0:1], v5, v2
	v_addc_co_u32_e64 v6, s[0:1], 0, v6, s[0:1]
	flat_load_dword v5, v[5:6]
	s_waitcnt vmcnt(0) lgkmcnt(0)
	ds_write_b32 v4, v5
.LBB145_3:
	s_or_b64 exec, exec, s[20:21]
	s_add_i32 s0, s27, -1
	s_ashr_i32 s1, s0, 31
	s_lshr_b32 s1, s1, 27
	s_add_i32 s0, s0, s1
	s_ashr_i32 s1, s0, 5
	s_andn2_b32 s0, s0, 31
	s_sub_i32 s0, s27, s0
	s_cmp_ge_i32 s6, s1
	s_cselect_b32 s0, s0, 32
	s_lshl_b32 s10, s6, 5
	v_cmp_gt_i32_e64 s[0:1], s0, v1
	s_ashr_i32 s11, s10, 31
	s_and_b64 s[0:1], vcc, s[0:1]
	s_and_saveexec_b64 s[6:7], s[0:1]
	s_cbranch_execz .LBB145_5
; %bb.4:
	s_lshl_b64 s[8:9], s[18:19], 2
	s_waitcnt lgkmcnt(0)
	s_add_u32 s14, s14, s8
	s_addc_u32 s15, s15, s9
	s_mul_i32 s8, s16, s11
	s_mul_hi_u32 s9, s16, s10
	s_add_i32 s12, s9, s8
	v_mad_u64_u32 v[5:6], s[8:9], s16, v1, 0
	s_mul_i32 s8, s17, s10
	s_add_i32 s9, s12, s8
	v_mad_u64_u32 v[6:7], s[12:13], s17, v1, v[6:7]
	s_mul_i32 s8, s16, s10
	s_lshl_b64 s[8:9], s[8:9], 2
	s_add_u32 s8, s14, s8
	v_lshlrev_b64 v[5:6], 2, v[5:6]
	s_addc_u32 s9, s15, s9
	v_mov_b32_e32 v7, s9
	v_add_co_u32_e32 v5, vcc, s8, v5
	v_addc_co_u32_e32 v6, vcc, v7, v6, vcc
	v_add_co_u32_e32 v5, vcc, v5, v2
	v_addc_co_u32_e32 v6, vcc, 0, v6, vcc
	flat_load_dword v5, v[5:6]
	v_add_u32_e32 v6, 0x1000, v4
	s_waitcnt vmcnt(0) lgkmcnt(0)
	ds_write_b32 v6, v5
.LBB145_5:
	s_or_b64 exec, exec, s[6:7]
	s_cmpk_eq_i32 s25, 0x84
	s_cselect_b64 s[6:7], -1, 0
	v_cmp_eq_u32_e32 vcc, v1, v0
	s_and_b64 s[8:9], vcc, s[6:7]
	s_and_saveexec_b64 s[6:7], s[8:9]
; %bb.6:
	v_mov_b32_e32 v5, 1.0
	ds_write_b32 v4, v5
; %bb.7:
	s_or_b64 exec, exec, s[6:7]
	s_cmpk_lg_i32 s24, 0x79
	s_cbranch_scc0 .LBB145_9
; %bb.8:
	v_cmp_lt_u32_e32 vcc, v0, v1
	s_and_b64 s[6:7], vcc, exec
	s_cbranch_execz .LBB145_10
	s_branch .LBB145_11
.LBB145_9:
	s_mov_b64 s[6:7], 0
.LBB145_10:
	v_cmp_gt_u32_e32 vcc, v0, v1
	s_andn2_b64 s[6:7], s[6:7], exec
	s_and_b64 s[8:9], vcc, exec
	s_or_b64 s[6:7], s[6:7], s[8:9]
.LBB145_11:
	s_and_saveexec_b64 s[8:9], s[6:7]
; %bb.12:
	v_mov_b32_e32 v0, 0
	ds_write_b32 v4, v0
; %bb.13:
	s_or_b64 exec, exec, s[8:9]
	s_waitcnt lgkmcnt(0)
	s_barrier
	s_and_saveexec_b64 s[6:7], s[0:1]
	s_cbranch_execz .LBB145_15
; %bb.14:
	ds_read2_b32 v[19:20], v2 offset1:32
	v_lshlrev_b32_e32 v0, 2, v3
	ds_read_b128 v[3:6], v0 offset:4096
	ds_read_b128 v[7:10], v0 offset:4112
	ds_read2_b32 v[21:22], v2 offset0:64 offset1:96
	ds_read_b128 v[11:14], v0 offset:4128
	ds_read_b128 v[15:18], v0 offset:4144
	ds_read2_b32 v[23:24], v2 offset0:128 offset1:160
	s_load_dwordx2 s[0:1], s[4:5], 0x60
	s_waitcnt lgkmcnt(0)
	v_fma_f32 v19, v19, v3, 0
	v_fmac_f32_e32 v19, v20, v4
	ds_read2_b32 v[3:4], v2 offset0:192 offset1:224
	v_fmac_f32_e32 v19, v21, v5
	v_fmac_f32_e32 v19, v22, v6
	;; [unrolled: 1-line block ×3, first 2 shown]
	v_add_u32_e32 v20, 0x400, v2
	ds_read2_b32 v[5:6], v20 offset1:32
	v_fmac_f32_e32 v19, v24, v8
	s_waitcnt lgkmcnt(1)
	v_fmac_f32_e32 v19, v3, v9
	v_fmac_f32_e32 v19, v4, v10
	ds_read2_b32 v[3:4], v20 offset0:64 offset1:96
	ds_read2_b32 v[7:8], v20 offset0:128 offset1:160
	s_waitcnt lgkmcnt(2)
	v_fmac_f32_e32 v19, v5, v11
	v_fmac_f32_e32 v19, v6, v12
	ds_read2_b32 v[9:10], v20 offset0:192 offset1:224
	s_waitcnt lgkmcnt(2)
	v_fmac_f32_e32 v19, v3, v13
	v_fmac_f32_e32 v19, v4, v14
	s_waitcnt lgkmcnt(1)
	v_fmac_f32_e32 v19, v7, v15
	v_fmac_f32_e32 v19, v8, v16
	s_waitcnt lgkmcnt(0)
	v_fmac_f32_e32 v19, v9, v17
	v_add_u32_e32 v17, 0x800, v2
	ds_read2_b32 v[11:12], v17 offset1:32
	ds_read_b128 v[3:6], v0 offset:4160
	v_fmac_f32_e32 v19, v10, v18
	ds_read2_b32 v[13:14], v17 offset0:64 offset1:96
	ds_read2_b32 v[15:16], v17 offset0:128 offset1:160
	ds_read_b128 v[7:10], v0 offset:4176
	s_lshl_b64 s[0:1], s[0:1], 2
	s_mul_i32 s4, s22, s11
	s_waitcnt lgkmcnt(3)
	v_fmac_f32_e32 v19, v11, v3
	v_fmac_f32_e32 v19, v12, v4
	s_waitcnt lgkmcnt(2)
	v_fmac_f32_e32 v19, v13, v5
	ds_read2_b32 v[11:12], v17 offset0:192 offset1:224
	v_fmac_f32_e32 v19, v14, v6
	s_waitcnt lgkmcnt(1)
	v_fmac_f32_e32 v19, v15, v7
	v_add_u32_e32 v15, 0xc00, v2
	ds_read2_b32 v[13:14], v15 offset1:32
	ds_read_b128 v[3:6], v0 offset:4192
	v_fmac_f32_e32 v19, v16, v8
	s_waitcnt lgkmcnt(2)
	v_fmac_f32_e32 v19, v11, v9
	s_mul_hi_u32 s5, s22, s10
	s_add_u32 s2, s2, s0
	v_fmac_f32_e32 v19, v12, v10
	ds_read2_b32 v[11:12], v15 offset0:64 offset1:96
	ds_read_b128 v[7:10], v0 offset:4208
	s_mul_i32 s6, s23, s10
	s_addc_u32 s3, s3, s1
	s_add_i32 s0, s5, s4
	s_add_i32 s1, s0, s6
	s_mul_i32 s0, s22, s10
	s_waitcnt lgkmcnt(2)
	v_fmac_f32_e32 v19, v13, v3
	s_lshl_b64 s[0:1], s[0:1], 2
	v_fmac_f32_e32 v19, v14, v4
	s_add_u32 s2, s2, s0
	s_waitcnt lgkmcnt(1)
	v_fmac_f32_e32 v19, v11, v5
	s_addc_u32 s3, s3, s1
	v_fmac_f32_e32 v19, v12, v6
	v_mad_u64_u32 v[5:6], s[0:1], s22, v1, 0
	ds_read2_b32 v[3:4], v15 offset0:128 offset1:160
	ds_read2_b32 v[11:12], v15 offset0:192 offset1:224
	v_mov_b32_e32 v0, v6
	v_mad_u64_u32 v[0:1], s[0:1], s23, v1, v[0:1]
	s_waitcnt lgkmcnt(1)
	v_fmac_f32_e32 v19, v3, v7
	v_fmac_f32_e32 v19, v4, v8
	v_mov_b32_e32 v6, v0
	v_lshlrev_b64 v[0:1], 2, v[5:6]
	v_mov_b32_e32 v4, s3
	v_add_co_u32_e32 v0, vcc, s2, v0
	s_waitcnt lgkmcnt(0)
	v_fmac_f32_e32 v19, v11, v9
	v_addc_co_u32_e32 v1, vcc, v4, v1, vcc
	v_fmac_f32_e32 v19, v12, v10
	v_add_co_u32_e32 v0, vcc, v0, v2
	v_mul_f32_e32 v3, s30, v19
	v_addc_co_u32_e32 v1, vcc, 0, v1, vcc
	flat_store_dword v[0:1], v3
.LBB145_15:
	s_endpgm
	.section	.rodata,"a",@progbits
	.p2align	6, 0x0
	.amdhsa_kernel _ZL23rocblas_trmm_lNx_kernelILi32EffKPKfKPfEv13rocblas_fill_17rocblas_diagonal_iiT1_lPT2_llS9_llPT3_lli
		.amdhsa_group_segment_fixed_size 8192
		.amdhsa_private_segment_fixed_size 0
		.amdhsa_kernarg_size 108
		.amdhsa_user_sgpr_count 6
		.amdhsa_user_sgpr_private_segment_buffer 1
		.amdhsa_user_sgpr_dispatch_ptr 0
		.amdhsa_user_sgpr_queue_ptr 0
		.amdhsa_user_sgpr_kernarg_segment_ptr 1
		.amdhsa_user_sgpr_dispatch_id 0
		.amdhsa_user_sgpr_flat_scratch_init 0
		.amdhsa_user_sgpr_private_segment_size 0
		.amdhsa_uses_dynamic_stack 0
		.amdhsa_system_sgpr_private_segment_wavefront_offset 0
		.amdhsa_system_sgpr_workgroup_id_x 1
		.amdhsa_system_sgpr_workgroup_id_y 0
		.amdhsa_system_sgpr_workgroup_id_z 1
		.amdhsa_system_sgpr_workgroup_info 0
		.amdhsa_system_vgpr_workitem_id 1
		.amdhsa_next_free_vgpr 29
		.amdhsa_next_free_sgpr 61
		.amdhsa_reserve_vcc 1
		.amdhsa_reserve_flat_scratch 0
		.amdhsa_float_round_mode_32 0
		.amdhsa_float_round_mode_16_64 0
		.amdhsa_float_denorm_mode_32 3
		.amdhsa_float_denorm_mode_16_64 3
		.amdhsa_dx10_clamp 1
		.amdhsa_ieee_mode 1
		.amdhsa_fp16_overflow 0
		.amdhsa_exception_fp_ieee_invalid_op 0
		.amdhsa_exception_fp_denorm_src 0
		.amdhsa_exception_fp_ieee_div_zero 0
		.amdhsa_exception_fp_ieee_overflow 0
		.amdhsa_exception_fp_ieee_underflow 0
		.amdhsa_exception_fp_ieee_inexact 0
		.amdhsa_exception_int_div_zero 0
	.end_amdhsa_kernel
	.section	.text._ZL23rocblas_trmm_lNx_kernelILi32EffKPKfKPfEv13rocblas_fill_17rocblas_diagonal_iiT1_lPT2_llS9_llPT3_lli,"axG",@progbits,_ZL23rocblas_trmm_lNx_kernelILi32EffKPKfKPfEv13rocblas_fill_17rocblas_diagonal_iiT1_lPT2_llS9_llPT3_lli,comdat
.Lfunc_end145:
	.size	_ZL23rocblas_trmm_lNx_kernelILi32EffKPKfKPfEv13rocblas_fill_17rocblas_diagonal_iiT1_lPT2_llS9_llPT3_lli, .Lfunc_end145-_ZL23rocblas_trmm_lNx_kernelILi32EffKPKfKPfEv13rocblas_fill_17rocblas_diagonal_iiT1_lPT2_llS9_llPT3_lli
                                        ; -- End function
	.set _ZL23rocblas_trmm_lNx_kernelILi32EffKPKfKPfEv13rocblas_fill_17rocblas_diagonal_iiT1_lPT2_llS9_llPT3_lli.num_vgpr, 25
	.set _ZL23rocblas_trmm_lNx_kernelILi32EffKPKfKPfEv13rocblas_fill_17rocblas_diagonal_iiT1_lPT2_llS9_llPT3_lli.num_agpr, 0
	.set _ZL23rocblas_trmm_lNx_kernelILi32EffKPKfKPfEv13rocblas_fill_17rocblas_diagonal_iiT1_lPT2_llS9_llPT3_lli.numbered_sgpr, 31
	.set _ZL23rocblas_trmm_lNx_kernelILi32EffKPKfKPfEv13rocblas_fill_17rocblas_diagonal_iiT1_lPT2_llS9_llPT3_lli.num_named_barrier, 0
	.set _ZL23rocblas_trmm_lNx_kernelILi32EffKPKfKPfEv13rocblas_fill_17rocblas_diagonal_iiT1_lPT2_llS9_llPT3_lli.private_seg_size, 0
	.set _ZL23rocblas_trmm_lNx_kernelILi32EffKPKfKPfEv13rocblas_fill_17rocblas_diagonal_iiT1_lPT2_llS9_llPT3_lli.uses_vcc, 1
	.set _ZL23rocblas_trmm_lNx_kernelILi32EffKPKfKPfEv13rocblas_fill_17rocblas_diagonal_iiT1_lPT2_llS9_llPT3_lli.uses_flat_scratch, 0
	.set _ZL23rocblas_trmm_lNx_kernelILi32EffKPKfKPfEv13rocblas_fill_17rocblas_diagonal_iiT1_lPT2_llS9_llPT3_lli.has_dyn_sized_stack, 0
	.set _ZL23rocblas_trmm_lNx_kernelILi32EffKPKfKPfEv13rocblas_fill_17rocblas_diagonal_iiT1_lPT2_llS9_llPT3_lli.has_recursion, 0
	.set _ZL23rocblas_trmm_lNx_kernelILi32EffKPKfKPfEv13rocblas_fill_17rocblas_diagonal_iiT1_lPT2_llS9_llPT3_lli.has_indirect_call, 0
	.section	.AMDGPU.csdata,"",@progbits
; Kernel info:
; codeLenInByte = 1100
; TotalNumSgprs: 35
; NumVgprs: 25
; ScratchSize: 0
; MemoryBound: 0
; FloatMode: 240
; IeeeMode: 1
; LDSByteSize: 8192 bytes/workgroup (compile time only)
; SGPRBlocks: 8
; VGPRBlocks: 7
; NumSGPRsForWavesPerEU: 65
; NumVGPRsForWavesPerEU: 29
; Occupancy: 8
; WaveLimiterHint : 1
; COMPUTE_PGM_RSRC2:SCRATCH_EN: 0
; COMPUTE_PGM_RSRC2:USER_SGPR: 6
; COMPUTE_PGM_RSRC2:TRAP_HANDLER: 0
; COMPUTE_PGM_RSRC2:TGID_X_EN: 1
; COMPUTE_PGM_RSRC2:TGID_Y_EN: 0
; COMPUTE_PGM_RSRC2:TGID_Z_EN: 1
; COMPUTE_PGM_RSRC2:TIDIG_COMP_CNT: 1
	.section	.text._ZL23rocblas_trmm_lTx_kernelILi32ELb0EfPKfKS1_KPfEv13rocblas_fill_17rocblas_diagonal_iiT2_lPT3_llS9_llPT4_lli,"axG",@progbits,_ZL23rocblas_trmm_lTx_kernelILi32ELb0EfPKfKS1_KPfEv13rocblas_fill_17rocblas_diagonal_iiT2_lPT3_llS9_llPT4_lli,comdat
	.globl	_ZL23rocblas_trmm_lTx_kernelILi32ELb0EfPKfKS1_KPfEv13rocblas_fill_17rocblas_diagonal_iiT2_lPT3_llS9_llPT4_lli ; -- Begin function _ZL23rocblas_trmm_lTx_kernelILi32ELb0EfPKfKS1_KPfEv13rocblas_fill_17rocblas_diagonal_iiT2_lPT3_llS9_llPT4_lli
	.p2align	8
	.type	_ZL23rocblas_trmm_lTx_kernelILi32ELb0EfPKfKS1_KPfEv13rocblas_fill_17rocblas_diagonal_iiT2_lPT3_llS9_llPT4_lli,@function
_ZL23rocblas_trmm_lTx_kernelILi32ELb0EfPKfKS1_KPfEv13rocblas_fill_17rocblas_diagonal_iiT2_lPT3_llS9_llPT4_lli: ; @_ZL23rocblas_trmm_lTx_kernelILi32ELb0EfPKfKS1_KPfEv13rocblas_fill_17rocblas_diagonal_iiT2_lPT3_llS9_llPT4_lli
; %bb.0:
	s_load_dwordx16 s[8:23], s[4:5], 0x10
	s_waitcnt lgkmcnt(0)
	s_mul_i32 s0, s11, s7
	s_mul_hi_u32 s1, s10, s7
	s_add_i32 s1, s1, s0
	s_mul_i32 s0, s10, s7
	s_lshl_b64 s[0:1], s[0:1], 2
	s_add_u32 s0, s8, s0
	s_addc_u32 s1, s9, s1
	s_load_dword s28, s[0:1], 0x0
	s_waitcnt lgkmcnt(0)
	v_cmp_eq_f32_e64 s[0:1], s28, 0
	s_and_b64 vcc, exec, s[0:1]
	s_cbranch_vccnz .LBB146_15
; %bb.1:
	s_mov_b32 s24, s7
	s_mov_b32 s25, 0
	s_load_dwordx4 s[8:11], s[4:5], 0x0
	s_load_dwordx4 s[0:3], s[4:5], 0x50
	s_lshl_b64 s[26:27], s[24:25], 3
	s_add_u32 s12, s12, s26
	s_addc_u32 s13, s13, s27
	s_load_dwordx2 s[24:25], s[12:13], 0x0
	s_add_u32 s12, s18, s26
	s_addc_u32 s13, s19, s27
	s_waitcnt lgkmcnt(0)
	s_add_u32 s0, s0, s26
	s_addc_u32 s1, s1, s27
	s_load_dwordx2 s[18:19], s[12:13], 0x0
	v_lshlrev_b32_e32 v3, 5, v1
	s_load_dwordx2 s[12:13], s[0:1], 0x0
	v_add_lshl_u32 v4, v3, v0, 2
	v_mov_b32_e32 v2, 0
	v_cmp_gt_i32_e64 s[0:1], s10, v1
	v_cmp_gt_i32_e32 vcc, s10, v0
	ds_write2st64_b32 v4, v2, v2 offset1:16
	s_and_b64 s[0:1], s[0:1], vcc
	v_lshlrev_b32_e32 v2, 2, v0
	s_waitcnt lgkmcnt(0)
	s_barrier
	s_and_saveexec_b64 s[26:27], s[0:1]
	s_cbranch_execz .LBB146_3
; %bb.2:
	v_mad_u64_u32 v[5:6], s[0:1], s14, v1, 0
	s_lshl_b64 s[0:1], s[16:17], 2
	s_add_u32 s0, s24, s0
	v_mad_u64_u32 v[6:7], s[14:15], s15, v1, v[6:7]
	s_addc_u32 s1, s25, s1
	v_mov_b32_e32 v7, s1
	v_lshlrev_b64 v[5:6], 2, v[5:6]
	v_add_co_u32_e64 v5, s[0:1], s0, v5
	v_addc_co_u32_e64 v6, s[0:1], v7, v6, s[0:1]
	v_add_co_u32_e64 v5, s[0:1], v5, v2
	v_addc_co_u32_e64 v6, s[0:1], 0, v6, s[0:1]
	flat_load_dword v5, v[5:6]
	v_lshlrev_b32_e32 v6, 2, v1
	v_lshl_add_u32 v6, v0, 7, v6
	s_waitcnt vmcnt(0) lgkmcnt(0)
	ds_write_b32 v6, v5
.LBB146_3:
	s_or_b64 exec, exec, s[26:27]
	s_add_i32 s0, s11, -1
	s_ashr_i32 s1, s0, 31
	s_lshr_b32 s1, s1, 27
	s_add_i32 s0, s0, s1
	s_ashr_i32 s1, s0, 5
	s_andn2_b32 s0, s0, 31
	s_sub_i32 s0, s11, s0
	s_cmp_ge_i32 s6, s1
	s_cselect_b32 s0, s0, 32
	s_lshl_b32 s10, s6, 5
	v_cmp_gt_i32_e64 s[0:1], s0, v1
	s_ashr_i32 s11, s10, 31
	s_and_b64 s[0:1], vcc, s[0:1]
	s_and_saveexec_b64 s[6:7], s[0:1]
	s_cbranch_execz .LBB146_5
; %bb.4:
	s_lshl_b64 s[14:15], s[22:23], 2
	s_add_u32 s18, s18, s14
	s_addc_u32 s19, s19, s15
	s_mul_i32 s14, s20, s11
	s_mul_hi_u32 s15, s20, s10
	s_add_i32 s16, s15, s14
	v_mad_u64_u32 v[5:6], s[14:15], s20, v1, 0
	s_mul_i32 s14, s21, s10
	s_add_i32 s15, s16, s14
	v_mad_u64_u32 v[6:7], s[16:17], s21, v1, v[6:7]
	s_mul_i32 s14, s20, s10
	s_lshl_b64 s[14:15], s[14:15], 2
	s_add_u32 s14, s18, s14
	v_lshlrev_b64 v[5:6], 2, v[5:6]
	s_addc_u32 s15, s19, s15
	v_mov_b32_e32 v7, s15
	v_add_co_u32_e32 v5, vcc, s14, v5
	v_addc_co_u32_e32 v6, vcc, v7, v6, vcc
	v_add_co_u32_e32 v5, vcc, v5, v2
	v_addc_co_u32_e32 v6, vcc, 0, v6, vcc
	flat_load_dword v5, v[5:6]
	v_add_u32_e32 v6, 0x1000, v4
	s_waitcnt vmcnt(0) lgkmcnt(0)
	ds_write_b32 v6, v5
.LBB146_5:
	s_or_b64 exec, exec, s[6:7]
	s_cmpk_eq_i32 s9, 0x84
	s_cselect_b64 s[6:7], -1, 0
	v_cmp_eq_u32_e32 vcc, v1, v0
	s_and_b64 s[14:15], vcc, s[6:7]
	s_and_saveexec_b64 s[6:7], s[14:15]
; %bb.6:
	v_mov_b32_e32 v5, 1.0
	ds_write_b32 v4, v5
; %bb.7:
	s_or_b64 exec, exec, s[6:7]
	s_cmpk_lg_i32 s8, 0x7a
	s_waitcnt lgkmcnt(0)
	s_barrier
	s_cbranch_scc0 .LBB146_9
; %bb.8:
	v_cmp_lt_u32_e32 vcc, v0, v1
	s_and_b64 s[6:7], vcc, exec
	s_cbranch_execz .LBB146_10
	s_branch .LBB146_11
.LBB146_9:
	s_mov_b64 s[6:7], 0
.LBB146_10:
	v_cmp_gt_u32_e32 vcc, v0, v1
	s_andn2_b64 s[6:7], s[6:7], exec
	s_and_b64 s[8:9], vcc, exec
	s_or_b64 s[6:7], s[6:7], s[8:9]
.LBB146_11:
	s_and_saveexec_b64 s[8:9], s[6:7]
; %bb.12:
	v_mov_b32_e32 v0, 0
	ds_write_b32 v4, v0
; %bb.13:
	s_or_b64 exec, exec, s[8:9]
	s_waitcnt lgkmcnt(0)
	s_barrier
	s_and_saveexec_b64 s[6:7], s[0:1]
	s_cbranch_execz .LBB146_15
; %bb.14:
	ds_read2_b32 v[19:20], v2 offset1:32
	v_lshlrev_b32_e32 v0, 2, v3
	ds_read_b128 v[3:6], v0 offset:4096
	ds_read_b128 v[7:10], v0 offset:4112
	ds_read2_b32 v[21:22], v2 offset0:64 offset1:96
	ds_read_b128 v[11:14], v0 offset:4128
	ds_read_b128 v[15:18], v0 offset:4144
	ds_read2_b32 v[23:24], v2 offset0:128 offset1:160
	s_load_dwordx2 s[0:1], s[4:5], 0x60
	s_waitcnt lgkmcnt(0)
	v_fma_f32 v19, v19, v3, 0
	v_fmac_f32_e32 v19, v20, v4
	ds_read2_b32 v[3:4], v2 offset0:192 offset1:224
	v_fmac_f32_e32 v19, v21, v5
	v_fmac_f32_e32 v19, v22, v6
	;; [unrolled: 1-line block ×3, first 2 shown]
	v_add_u32_e32 v20, 0x400, v2
	ds_read2_b32 v[5:6], v20 offset1:32
	v_fmac_f32_e32 v19, v24, v8
	s_waitcnt lgkmcnt(1)
	v_fmac_f32_e32 v19, v3, v9
	v_fmac_f32_e32 v19, v4, v10
	ds_read2_b32 v[3:4], v20 offset0:64 offset1:96
	ds_read2_b32 v[7:8], v20 offset0:128 offset1:160
	s_waitcnt lgkmcnt(2)
	v_fmac_f32_e32 v19, v5, v11
	v_fmac_f32_e32 v19, v6, v12
	ds_read2_b32 v[9:10], v20 offset0:192 offset1:224
	s_waitcnt lgkmcnt(2)
	v_fmac_f32_e32 v19, v3, v13
	v_fmac_f32_e32 v19, v4, v14
	s_waitcnt lgkmcnt(1)
	v_fmac_f32_e32 v19, v7, v15
	v_fmac_f32_e32 v19, v8, v16
	s_waitcnt lgkmcnt(0)
	v_fmac_f32_e32 v19, v9, v17
	v_add_u32_e32 v17, 0x800, v2
	ds_read2_b32 v[11:12], v17 offset1:32
	ds_read_b128 v[3:6], v0 offset:4160
	v_fmac_f32_e32 v19, v10, v18
	ds_read2_b32 v[13:14], v17 offset0:64 offset1:96
	ds_read2_b32 v[15:16], v17 offset0:128 offset1:160
	ds_read_b128 v[7:10], v0 offset:4176
	s_lshl_b64 s[0:1], s[0:1], 2
	s_mul_i32 s4, s2, s11
	s_waitcnt lgkmcnt(3)
	v_fmac_f32_e32 v19, v11, v3
	v_fmac_f32_e32 v19, v12, v4
	s_waitcnt lgkmcnt(2)
	v_fmac_f32_e32 v19, v13, v5
	ds_read2_b32 v[11:12], v17 offset0:192 offset1:224
	v_fmac_f32_e32 v19, v14, v6
	s_waitcnt lgkmcnt(1)
	v_fmac_f32_e32 v19, v15, v7
	v_add_u32_e32 v15, 0xc00, v2
	ds_read2_b32 v[13:14], v15 offset1:32
	ds_read_b128 v[3:6], v0 offset:4192
	v_fmac_f32_e32 v19, v16, v8
	s_waitcnt lgkmcnt(2)
	v_fmac_f32_e32 v19, v11, v9
	s_mul_hi_u32 s5, s2, s10
	s_add_u32 s7, s12, s0
	v_fmac_f32_e32 v19, v12, v10
	ds_read2_b32 v[11:12], v15 offset0:64 offset1:96
	ds_read_b128 v[7:10], v0 offset:4208
	s_mul_i32 s6, s3, s10
	s_addc_u32 s8, s13, s1
	s_add_i32 s0, s5, s4
	s_add_i32 s1, s0, s6
	s_mul_i32 s0, s2, s10
	s_waitcnt lgkmcnt(2)
	v_fmac_f32_e32 v19, v13, v3
	s_lshl_b64 s[0:1], s[0:1], 2
	v_fmac_f32_e32 v19, v14, v4
	s_add_u32 s4, s7, s0
	s_waitcnt lgkmcnt(1)
	v_fmac_f32_e32 v19, v11, v5
	s_addc_u32 s5, s8, s1
	v_fmac_f32_e32 v19, v12, v6
	v_mad_u64_u32 v[5:6], s[0:1], s2, v1, 0
	ds_read2_b32 v[3:4], v15 offset0:128 offset1:160
	ds_read2_b32 v[11:12], v15 offset0:192 offset1:224
	v_mov_b32_e32 v0, v6
	v_mad_u64_u32 v[0:1], s[0:1], s3, v1, v[0:1]
	s_waitcnt lgkmcnt(1)
	v_fmac_f32_e32 v19, v3, v7
	v_fmac_f32_e32 v19, v4, v8
	v_mov_b32_e32 v6, v0
	v_lshlrev_b64 v[0:1], 2, v[5:6]
	v_mov_b32_e32 v4, s5
	v_add_co_u32_e32 v0, vcc, s4, v0
	s_waitcnt lgkmcnt(0)
	v_fmac_f32_e32 v19, v11, v9
	v_addc_co_u32_e32 v1, vcc, v4, v1, vcc
	v_fmac_f32_e32 v19, v12, v10
	v_add_co_u32_e32 v0, vcc, v0, v2
	v_mul_f32_e32 v3, s28, v19
	v_addc_co_u32_e32 v1, vcc, 0, v1, vcc
	flat_store_dword v[0:1], v3
.LBB146_15:
	s_endpgm
	.section	.rodata,"a",@progbits
	.p2align	6, 0x0
	.amdhsa_kernel _ZL23rocblas_trmm_lTx_kernelILi32ELb0EfPKfKS1_KPfEv13rocblas_fill_17rocblas_diagonal_iiT2_lPT3_llS9_llPT4_lli
		.amdhsa_group_segment_fixed_size 8192
		.amdhsa_private_segment_fixed_size 0
		.amdhsa_kernarg_size 108
		.amdhsa_user_sgpr_count 6
		.amdhsa_user_sgpr_private_segment_buffer 1
		.amdhsa_user_sgpr_dispatch_ptr 0
		.amdhsa_user_sgpr_queue_ptr 0
		.amdhsa_user_sgpr_kernarg_segment_ptr 1
		.amdhsa_user_sgpr_dispatch_id 0
		.amdhsa_user_sgpr_flat_scratch_init 0
		.amdhsa_user_sgpr_private_segment_size 0
		.amdhsa_uses_dynamic_stack 0
		.amdhsa_system_sgpr_private_segment_wavefront_offset 0
		.amdhsa_system_sgpr_workgroup_id_x 1
		.amdhsa_system_sgpr_workgroup_id_y 0
		.amdhsa_system_sgpr_workgroup_id_z 1
		.amdhsa_system_sgpr_workgroup_info 0
		.amdhsa_system_vgpr_workitem_id 1
		.amdhsa_next_free_vgpr 29
		.amdhsa_next_free_sgpr 61
		.amdhsa_reserve_vcc 1
		.amdhsa_reserve_flat_scratch 0
		.amdhsa_float_round_mode_32 0
		.amdhsa_float_round_mode_16_64 0
		.amdhsa_float_denorm_mode_32 3
		.amdhsa_float_denorm_mode_16_64 3
		.amdhsa_dx10_clamp 1
		.amdhsa_ieee_mode 1
		.amdhsa_fp16_overflow 0
		.amdhsa_exception_fp_ieee_invalid_op 0
		.amdhsa_exception_fp_denorm_src 0
		.amdhsa_exception_fp_ieee_div_zero 0
		.amdhsa_exception_fp_ieee_overflow 0
		.amdhsa_exception_fp_ieee_underflow 0
		.amdhsa_exception_fp_ieee_inexact 0
		.amdhsa_exception_int_div_zero 0
	.end_amdhsa_kernel
	.section	.text._ZL23rocblas_trmm_lTx_kernelILi32ELb0EfPKfKS1_KPfEv13rocblas_fill_17rocblas_diagonal_iiT2_lPT3_llS9_llPT4_lli,"axG",@progbits,_ZL23rocblas_trmm_lTx_kernelILi32ELb0EfPKfKS1_KPfEv13rocblas_fill_17rocblas_diagonal_iiT2_lPT3_llS9_llPT4_lli,comdat
.Lfunc_end146:
	.size	_ZL23rocblas_trmm_lTx_kernelILi32ELb0EfPKfKS1_KPfEv13rocblas_fill_17rocblas_diagonal_iiT2_lPT3_llS9_llPT4_lli, .Lfunc_end146-_ZL23rocblas_trmm_lTx_kernelILi32ELb0EfPKfKS1_KPfEv13rocblas_fill_17rocblas_diagonal_iiT2_lPT3_llS9_llPT4_lli
                                        ; -- End function
	.set _ZL23rocblas_trmm_lTx_kernelILi32ELb0EfPKfKS1_KPfEv13rocblas_fill_17rocblas_diagonal_iiT2_lPT3_llS9_llPT4_lli.num_vgpr, 25
	.set _ZL23rocblas_trmm_lTx_kernelILi32ELb0EfPKfKS1_KPfEv13rocblas_fill_17rocblas_diagonal_iiT2_lPT3_llS9_llPT4_lli.num_agpr, 0
	.set _ZL23rocblas_trmm_lTx_kernelILi32ELb0EfPKfKS1_KPfEv13rocblas_fill_17rocblas_diagonal_iiT2_lPT3_llS9_llPT4_lli.numbered_sgpr, 29
	.set _ZL23rocblas_trmm_lTx_kernelILi32ELb0EfPKfKS1_KPfEv13rocblas_fill_17rocblas_diagonal_iiT2_lPT3_llS9_llPT4_lli.num_named_barrier, 0
	.set _ZL23rocblas_trmm_lTx_kernelILi32ELb0EfPKfKS1_KPfEv13rocblas_fill_17rocblas_diagonal_iiT2_lPT3_llS9_llPT4_lli.private_seg_size, 0
	.set _ZL23rocblas_trmm_lTx_kernelILi32ELb0EfPKfKS1_KPfEv13rocblas_fill_17rocblas_diagonal_iiT2_lPT3_llS9_llPT4_lli.uses_vcc, 1
	.set _ZL23rocblas_trmm_lTx_kernelILi32ELb0EfPKfKS1_KPfEv13rocblas_fill_17rocblas_diagonal_iiT2_lPT3_llS9_llPT4_lli.uses_flat_scratch, 0
	.set _ZL23rocblas_trmm_lTx_kernelILi32ELb0EfPKfKS1_KPfEv13rocblas_fill_17rocblas_diagonal_iiT2_lPT3_llS9_llPT4_lli.has_dyn_sized_stack, 0
	.set _ZL23rocblas_trmm_lTx_kernelILi32ELb0EfPKfKS1_KPfEv13rocblas_fill_17rocblas_diagonal_iiT2_lPT3_llS9_llPT4_lli.has_recursion, 0
	.set _ZL23rocblas_trmm_lTx_kernelILi32ELb0EfPKfKS1_KPfEv13rocblas_fill_17rocblas_diagonal_iiT2_lPT3_llS9_llPT4_lli.has_indirect_call, 0
	.section	.AMDGPU.csdata,"",@progbits
; Kernel info:
; codeLenInByte = 1160
; TotalNumSgprs: 33
; NumVgprs: 25
; ScratchSize: 0
; MemoryBound: 0
; FloatMode: 240
; IeeeMode: 1
; LDSByteSize: 8192 bytes/workgroup (compile time only)
; SGPRBlocks: 8
; VGPRBlocks: 7
; NumSGPRsForWavesPerEU: 65
; NumVGPRsForWavesPerEU: 29
; Occupancy: 8
; WaveLimiterHint : 1
; COMPUTE_PGM_RSRC2:SCRATCH_EN: 0
; COMPUTE_PGM_RSRC2:USER_SGPR: 6
; COMPUTE_PGM_RSRC2:TRAP_HANDLER: 0
; COMPUTE_PGM_RSRC2:TGID_X_EN: 1
; COMPUTE_PGM_RSRC2:TGID_Y_EN: 0
; COMPUTE_PGM_RSRC2:TGID_Z_EN: 1
; COMPUTE_PGM_RSRC2:TIDIG_COMP_CNT: 1
	.section	.text._ZL23rocblas_trmm_lTx_kernelILi32ELb0EffKPKfKPfEv13rocblas_fill_17rocblas_diagonal_iiT2_lPT3_llS9_llPT4_lli,"axG",@progbits,_ZL23rocblas_trmm_lTx_kernelILi32ELb0EffKPKfKPfEv13rocblas_fill_17rocblas_diagonal_iiT2_lPT3_llS9_llPT4_lli,comdat
	.globl	_ZL23rocblas_trmm_lTx_kernelILi32ELb0EffKPKfKPfEv13rocblas_fill_17rocblas_diagonal_iiT2_lPT3_llS9_llPT4_lli ; -- Begin function _ZL23rocblas_trmm_lTx_kernelILi32ELb0EffKPKfKPfEv13rocblas_fill_17rocblas_diagonal_iiT2_lPT3_llS9_llPT4_lli
	.p2align	8
	.type	_ZL23rocblas_trmm_lTx_kernelILi32ELb0EffKPKfKPfEv13rocblas_fill_17rocblas_diagonal_iiT2_lPT3_llS9_llPT4_lli,@function
_ZL23rocblas_trmm_lTx_kernelILi32ELb0EffKPKfKPfEv13rocblas_fill_17rocblas_diagonal_iiT2_lPT3_llS9_llPT4_lli: ; @_ZL23rocblas_trmm_lTx_kernelILi32ELb0EffKPKfKPfEv13rocblas_fill_17rocblas_diagonal_iiT2_lPT3_llS9_llPT4_lli
; %bb.0:
	s_load_dword s30, s[4:5], 0x10
	s_mov_b32 s1, 0
	s_waitcnt lgkmcnt(0)
	v_cmp_eq_f32_e64 s[2:3], s30, 0
	s_and_b64 vcc, exec, s[2:3]
	s_cbranch_vccnz .LBB147_15
; %bb.1:
	s_load_dwordx16 s[8:23], s[4:5], 0x20
	s_load_dwordx4 s[24:27], s[4:5], 0x0
	s_mov_b32 s0, s7
	s_lshl_b64 s[0:1], s[0:1], 3
	v_lshlrev_b32_e32 v3, 5, v1
	s_waitcnt lgkmcnt(0)
	s_add_u32 s2, s8, s0
	s_addc_u32 s3, s9, s1
	s_load_dwordx2 s[28:29], s[2:3], 0x0
	s_add_u32 s2, s14, s0
	s_addc_u32 s3, s15, s1
	s_add_u32 s0, s20, s0
	s_addc_u32 s1, s21, s1
	s_load_dwordx2 s[8:9], s[2:3], 0x0
	v_add_lshl_u32 v4, v3, v0, 2
	s_load_dwordx2 s[2:3], s[0:1], 0x0
	v_mov_b32_e32 v2, 0
	v_cmp_gt_i32_e64 s[0:1], s26, v1
	v_cmp_gt_i32_e32 vcc, s26, v0
	ds_write2st64_b32 v4, v2, v2 offset1:16
	s_and_b64 s[0:1], s[0:1], vcc
	v_lshlrev_b32_e32 v2, 2, v0
	s_waitcnt lgkmcnt(0)
	s_barrier
	s_and_saveexec_b64 s[14:15], s[0:1]
	s_cbranch_execz .LBB147_3
; %bb.2:
	v_mad_u64_u32 v[5:6], s[0:1], s10, v1, 0
	s_lshl_b64 s[0:1], s[12:13], 2
	s_add_u32 s0, s28, s0
	v_mad_u64_u32 v[6:7], s[10:11], s11, v1, v[6:7]
	s_addc_u32 s1, s29, s1
	v_mov_b32_e32 v7, s1
	v_lshlrev_b64 v[5:6], 2, v[5:6]
	v_add_co_u32_e64 v5, s[0:1], s0, v5
	v_addc_co_u32_e64 v6, s[0:1], v7, v6, s[0:1]
	v_add_co_u32_e64 v5, s[0:1], v5, v2
	v_addc_co_u32_e64 v6, s[0:1], 0, v6, s[0:1]
	flat_load_dword v5, v[5:6]
	v_lshlrev_b32_e32 v6, 2, v1
	v_lshl_add_u32 v6, v0, 7, v6
	s_waitcnt vmcnt(0) lgkmcnt(0)
	ds_write_b32 v6, v5
.LBB147_3:
	s_or_b64 exec, exec, s[14:15]
	s_add_i32 s0, s27, -1
	s_ashr_i32 s1, s0, 31
	s_lshr_b32 s1, s1, 27
	s_add_i32 s0, s0, s1
	s_ashr_i32 s1, s0, 5
	s_andn2_b32 s0, s0, 31
	s_sub_i32 s0, s27, s0
	s_cmp_ge_i32 s6, s1
	s_cselect_b32 s0, s0, 32
	s_lshl_b32 s10, s6, 5
	v_cmp_gt_i32_e64 s[0:1], s0, v1
	s_ashr_i32 s11, s10, 31
	s_and_b64 s[0:1], vcc, s[0:1]
	s_and_saveexec_b64 s[6:7], s[0:1]
	s_cbranch_execz .LBB147_5
; %bb.4:
	s_lshl_b64 s[12:13], s[18:19], 2
	s_add_u32 s14, s8, s12
	s_addc_u32 s15, s9, s13
	s_mul_i32 s8, s16, s11
	s_mul_hi_u32 s9, s16, s10
	s_add_i32 s12, s9, s8
	v_mad_u64_u32 v[5:6], s[8:9], s16, v1, 0
	s_mul_i32 s8, s17, s10
	s_add_i32 s9, s12, s8
	v_mad_u64_u32 v[6:7], s[12:13], s17, v1, v[6:7]
	s_mul_i32 s8, s16, s10
	s_lshl_b64 s[8:9], s[8:9], 2
	s_add_u32 s8, s14, s8
	v_lshlrev_b64 v[5:6], 2, v[5:6]
	s_addc_u32 s9, s15, s9
	v_mov_b32_e32 v7, s9
	v_add_co_u32_e32 v5, vcc, s8, v5
	v_addc_co_u32_e32 v6, vcc, v7, v6, vcc
	v_add_co_u32_e32 v5, vcc, v5, v2
	v_addc_co_u32_e32 v6, vcc, 0, v6, vcc
	flat_load_dword v5, v[5:6]
	v_add_u32_e32 v6, 0x1000, v4
	s_waitcnt vmcnt(0) lgkmcnt(0)
	ds_write_b32 v6, v5
.LBB147_5:
	s_or_b64 exec, exec, s[6:7]
	s_cmpk_eq_i32 s25, 0x84
	s_cselect_b64 s[6:7], -1, 0
	v_cmp_eq_u32_e32 vcc, v1, v0
	s_and_b64 s[8:9], vcc, s[6:7]
	s_and_saveexec_b64 s[6:7], s[8:9]
; %bb.6:
	v_mov_b32_e32 v5, 1.0
	ds_write_b32 v4, v5
; %bb.7:
	s_or_b64 exec, exec, s[6:7]
	s_cmpk_lg_i32 s24, 0x7a
	s_waitcnt lgkmcnt(0)
	s_barrier
	s_cbranch_scc0 .LBB147_9
; %bb.8:
	v_cmp_lt_u32_e32 vcc, v0, v1
	s_and_b64 s[6:7], vcc, exec
	s_cbranch_execz .LBB147_10
	s_branch .LBB147_11
.LBB147_9:
	s_mov_b64 s[6:7], 0
.LBB147_10:
	v_cmp_gt_u32_e32 vcc, v0, v1
	s_andn2_b64 s[6:7], s[6:7], exec
	s_and_b64 s[8:9], vcc, exec
	s_or_b64 s[6:7], s[6:7], s[8:9]
.LBB147_11:
	s_and_saveexec_b64 s[8:9], s[6:7]
; %bb.12:
	v_mov_b32_e32 v0, 0
	ds_write_b32 v4, v0
; %bb.13:
	s_or_b64 exec, exec, s[8:9]
	s_waitcnt lgkmcnt(0)
	s_barrier
	s_and_saveexec_b64 s[6:7], s[0:1]
	s_cbranch_execz .LBB147_15
; %bb.14:
	ds_read2_b32 v[19:20], v2 offset1:32
	v_lshlrev_b32_e32 v0, 2, v3
	ds_read_b128 v[3:6], v0 offset:4096
	ds_read_b128 v[7:10], v0 offset:4112
	ds_read2_b32 v[21:22], v2 offset0:64 offset1:96
	ds_read_b128 v[11:14], v0 offset:4128
	ds_read_b128 v[15:18], v0 offset:4144
	ds_read2_b32 v[23:24], v2 offset0:128 offset1:160
	s_load_dwordx2 s[0:1], s[4:5], 0x60
	s_waitcnt lgkmcnt(0)
	v_fma_f32 v19, v19, v3, 0
	v_fmac_f32_e32 v19, v20, v4
	ds_read2_b32 v[3:4], v2 offset0:192 offset1:224
	v_fmac_f32_e32 v19, v21, v5
	v_fmac_f32_e32 v19, v22, v6
	;; [unrolled: 1-line block ×3, first 2 shown]
	v_add_u32_e32 v20, 0x400, v2
	ds_read2_b32 v[5:6], v20 offset1:32
	v_fmac_f32_e32 v19, v24, v8
	s_waitcnt lgkmcnt(1)
	v_fmac_f32_e32 v19, v3, v9
	v_fmac_f32_e32 v19, v4, v10
	ds_read2_b32 v[3:4], v20 offset0:64 offset1:96
	ds_read2_b32 v[7:8], v20 offset0:128 offset1:160
	s_waitcnt lgkmcnt(2)
	v_fmac_f32_e32 v19, v5, v11
	v_fmac_f32_e32 v19, v6, v12
	ds_read2_b32 v[9:10], v20 offset0:192 offset1:224
	s_waitcnt lgkmcnt(2)
	v_fmac_f32_e32 v19, v3, v13
	v_fmac_f32_e32 v19, v4, v14
	s_waitcnt lgkmcnt(1)
	v_fmac_f32_e32 v19, v7, v15
	v_fmac_f32_e32 v19, v8, v16
	s_waitcnt lgkmcnt(0)
	v_fmac_f32_e32 v19, v9, v17
	v_add_u32_e32 v17, 0x800, v2
	ds_read2_b32 v[11:12], v17 offset1:32
	ds_read_b128 v[3:6], v0 offset:4160
	v_fmac_f32_e32 v19, v10, v18
	ds_read2_b32 v[13:14], v17 offset0:64 offset1:96
	ds_read2_b32 v[15:16], v17 offset0:128 offset1:160
	ds_read_b128 v[7:10], v0 offset:4176
	s_lshl_b64 s[0:1], s[0:1], 2
	s_mul_i32 s4, s22, s11
	s_waitcnt lgkmcnt(3)
	v_fmac_f32_e32 v19, v11, v3
	v_fmac_f32_e32 v19, v12, v4
	s_waitcnt lgkmcnt(2)
	v_fmac_f32_e32 v19, v13, v5
	ds_read2_b32 v[11:12], v17 offset0:192 offset1:224
	v_fmac_f32_e32 v19, v14, v6
	s_waitcnt lgkmcnt(1)
	v_fmac_f32_e32 v19, v15, v7
	v_add_u32_e32 v15, 0xc00, v2
	ds_read2_b32 v[13:14], v15 offset1:32
	ds_read_b128 v[3:6], v0 offset:4192
	v_fmac_f32_e32 v19, v16, v8
	s_waitcnt lgkmcnt(2)
	v_fmac_f32_e32 v19, v11, v9
	s_mul_hi_u32 s5, s22, s10
	s_add_u32 s2, s2, s0
	v_fmac_f32_e32 v19, v12, v10
	ds_read2_b32 v[11:12], v15 offset0:64 offset1:96
	ds_read_b128 v[7:10], v0 offset:4208
	s_mul_i32 s6, s23, s10
	s_addc_u32 s3, s3, s1
	s_add_i32 s0, s5, s4
	s_add_i32 s1, s0, s6
	s_mul_i32 s0, s22, s10
	s_waitcnt lgkmcnt(2)
	v_fmac_f32_e32 v19, v13, v3
	s_lshl_b64 s[0:1], s[0:1], 2
	v_fmac_f32_e32 v19, v14, v4
	s_add_u32 s2, s2, s0
	s_waitcnt lgkmcnt(1)
	v_fmac_f32_e32 v19, v11, v5
	s_addc_u32 s3, s3, s1
	v_fmac_f32_e32 v19, v12, v6
	v_mad_u64_u32 v[5:6], s[0:1], s22, v1, 0
	ds_read2_b32 v[3:4], v15 offset0:128 offset1:160
	ds_read2_b32 v[11:12], v15 offset0:192 offset1:224
	v_mov_b32_e32 v0, v6
	v_mad_u64_u32 v[0:1], s[0:1], s23, v1, v[0:1]
	s_waitcnt lgkmcnt(1)
	v_fmac_f32_e32 v19, v3, v7
	v_fmac_f32_e32 v19, v4, v8
	v_mov_b32_e32 v6, v0
	v_lshlrev_b64 v[0:1], 2, v[5:6]
	v_mov_b32_e32 v4, s3
	v_add_co_u32_e32 v0, vcc, s2, v0
	s_waitcnt lgkmcnt(0)
	v_fmac_f32_e32 v19, v11, v9
	v_addc_co_u32_e32 v1, vcc, v4, v1, vcc
	v_fmac_f32_e32 v19, v12, v10
	v_add_co_u32_e32 v0, vcc, v0, v2
	v_mul_f32_e32 v3, s30, v19
	v_addc_co_u32_e32 v1, vcc, 0, v1, vcc
	flat_store_dword v[0:1], v3
.LBB147_15:
	s_endpgm
	.section	.rodata,"a",@progbits
	.p2align	6, 0x0
	.amdhsa_kernel _ZL23rocblas_trmm_lTx_kernelILi32ELb0EffKPKfKPfEv13rocblas_fill_17rocblas_diagonal_iiT2_lPT3_llS9_llPT4_lli
		.amdhsa_group_segment_fixed_size 8192
		.amdhsa_private_segment_fixed_size 0
		.amdhsa_kernarg_size 108
		.amdhsa_user_sgpr_count 6
		.amdhsa_user_sgpr_private_segment_buffer 1
		.amdhsa_user_sgpr_dispatch_ptr 0
		.amdhsa_user_sgpr_queue_ptr 0
		.amdhsa_user_sgpr_kernarg_segment_ptr 1
		.amdhsa_user_sgpr_dispatch_id 0
		.amdhsa_user_sgpr_flat_scratch_init 0
		.amdhsa_user_sgpr_private_segment_size 0
		.amdhsa_uses_dynamic_stack 0
		.amdhsa_system_sgpr_private_segment_wavefront_offset 0
		.amdhsa_system_sgpr_workgroup_id_x 1
		.amdhsa_system_sgpr_workgroup_id_y 0
		.amdhsa_system_sgpr_workgroup_id_z 1
		.amdhsa_system_sgpr_workgroup_info 0
		.amdhsa_system_vgpr_workitem_id 1
		.amdhsa_next_free_vgpr 29
		.amdhsa_next_free_sgpr 61
		.amdhsa_reserve_vcc 1
		.amdhsa_reserve_flat_scratch 0
		.amdhsa_float_round_mode_32 0
		.amdhsa_float_round_mode_16_64 0
		.amdhsa_float_denorm_mode_32 3
		.amdhsa_float_denorm_mode_16_64 3
		.amdhsa_dx10_clamp 1
		.amdhsa_ieee_mode 1
		.amdhsa_fp16_overflow 0
		.amdhsa_exception_fp_ieee_invalid_op 0
		.amdhsa_exception_fp_denorm_src 0
		.amdhsa_exception_fp_ieee_div_zero 0
		.amdhsa_exception_fp_ieee_overflow 0
		.amdhsa_exception_fp_ieee_underflow 0
		.amdhsa_exception_fp_ieee_inexact 0
		.amdhsa_exception_int_div_zero 0
	.end_amdhsa_kernel
	.section	.text._ZL23rocblas_trmm_lTx_kernelILi32ELb0EffKPKfKPfEv13rocblas_fill_17rocblas_diagonal_iiT2_lPT3_llS9_llPT4_lli,"axG",@progbits,_ZL23rocblas_trmm_lTx_kernelILi32ELb0EffKPKfKPfEv13rocblas_fill_17rocblas_diagonal_iiT2_lPT3_llS9_llPT4_lli,comdat
.Lfunc_end147:
	.size	_ZL23rocblas_trmm_lTx_kernelILi32ELb0EffKPKfKPfEv13rocblas_fill_17rocblas_diagonal_iiT2_lPT3_llS9_llPT4_lli, .Lfunc_end147-_ZL23rocblas_trmm_lTx_kernelILi32ELb0EffKPKfKPfEv13rocblas_fill_17rocblas_diagonal_iiT2_lPT3_llS9_llPT4_lli
                                        ; -- End function
	.set _ZL23rocblas_trmm_lTx_kernelILi32ELb0EffKPKfKPfEv13rocblas_fill_17rocblas_diagonal_iiT2_lPT3_llS9_llPT4_lli.num_vgpr, 25
	.set _ZL23rocblas_trmm_lTx_kernelILi32ELb0EffKPKfKPfEv13rocblas_fill_17rocblas_diagonal_iiT2_lPT3_llS9_llPT4_lli.num_agpr, 0
	.set _ZL23rocblas_trmm_lTx_kernelILi32ELb0EffKPKfKPfEv13rocblas_fill_17rocblas_diagonal_iiT2_lPT3_llS9_llPT4_lli.numbered_sgpr, 31
	.set _ZL23rocblas_trmm_lTx_kernelILi32ELb0EffKPKfKPfEv13rocblas_fill_17rocblas_diagonal_iiT2_lPT3_llS9_llPT4_lli.num_named_barrier, 0
	.set _ZL23rocblas_trmm_lTx_kernelILi32ELb0EffKPKfKPfEv13rocblas_fill_17rocblas_diagonal_iiT2_lPT3_llS9_llPT4_lli.private_seg_size, 0
	.set _ZL23rocblas_trmm_lTx_kernelILi32ELb0EffKPKfKPfEv13rocblas_fill_17rocblas_diagonal_iiT2_lPT3_llS9_llPT4_lli.uses_vcc, 1
	.set _ZL23rocblas_trmm_lTx_kernelILi32ELb0EffKPKfKPfEv13rocblas_fill_17rocblas_diagonal_iiT2_lPT3_llS9_llPT4_lli.uses_flat_scratch, 0
	.set _ZL23rocblas_trmm_lTx_kernelILi32ELb0EffKPKfKPfEv13rocblas_fill_17rocblas_diagonal_iiT2_lPT3_llS9_llPT4_lli.has_dyn_sized_stack, 0
	.set _ZL23rocblas_trmm_lTx_kernelILi32ELb0EffKPKfKPfEv13rocblas_fill_17rocblas_diagonal_iiT2_lPT3_llS9_llPT4_lli.has_recursion, 0
	.set _ZL23rocblas_trmm_lTx_kernelILi32ELb0EffKPKfKPfEv13rocblas_fill_17rocblas_diagonal_iiT2_lPT3_llS9_llPT4_lli.has_indirect_call, 0
	.section	.AMDGPU.csdata,"",@progbits
; Kernel info:
; codeLenInByte = 1120
; TotalNumSgprs: 35
; NumVgprs: 25
; ScratchSize: 0
; MemoryBound: 0
; FloatMode: 240
; IeeeMode: 1
; LDSByteSize: 8192 bytes/workgroup (compile time only)
; SGPRBlocks: 8
; VGPRBlocks: 7
; NumSGPRsForWavesPerEU: 65
; NumVGPRsForWavesPerEU: 29
; Occupancy: 8
; WaveLimiterHint : 1
; COMPUTE_PGM_RSRC2:SCRATCH_EN: 0
; COMPUTE_PGM_RSRC2:USER_SGPR: 6
; COMPUTE_PGM_RSRC2:TRAP_HANDLER: 0
; COMPUTE_PGM_RSRC2:TGID_X_EN: 1
; COMPUTE_PGM_RSRC2:TGID_Y_EN: 0
; COMPUTE_PGM_RSRC2:TGID_Z_EN: 1
; COMPUTE_PGM_RSRC2:TIDIG_COMP_CNT: 1
	.section	.text._ZL23rocblas_trmm_lTx_kernelILi32ELb1EfPKfKS1_KPfEv13rocblas_fill_17rocblas_diagonal_iiT2_lPT3_llS9_llPT4_lli,"axG",@progbits,_ZL23rocblas_trmm_lTx_kernelILi32ELb1EfPKfKS1_KPfEv13rocblas_fill_17rocblas_diagonal_iiT2_lPT3_llS9_llPT4_lli,comdat
	.globl	_ZL23rocblas_trmm_lTx_kernelILi32ELb1EfPKfKS1_KPfEv13rocblas_fill_17rocblas_diagonal_iiT2_lPT3_llS9_llPT4_lli ; -- Begin function _ZL23rocblas_trmm_lTx_kernelILi32ELb1EfPKfKS1_KPfEv13rocblas_fill_17rocblas_diagonal_iiT2_lPT3_llS9_llPT4_lli
	.p2align	8
	.type	_ZL23rocblas_trmm_lTx_kernelILi32ELb1EfPKfKS1_KPfEv13rocblas_fill_17rocblas_diagonal_iiT2_lPT3_llS9_llPT4_lli,@function
_ZL23rocblas_trmm_lTx_kernelILi32ELb1EfPKfKS1_KPfEv13rocblas_fill_17rocblas_diagonal_iiT2_lPT3_llS9_llPT4_lli: ; @_ZL23rocblas_trmm_lTx_kernelILi32ELb1EfPKfKS1_KPfEv13rocblas_fill_17rocblas_diagonal_iiT2_lPT3_llS9_llPT4_lli
; %bb.0:
	s_load_dwordx16 s[8:23], s[4:5], 0x10
	s_waitcnt lgkmcnt(0)
	s_mul_i32 s0, s11, s7
	s_mul_hi_u32 s1, s10, s7
	s_add_i32 s1, s1, s0
	s_mul_i32 s0, s10, s7
	s_lshl_b64 s[0:1], s[0:1], 2
	s_add_u32 s0, s8, s0
	s_addc_u32 s1, s9, s1
	s_load_dword s28, s[0:1], 0x0
	s_waitcnt lgkmcnt(0)
	v_cmp_eq_f32_e64 s[0:1], s28, 0
	s_and_b64 vcc, exec, s[0:1]
	s_cbranch_vccnz .LBB148_15
; %bb.1:
	s_mov_b32 s24, s7
	s_mov_b32 s25, 0
	s_load_dwordx4 s[8:11], s[4:5], 0x0
	s_load_dwordx4 s[0:3], s[4:5], 0x50
	s_lshl_b64 s[26:27], s[24:25], 3
	s_add_u32 s12, s12, s26
	s_addc_u32 s13, s13, s27
	s_load_dwordx2 s[24:25], s[12:13], 0x0
	s_add_u32 s12, s18, s26
	s_addc_u32 s13, s19, s27
	s_waitcnt lgkmcnt(0)
	s_add_u32 s0, s0, s26
	s_addc_u32 s1, s1, s27
	s_load_dwordx2 s[18:19], s[12:13], 0x0
	v_lshlrev_b32_e32 v3, 5, v1
	s_load_dwordx2 s[12:13], s[0:1], 0x0
	v_add_lshl_u32 v4, v3, v0, 2
	v_mov_b32_e32 v2, 0
	v_cmp_gt_i32_e64 s[0:1], s10, v1
	v_cmp_gt_i32_e32 vcc, s10, v0
	ds_write2st64_b32 v4, v2, v2 offset1:16
	s_and_b64 s[0:1], s[0:1], vcc
	v_lshlrev_b32_e32 v2, 2, v0
	s_waitcnt lgkmcnt(0)
	s_barrier
	s_and_saveexec_b64 s[26:27], s[0:1]
	s_cbranch_execz .LBB148_3
; %bb.2:
	v_mad_u64_u32 v[5:6], s[0:1], s14, v1, 0
	s_lshl_b64 s[0:1], s[16:17], 2
	s_add_u32 s0, s24, s0
	v_mad_u64_u32 v[6:7], s[14:15], s15, v1, v[6:7]
	s_addc_u32 s1, s25, s1
	v_mov_b32_e32 v7, s1
	v_lshlrev_b64 v[5:6], 2, v[5:6]
	v_add_co_u32_e64 v5, s[0:1], s0, v5
	v_addc_co_u32_e64 v6, s[0:1], v7, v6, s[0:1]
	v_add_co_u32_e64 v5, s[0:1], v5, v2
	v_addc_co_u32_e64 v6, s[0:1], 0, v6, s[0:1]
	flat_load_dword v5, v[5:6]
	v_lshlrev_b32_e32 v6, 2, v1
	v_lshl_add_u32 v6, v0, 7, v6
	s_waitcnt vmcnt(0) lgkmcnt(0)
	ds_write_b32 v6, v5
.LBB148_3:
	s_or_b64 exec, exec, s[26:27]
	s_add_i32 s0, s11, -1
	s_ashr_i32 s1, s0, 31
	s_lshr_b32 s1, s1, 27
	s_add_i32 s0, s0, s1
	s_ashr_i32 s1, s0, 5
	s_andn2_b32 s0, s0, 31
	s_sub_i32 s0, s11, s0
	s_cmp_ge_i32 s6, s1
	s_cselect_b32 s0, s0, 32
	s_lshl_b32 s10, s6, 5
	v_cmp_gt_i32_e64 s[0:1], s0, v1
	s_ashr_i32 s11, s10, 31
	s_and_b64 s[0:1], vcc, s[0:1]
	s_and_saveexec_b64 s[6:7], s[0:1]
	s_cbranch_execz .LBB148_5
; %bb.4:
	s_lshl_b64 s[14:15], s[22:23], 2
	s_add_u32 s18, s18, s14
	s_addc_u32 s19, s19, s15
	s_mul_i32 s14, s20, s11
	s_mul_hi_u32 s15, s20, s10
	s_add_i32 s16, s15, s14
	v_mad_u64_u32 v[5:6], s[14:15], s20, v1, 0
	s_mul_i32 s14, s21, s10
	s_add_i32 s15, s16, s14
	v_mad_u64_u32 v[6:7], s[16:17], s21, v1, v[6:7]
	s_mul_i32 s14, s20, s10
	s_lshl_b64 s[14:15], s[14:15], 2
	s_add_u32 s14, s18, s14
	v_lshlrev_b64 v[5:6], 2, v[5:6]
	s_addc_u32 s15, s19, s15
	v_mov_b32_e32 v7, s15
	v_add_co_u32_e32 v5, vcc, s14, v5
	v_addc_co_u32_e32 v6, vcc, v7, v6, vcc
	v_add_co_u32_e32 v5, vcc, v5, v2
	v_addc_co_u32_e32 v6, vcc, 0, v6, vcc
	flat_load_dword v5, v[5:6]
	v_add_u32_e32 v6, 0x1000, v4
	s_waitcnt vmcnt(0) lgkmcnt(0)
	ds_write_b32 v6, v5
.LBB148_5:
	s_or_b64 exec, exec, s[6:7]
	s_cmpk_eq_i32 s9, 0x84
	s_cselect_b64 s[6:7], -1, 0
	v_cmp_eq_u32_e32 vcc, v1, v0
	s_and_b64 s[14:15], vcc, s[6:7]
	s_and_saveexec_b64 s[6:7], s[14:15]
; %bb.6:
	v_mov_b32_e32 v5, 1.0
	ds_write_b32 v4, v5
; %bb.7:
	s_or_b64 exec, exec, s[6:7]
	s_cmpk_lg_i32 s8, 0x7a
	s_waitcnt lgkmcnt(0)
	s_barrier
	s_cbranch_scc0 .LBB148_9
; %bb.8:
	v_cmp_lt_u32_e32 vcc, v0, v1
	s_and_b64 s[6:7], vcc, exec
	s_cbranch_execz .LBB148_10
	s_branch .LBB148_11
.LBB148_9:
	s_mov_b64 s[6:7], 0
.LBB148_10:
	v_cmp_gt_u32_e32 vcc, v0, v1
	s_andn2_b64 s[6:7], s[6:7], exec
	s_and_b64 s[8:9], vcc, exec
	s_or_b64 s[6:7], s[6:7], s[8:9]
.LBB148_11:
	s_and_saveexec_b64 s[8:9], s[6:7]
; %bb.12:
	v_mov_b32_e32 v0, 0
	ds_write_b32 v4, v0
; %bb.13:
	s_or_b64 exec, exec, s[8:9]
	s_waitcnt lgkmcnt(0)
	s_barrier
	s_and_saveexec_b64 s[6:7], s[0:1]
	s_cbranch_execz .LBB148_15
; %bb.14:
	ds_read2_b32 v[19:20], v2 offset1:32
	v_lshlrev_b32_e32 v0, 2, v3
	ds_read_b128 v[3:6], v0 offset:4096
	ds_read_b128 v[7:10], v0 offset:4112
	ds_read2_b32 v[21:22], v2 offset0:64 offset1:96
	ds_read_b128 v[11:14], v0 offset:4128
	ds_read_b128 v[15:18], v0 offset:4144
	ds_read2_b32 v[23:24], v2 offset0:128 offset1:160
	s_load_dwordx2 s[0:1], s[4:5], 0x60
	s_waitcnt lgkmcnt(0)
	v_fma_f32 v19, v19, v3, 0
	v_fmac_f32_e32 v19, v20, v4
	ds_read2_b32 v[3:4], v2 offset0:192 offset1:224
	v_fmac_f32_e32 v19, v21, v5
	v_fmac_f32_e32 v19, v22, v6
	;; [unrolled: 1-line block ×3, first 2 shown]
	v_add_u32_e32 v20, 0x400, v2
	ds_read2_b32 v[5:6], v20 offset1:32
	v_fmac_f32_e32 v19, v24, v8
	s_waitcnt lgkmcnt(1)
	v_fmac_f32_e32 v19, v3, v9
	v_fmac_f32_e32 v19, v4, v10
	ds_read2_b32 v[3:4], v20 offset0:64 offset1:96
	ds_read2_b32 v[7:8], v20 offset0:128 offset1:160
	s_waitcnt lgkmcnt(2)
	v_fmac_f32_e32 v19, v5, v11
	v_fmac_f32_e32 v19, v6, v12
	ds_read2_b32 v[9:10], v20 offset0:192 offset1:224
	s_waitcnt lgkmcnt(2)
	v_fmac_f32_e32 v19, v3, v13
	v_fmac_f32_e32 v19, v4, v14
	s_waitcnt lgkmcnt(1)
	v_fmac_f32_e32 v19, v7, v15
	v_fmac_f32_e32 v19, v8, v16
	s_waitcnt lgkmcnt(0)
	v_fmac_f32_e32 v19, v9, v17
	v_add_u32_e32 v17, 0x800, v2
	ds_read2_b32 v[11:12], v17 offset1:32
	ds_read_b128 v[3:6], v0 offset:4160
	v_fmac_f32_e32 v19, v10, v18
	ds_read2_b32 v[13:14], v17 offset0:64 offset1:96
	ds_read2_b32 v[15:16], v17 offset0:128 offset1:160
	ds_read_b128 v[7:10], v0 offset:4176
	s_lshl_b64 s[0:1], s[0:1], 2
	s_mul_i32 s4, s2, s11
	s_waitcnt lgkmcnt(3)
	v_fmac_f32_e32 v19, v11, v3
	v_fmac_f32_e32 v19, v12, v4
	s_waitcnt lgkmcnt(2)
	v_fmac_f32_e32 v19, v13, v5
	ds_read2_b32 v[11:12], v17 offset0:192 offset1:224
	v_fmac_f32_e32 v19, v14, v6
	s_waitcnt lgkmcnt(1)
	v_fmac_f32_e32 v19, v15, v7
	v_add_u32_e32 v15, 0xc00, v2
	ds_read2_b32 v[13:14], v15 offset1:32
	ds_read_b128 v[3:6], v0 offset:4192
	v_fmac_f32_e32 v19, v16, v8
	s_waitcnt lgkmcnt(2)
	v_fmac_f32_e32 v19, v11, v9
	s_mul_hi_u32 s5, s2, s10
	s_add_u32 s7, s12, s0
	v_fmac_f32_e32 v19, v12, v10
	ds_read2_b32 v[11:12], v15 offset0:64 offset1:96
	ds_read_b128 v[7:10], v0 offset:4208
	s_mul_i32 s6, s3, s10
	s_addc_u32 s8, s13, s1
	s_add_i32 s0, s5, s4
	s_add_i32 s1, s0, s6
	s_mul_i32 s0, s2, s10
	s_waitcnt lgkmcnt(2)
	v_fmac_f32_e32 v19, v13, v3
	s_lshl_b64 s[0:1], s[0:1], 2
	v_fmac_f32_e32 v19, v14, v4
	s_add_u32 s4, s7, s0
	s_waitcnt lgkmcnt(1)
	v_fmac_f32_e32 v19, v11, v5
	s_addc_u32 s5, s8, s1
	v_fmac_f32_e32 v19, v12, v6
	v_mad_u64_u32 v[5:6], s[0:1], s2, v1, 0
	ds_read2_b32 v[3:4], v15 offset0:128 offset1:160
	ds_read2_b32 v[11:12], v15 offset0:192 offset1:224
	v_mov_b32_e32 v0, v6
	v_mad_u64_u32 v[0:1], s[0:1], s3, v1, v[0:1]
	s_waitcnt lgkmcnt(1)
	v_fmac_f32_e32 v19, v3, v7
	v_fmac_f32_e32 v19, v4, v8
	v_mov_b32_e32 v6, v0
	v_lshlrev_b64 v[0:1], 2, v[5:6]
	v_mov_b32_e32 v4, s5
	v_add_co_u32_e32 v0, vcc, s4, v0
	s_waitcnt lgkmcnt(0)
	v_fmac_f32_e32 v19, v11, v9
	v_addc_co_u32_e32 v1, vcc, v4, v1, vcc
	v_fmac_f32_e32 v19, v12, v10
	v_add_co_u32_e32 v0, vcc, v0, v2
	v_mul_f32_e32 v3, s28, v19
	v_addc_co_u32_e32 v1, vcc, 0, v1, vcc
	flat_store_dword v[0:1], v3
.LBB148_15:
	s_endpgm
	.section	.rodata,"a",@progbits
	.p2align	6, 0x0
	.amdhsa_kernel _ZL23rocblas_trmm_lTx_kernelILi32ELb1EfPKfKS1_KPfEv13rocblas_fill_17rocblas_diagonal_iiT2_lPT3_llS9_llPT4_lli
		.amdhsa_group_segment_fixed_size 8192
		.amdhsa_private_segment_fixed_size 0
		.amdhsa_kernarg_size 108
		.amdhsa_user_sgpr_count 6
		.amdhsa_user_sgpr_private_segment_buffer 1
		.amdhsa_user_sgpr_dispatch_ptr 0
		.amdhsa_user_sgpr_queue_ptr 0
		.amdhsa_user_sgpr_kernarg_segment_ptr 1
		.amdhsa_user_sgpr_dispatch_id 0
		.amdhsa_user_sgpr_flat_scratch_init 0
		.amdhsa_user_sgpr_private_segment_size 0
		.amdhsa_uses_dynamic_stack 0
		.amdhsa_system_sgpr_private_segment_wavefront_offset 0
		.amdhsa_system_sgpr_workgroup_id_x 1
		.amdhsa_system_sgpr_workgroup_id_y 0
		.amdhsa_system_sgpr_workgroup_id_z 1
		.amdhsa_system_sgpr_workgroup_info 0
		.amdhsa_system_vgpr_workitem_id 1
		.amdhsa_next_free_vgpr 29
		.amdhsa_next_free_sgpr 61
		.amdhsa_reserve_vcc 1
		.amdhsa_reserve_flat_scratch 0
		.amdhsa_float_round_mode_32 0
		.amdhsa_float_round_mode_16_64 0
		.amdhsa_float_denorm_mode_32 3
		.amdhsa_float_denorm_mode_16_64 3
		.amdhsa_dx10_clamp 1
		.amdhsa_ieee_mode 1
		.amdhsa_fp16_overflow 0
		.amdhsa_exception_fp_ieee_invalid_op 0
		.amdhsa_exception_fp_denorm_src 0
		.amdhsa_exception_fp_ieee_div_zero 0
		.amdhsa_exception_fp_ieee_overflow 0
		.amdhsa_exception_fp_ieee_underflow 0
		.amdhsa_exception_fp_ieee_inexact 0
		.amdhsa_exception_int_div_zero 0
	.end_amdhsa_kernel
	.section	.text._ZL23rocblas_trmm_lTx_kernelILi32ELb1EfPKfKS1_KPfEv13rocblas_fill_17rocblas_diagonal_iiT2_lPT3_llS9_llPT4_lli,"axG",@progbits,_ZL23rocblas_trmm_lTx_kernelILi32ELb1EfPKfKS1_KPfEv13rocblas_fill_17rocblas_diagonal_iiT2_lPT3_llS9_llPT4_lli,comdat
.Lfunc_end148:
	.size	_ZL23rocblas_trmm_lTx_kernelILi32ELb1EfPKfKS1_KPfEv13rocblas_fill_17rocblas_diagonal_iiT2_lPT3_llS9_llPT4_lli, .Lfunc_end148-_ZL23rocblas_trmm_lTx_kernelILi32ELb1EfPKfKS1_KPfEv13rocblas_fill_17rocblas_diagonal_iiT2_lPT3_llS9_llPT4_lli
                                        ; -- End function
	.set _ZL23rocblas_trmm_lTx_kernelILi32ELb1EfPKfKS1_KPfEv13rocblas_fill_17rocblas_diagonal_iiT2_lPT3_llS9_llPT4_lli.num_vgpr, 25
	.set _ZL23rocblas_trmm_lTx_kernelILi32ELb1EfPKfKS1_KPfEv13rocblas_fill_17rocblas_diagonal_iiT2_lPT3_llS9_llPT4_lli.num_agpr, 0
	.set _ZL23rocblas_trmm_lTx_kernelILi32ELb1EfPKfKS1_KPfEv13rocblas_fill_17rocblas_diagonal_iiT2_lPT3_llS9_llPT4_lli.numbered_sgpr, 29
	.set _ZL23rocblas_trmm_lTx_kernelILi32ELb1EfPKfKS1_KPfEv13rocblas_fill_17rocblas_diagonal_iiT2_lPT3_llS9_llPT4_lli.num_named_barrier, 0
	.set _ZL23rocblas_trmm_lTx_kernelILi32ELb1EfPKfKS1_KPfEv13rocblas_fill_17rocblas_diagonal_iiT2_lPT3_llS9_llPT4_lli.private_seg_size, 0
	.set _ZL23rocblas_trmm_lTx_kernelILi32ELb1EfPKfKS1_KPfEv13rocblas_fill_17rocblas_diagonal_iiT2_lPT3_llS9_llPT4_lli.uses_vcc, 1
	.set _ZL23rocblas_trmm_lTx_kernelILi32ELb1EfPKfKS1_KPfEv13rocblas_fill_17rocblas_diagonal_iiT2_lPT3_llS9_llPT4_lli.uses_flat_scratch, 0
	.set _ZL23rocblas_trmm_lTx_kernelILi32ELb1EfPKfKS1_KPfEv13rocblas_fill_17rocblas_diagonal_iiT2_lPT3_llS9_llPT4_lli.has_dyn_sized_stack, 0
	.set _ZL23rocblas_trmm_lTx_kernelILi32ELb1EfPKfKS1_KPfEv13rocblas_fill_17rocblas_diagonal_iiT2_lPT3_llS9_llPT4_lli.has_recursion, 0
	.set _ZL23rocblas_trmm_lTx_kernelILi32ELb1EfPKfKS1_KPfEv13rocblas_fill_17rocblas_diagonal_iiT2_lPT3_llS9_llPT4_lli.has_indirect_call, 0
	.section	.AMDGPU.csdata,"",@progbits
; Kernel info:
; codeLenInByte = 1160
; TotalNumSgprs: 33
; NumVgprs: 25
; ScratchSize: 0
; MemoryBound: 0
; FloatMode: 240
; IeeeMode: 1
; LDSByteSize: 8192 bytes/workgroup (compile time only)
; SGPRBlocks: 8
; VGPRBlocks: 7
; NumSGPRsForWavesPerEU: 65
; NumVGPRsForWavesPerEU: 29
; Occupancy: 8
; WaveLimiterHint : 1
; COMPUTE_PGM_RSRC2:SCRATCH_EN: 0
; COMPUTE_PGM_RSRC2:USER_SGPR: 6
; COMPUTE_PGM_RSRC2:TRAP_HANDLER: 0
; COMPUTE_PGM_RSRC2:TGID_X_EN: 1
; COMPUTE_PGM_RSRC2:TGID_Y_EN: 0
; COMPUTE_PGM_RSRC2:TGID_Z_EN: 1
; COMPUTE_PGM_RSRC2:TIDIG_COMP_CNT: 1
	.section	.text._ZL23rocblas_trmm_lTx_kernelILi32ELb1EffKPKfKPfEv13rocblas_fill_17rocblas_diagonal_iiT2_lPT3_llS9_llPT4_lli,"axG",@progbits,_ZL23rocblas_trmm_lTx_kernelILi32ELb1EffKPKfKPfEv13rocblas_fill_17rocblas_diagonal_iiT2_lPT3_llS9_llPT4_lli,comdat
	.globl	_ZL23rocblas_trmm_lTx_kernelILi32ELb1EffKPKfKPfEv13rocblas_fill_17rocblas_diagonal_iiT2_lPT3_llS9_llPT4_lli ; -- Begin function _ZL23rocblas_trmm_lTx_kernelILi32ELb1EffKPKfKPfEv13rocblas_fill_17rocblas_diagonal_iiT2_lPT3_llS9_llPT4_lli
	.p2align	8
	.type	_ZL23rocblas_trmm_lTx_kernelILi32ELb1EffKPKfKPfEv13rocblas_fill_17rocblas_diagonal_iiT2_lPT3_llS9_llPT4_lli,@function
_ZL23rocblas_trmm_lTx_kernelILi32ELb1EffKPKfKPfEv13rocblas_fill_17rocblas_diagonal_iiT2_lPT3_llS9_llPT4_lli: ; @_ZL23rocblas_trmm_lTx_kernelILi32ELb1EffKPKfKPfEv13rocblas_fill_17rocblas_diagonal_iiT2_lPT3_llS9_llPT4_lli
; %bb.0:
	s_load_dword s30, s[4:5], 0x10
	s_mov_b32 s1, 0
	s_waitcnt lgkmcnt(0)
	v_cmp_eq_f32_e64 s[2:3], s30, 0
	s_and_b64 vcc, exec, s[2:3]
	s_cbranch_vccnz .LBB149_15
; %bb.1:
	s_load_dwordx16 s[8:23], s[4:5], 0x20
	s_load_dwordx4 s[24:27], s[4:5], 0x0
	s_mov_b32 s0, s7
	s_lshl_b64 s[0:1], s[0:1], 3
	v_lshlrev_b32_e32 v3, 5, v1
	s_waitcnt lgkmcnt(0)
	s_add_u32 s2, s8, s0
	s_addc_u32 s3, s9, s1
	s_load_dwordx2 s[28:29], s[2:3], 0x0
	s_add_u32 s2, s14, s0
	s_addc_u32 s3, s15, s1
	s_add_u32 s0, s20, s0
	s_addc_u32 s1, s21, s1
	s_load_dwordx2 s[8:9], s[2:3], 0x0
	v_add_lshl_u32 v4, v3, v0, 2
	s_load_dwordx2 s[2:3], s[0:1], 0x0
	v_mov_b32_e32 v2, 0
	v_cmp_gt_i32_e64 s[0:1], s26, v1
	v_cmp_gt_i32_e32 vcc, s26, v0
	ds_write2st64_b32 v4, v2, v2 offset1:16
	s_and_b64 s[0:1], s[0:1], vcc
	v_lshlrev_b32_e32 v2, 2, v0
	s_waitcnt lgkmcnt(0)
	s_barrier
	s_and_saveexec_b64 s[14:15], s[0:1]
	s_cbranch_execz .LBB149_3
; %bb.2:
	v_mad_u64_u32 v[5:6], s[0:1], s10, v1, 0
	s_lshl_b64 s[0:1], s[12:13], 2
	s_add_u32 s0, s28, s0
	v_mad_u64_u32 v[6:7], s[10:11], s11, v1, v[6:7]
	s_addc_u32 s1, s29, s1
	v_mov_b32_e32 v7, s1
	v_lshlrev_b64 v[5:6], 2, v[5:6]
	v_add_co_u32_e64 v5, s[0:1], s0, v5
	v_addc_co_u32_e64 v6, s[0:1], v7, v6, s[0:1]
	v_add_co_u32_e64 v5, s[0:1], v5, v2
	v_addc_co_u32_e64 v6, s[0:1], 0, v6, s[0:1]
	flat_load_dword v5, v[5:6]
	v_lshlrev_b32_e32 v6, 2, v1
	v_lshl_add_u32 v6, v0, 7, v6
	s_waitcnt vmcnt(0) lgkmcnt(0)
	ds_write_b32 v6, v5
.LBB149_3:
	s_or_b64 exec, exec, s[14:15]
	s_add_i32 s0, s27, -1
	s_ashr_i32 s1, s0, 31
	s_lshr_b32 s1, s1, 27
	s_add_i32 s0, s0, s1
	s_ashr_i32 s1, s0, 5
	s_andn2_b32 s0, s0, 31
	s_sub_i32 s0, s27, s0
	s_cmp_ge_i32 s6, s1
	s_cselect_b32 s0, s0, 32
	s_lshl_b32 s10, s6, 5
	v_cmp_gt_i32_e64 s[0:1], s0, v1
	s_ashr_i32 s11, s10, 31
	s_and_b64 s[0:1], vcc, s[0:1]
	s_and_saveexec_b64 s[6:7], s[0:1]
	s_cbranch_execz .LBB149_5
; %bb.4:
	s_lshl_b64 s[12:13], s[18:19], 2
	s_add_u32 s14, s8, s12
	s_addc_u32 s15, s9, s13
	s_mul_i32 s8, s16, s11
	s_mul_hi_u32 s9, s16, s10
	s_add_i32 s12, s9, s8
	v_mad_u64_u32 v[5:6], s[8:9], s16, v1, 0
	s_mul_i32 s8, s17, s10
	s_add_i32 s9, s12, s8
	v_mad_u64_u32 v[6:7], s[12:13], s17, v1, v[6:7]
	s_mul_i32 s8, s16, s10
	s_lshl_b64 s[8:9], s[8:9], 2
	s_add_u32 s8, s14, s8
	v_lshlrev_b64 v[5:6], 2, v[5:6]
	s_addc_u32 s9, s15, s9
	v_mov_b32_e32 v7, s9
	v_add_co_u32_e32 v5, vcc, s8, v5
	v_addc_co_u32_e32 v6, vcc, v7, v6, vcc
	v_add_co_u32_e32 v5, vcc, v5, v2
	v_addc_co_u32_e32 v6, vcc, 0, v6, vcc
	flat_load_dword v5, v[5:6]
	v_add_u32_e32 v6, 0x1000, v4
	s_waitcnt vmcnt(0) lgkmcnt(0)
	ds_write_b32 v6, v5
.LBB149_5:
	s_or_b64 exec, exec, s[6:7]
	s_cmpk_eq_i32 s25, 0x84
	s_cselect_b64 s[6:7], -1, 0
	v_cmp_eq_u32_e32 vcc, v1, v0
	s_and_b64 s[8:9], vcc, s[6:7]
	s_and_saveexec_b64 s[6:7], s[8:9]
; %bb.6:
	v_mov_b32_e32 v5, 1.0
	ds_write_b32 v4, v5
; %bb.7:
	s_or_b64 exec, exec, s[6:7]
	s_cmpk_lg_i32 s24, 0x7a
	s_waitcnt lgkmcnt(0)
	s_barrier
	s_cbranch_scc0 .LBB149_9
; %bb.8:
	v_cmp_lt_u32_e32 vcc, v0, v1
	s_and_b64 s[6:7], vcc, exec
	s_cbranch_execz .LBB149_10
	s_branch .LBB149_11
.LBB149_9:
	s_mov_b64 s[6:7], 0
.LBB149_10:
	v_cmp_gt_u32_e32 vcc, v0, v1
	s_andn2_b64 s[6:7], s[6:7], exec
	s_and_b64 s[8:9], vcc, exec
	s_or_b64 s[6:7], s[6:7], s[8:9]
.LBB149_11:
	s_and_saveexec_b64 s[8:9], s[6:7]
; %bb.12:
	v_mov_b32_e32 v0, 0
	ds_write_b32 v4, v0
; %bb.13:
	s_or_b64 exec, exec, s[8:9]
	s_waitcnt lgkmcnt(0)
	s_barrier
	s_and_saveexec_b64 s[6:7], s[0:1]
	s_cbranch_execz .LBB149_15
; %bb.14:
	ds_read2_b32 v[19:20], v2 offset1:32
	v_lshlrev_b32_e32 v0, 2, v3
	ds_read_b128 v[3:6], v0 offset:4096
	ds_read_b128 v[7:10], v0 offset:4112
	ds_read2_b32 v[21:22], v2 offset0:64 offset1:96
	ds_read_b128 v[11:14], v0 offset:4128
	ds_read_b128 v[15:18], v0 offset:4144
	ds_read2_b32 v[23:24], v2 offset0:128 offset1:160
	s_load_dwordx2 s[0:1], s[4:5], 0x60
	s_waitcnt lgkmcnt(0)
	v_fma_f32 v19, v19, v3, 0
	v_fmac_f32_e32 v19, v20, v4
	ds_read2_b32 v[3:4], v2 offset0:192 offset1:224
	v_fmac_f32_e32 v19, v21, v5
	v_fmac_f32_e32 v19, v22, v6
	;; [unrolled: 1-line block ×3, first 2 shown]
	v_add_u32_e32 v20, 0x400, v2
	ds_read2_b32 v[5:6], v20 offset1:32
	v_fmac_f32_e32 v19, v24, v8
	s_waitcnt lgkmcnt(1)
	v_fmac_f32_e32 v19, v3, v9
	v_fmac_f32_e32 v19, v4, v10
	ds_read2_b32 v[3:4], v20 offset0:64 offset1:96
	ds_read2_b32 v[7:8], v20 offset0:128 offset1:160
	s_waitcnt lgkmcnt(2)
	v_fmac_f32_e32 v19, v5, v11
	v_fmac_f32_e32 v19, v6, v12
	ds_read2_b32 v[9:10], v20 offset0:192 offset1:224
	s_waitcnt lgkmcnt(2)
	v_fmac_f32_e32 v19, v3, v13
	v_fmac_f32_e32 v19, v4, v14
	s_waitcnt lgkmcnt(1)
	v_fmac_f32_e32 v19, v7, v15
	v_fmac_f32_e32 v19, v8, v16
	s_waitcnt lgkmcnt(0)
	v_fmac_f32_e32 v19, v9, v17
	v_add_u32_e32 v17, 0x800, v2
	ds_read2_b32 v[11:12], v17 offset1:32
	ds_read_b128 v[3:6], v0 offset:4160
	v_fmac_f32_e32 v19, v10, v18
	ds_read2_b32 v[13:14], v17 offset0:64 offset1:96
	ds_read2_b32 v[15:16], v17 offset0:128 offset1:160
	ds_read_b128 v[7:10], v0 offset:4176
	s_lshl_b64 s[0:1], s[0:1], 2
	s_mul_i32 s4, s22, s11
	s_waitcnt lgkmcnt(3)
	v_fmac_f32_e32 v19, v11, v3
	v_fmac_f32_e32 v19, v12, v4
	s_waitcnt lgkmcnt(2)
	v_fmac_f32_e32 v19, v13, v5
	ds_read2_b32 v[11:12], v17 offset0:192 offset1:224
	v_fmac_f32_e32 v19, v14, v6
	s_waitcnt lgkmcnt(1)
	v_fmac_f32_e32 v19, v15, v7
	v_add_u32_e32 v15, 0xc00, v2
	ds_read2_b32 v[13:14], v15 offset1:32
	ds_read_b128 v[3:6], v0 offset:4192
	v_fmac_f32_e32 v19, v16, v8
	s_waitcnt lgkmcnt(2)
	v_fmac_f32_e32 v19, v11, v9
	s_mul_hi_u32 s5, s22, s10
	s_add_u32 s2, s2, s0
	v_fmac_f32_e32 v19, v12, v10
	ds_read2_b32 v[11:12], v15 offset0:64 offset1:96
	ds_read_b128 v[7:10], v0 offset:4208
	s_mul_i32 s6, s23, s10
	s_addc_u32 s3, s3, s1
	s_add_i32 s0, s5, s4
	s_add_i32 s1, s0, s6
	s_mul_i32 s0, s22, s10
	s_waitcnt lgkmcnt(2)
	v_fmac_f32_e32 v19, v13, v3
	s_lshl_b64 s[0:1], s[0:1], 2
	v_fmac_f32_e32 v19, v14, v4
	s_add_u32 s2, s2, s0
	s_waitcnt lgkmcnt(1)
	v_fmac_f32_e32 v19, v11, v5
	s_addc_u32 s3, s3, s1
	v_fmac_f32_e32 v19, v12, v6
	v_mad_u64_u32 v[5:6], s[0:1], s22, v1, 0
	ds_read2_b32 v[3:4], v15 offset0:128 offset1:160
	ds_read2_b32 v[11:12], v15 offset0:192 offset1:224
	v_mov_b32_e32 v0, v6
	v_mad_u64_u32 v[0:1], s[0:1], s23, v1, v[0:1]
	s_waitcnt lgkmcnt(1)
	v_fmac_f32_e32 v19, v3, v7
	v_fmac_f32_e32 v19, v4, v8
	v_mov_b32_e32 v6, v0
	v_lshlrev_b64 v[0:1], 2, v[5:6]
	v_mov_b32_e32 v4, s3
	v_add_co_u32_e32 v0, vcc, s2, v0
	s_waitcnt lgkmcnt(0)
	v_fmac_f32_e32 v19, v11, v9
	v_addc_co_u32_e32 v1, vcc, v4, v1, vcc
	v_fmac_f32_e32 v19, v12, v10
	v_add_co_u32_e32 v0, vcc, v0, v2
	v_mul_f32_e32 v3, s30, v19
	v_addc_co_u32_e32 v1, vcc, 0, v1, vcc
	flat_store_dword v[0:1], v3
.LBB149_15:
	s_endpgm
	.section	.rodata,"a",@progbits
	.p2align	6, 0x0
	.amdhsa_kernel _ZL23rocblas_trmm_lTx_kernelILi32ELb1EffKPKfKPfEv13rocblas_fill_17rocblas_diagonal_iiT2_lPT3_llS9_llPT4_lli
		.amdhsa_group_segment_fixed_size 8192
		.amdhsa_private_segment_fixed_size 0
		.amdhsa_kernarg_size 108
		.amdhsa_user_sgpr_count 6
		.amdhsa_user_sgpr_private_segment_buffer 1
		.amdhsa_user_sgpr_dispatch_ptr 0
		.amdhsa_user_sgpr_queue_ptr 0
		.amdhsa_user_sgpr_kernarg_segment_ptr 1
		.amdhsa_user_sgpr_dispatch_id 0
		.amdhsa_user_sgpr_flat_scratch_init 0
		.amdhsa_user_sgpr_private_segment_size 0
		.amdhsa_uses_dynamic_stack 0
		.amdhsa_system_sgpr_private_segment_wavefront_offset 0
		.amdhsa_system_sgpr_workgroup_id_x 1
		.amdhsa_system_sgpr_workgroup_id_y 0
		.amdhsa_system_sgpr_workgroup_id_z 1
		.amdhsa_system_sgpr_workgroup_info 0
		.amdhsa_system_vgpr_workitem_id 1
		.amdhsa_next_free_vgpr 29
		.amdhsa_next_free_sgpr 61
		.amdhsa_reserve_vcc 1
		.amdhsa_reserve_flat_scratch 0
		.amdhsa_float_round_mode_32 0
		.amdhsa_float_round_mode_16_64 0
		.amdhsa_float_denorm_mode_32 3
		.amdhsa_float_denorm_mode_16_64 3
		.amdhsa_dx10_clamp 1
		.amdhsa_ieee_mode 1
		.amdhsa_fp16_overflow 0
		.amdhsa_exception_fp_ieee_invalid_op 0
		.amdhsa_exception_fp_denorm_src 0
		.amdhsa_exception_fp_ieee_div_zero 0
		.amdhsa_exception_fp_ieee_overflow 0
		.amdhsa_exception_fp_ieee_underflow 0
		.amdhsa_exception_fp_ieee_inexact 0
		.amdhsa_exception_int_div_zero 0
	.end_amdhsa_kernel
	.section	.text._ZL23rocblas_trmm_lTx_kernelILi32ELb1EffKPKfKPfEv13rocblas_fill_17rocblas_diagonal_iiT2_lPT3_llS9_llPT4_lli,"axG",@progbits,_ZL23rocblas_trmm_lTx_kernelILi32ELb1EffKPKfKPfEv13rocblas_fill_17rocblas_diagonal_iiT2_lPT3_llS9_llPT4_lli,comdat
.Lfunc_end149:
	.size	_ZL23rocblas_trmm_lTx_kernelILi32ELb1EffKPKfKPfEv13rocblas_fill_17rocblas_diagonal_iiT2_lPT3_llS9_llPT4_lli, .Lfunc_end149-_ZL23rocblas_trmm_lTx_kernelILi32ELb1EffKPKfKPfEv13rocblas_fill_17rocblas_diagonal_iiT2_lPT3_llS9_llPT4_lli
                                        ; -- End function
	.set _ZL23rocblas_trmm_lTx_kernelILi32ELb1EffKPKfKPfEv13rocblas_fill_17rocblas_diagonal_iiT2_lPT3_llS9_llPT4_lli.num_vgpr, 25
	.set _ZL23rocblas_trmm_lTx_kernelILi32ELb1EffKPKfKPfEv13rocblas_fill_17rocblas_diagonal_iiT2_lPT3_llS9_llPT4_lli.num_agpr, 0
	.set _ZL23rocblas_trmm_lTx_kernelILi32ELb1EffKPKfKPfEv13rocblas_fill_17rocblas_diagonal_iiT2_lPT3_llS9_llPT4_lli.numbered_sgpr, 31
	.set _ZL23rocblas_trmm_lTx_kernelILi32ELb1EffKPKfKPfEv13rocblas_fill_17rocblas_diagonal_iiT2_lPT3_llS9_llPT4_lli.num_named_barrier, 0
	.set _ZL23rocblas_trmm_lTx_kernelILi32ELb1EffKPKfKPfEv13rocblas_fill_17rocblas_diagonal_iiT2_lPT3_llS9_llPT4_lli.private_seg_size, 0
	.set _ZL23rocblas_trmm_lTx_kernelILi32ELb1EffKPKfKPfEv13rocblas_fill_17rocblas_diagonal_iiT2_lPT3_llS9_llPT4_lli.uses_vcc, 1
	.set _ZL23rocblas_trmm_lTx_kernelILi32ELb1EffKPKfKPfEv13rocblas_fill_17rocblas_diagonal_iiT2_lPT3_llS9_llPT4_lli.uses_flat_scratch, 0
	.set _ZL23rocblas_trmm_lTx_kernelILi32ELb1EffKPKfKPfEv13rocblas_fill_17rocblas_diagonal_iiT2_lPT3_llS9_llPT4_lli.has_dyn_sized_stack, 0
	.set _ZL23rocblas_trmm_lTx_kernelILi32ELb1EffKPKfKPfEv13rocblas_fill_17rocblas_diagonal_iiT2_lPT3_llS9_llPT4_lli.has_recursion, 0
	.set _ZL23rocblas_trmm_lTx_kernelILi32ELb1EffKPKfKPfEv13rocblas_fill_17rocblas_diagonal_iiT2_lPT3_llS9_llPT4_lli.has_indirect_call, 0
	.section	.AMDGPU.csdata,"",@progbits
; Kernel info:
; codeLenInByte = 1120
; TotalNumSgprs: 35
; NumVgprs: 25
; ScratchSize: 0
; MemoryBound: 0
; FloatMode: 240
; IeeeMode: 1
; LDSByteSize: 8192 bytes/workgroup (compile time only)
; SGPRBlocks: 8
; VGPRBlocks: 7
; NumSGPRsForWavesPerEU: 65
; NumVGPRsForWavesPerEU: 29
; Occupancy: 8
; WaveLimiterHint : 1
; COMPUTE_PGM_RSRC2:SCRATCH_EN: 0
; COMPUTE_PGM_RSRC2:USER_SGPR: 6
; COMPUTE_PGM_RSRC2:TRAP_HANDLER: 0
; COMPUTE_PGM_RSRC2:TGID_X_EN: 1
; COMPUTE_PGM_RSRC2:TGID_Y_EN: 0
; COMPUTE_PGM_RSRC2:TGID_Z_EN: 1
; COMPUTE_PGM_RSRC2:TIDIG_COMP_CNT: 1
	.section	.text._ZL23rocblas_trmm_rNx_kernelILi32EfPKfKS1_KPfEv13rocblas_fill_17rocblas_diagonal_iiT1_lPT2_llS9_llPT3_lli,"axG",@progbits,_ZL23rocblas_trmm_rNx_kernelILi32EfPKfKS1_KPfEv13rocblas_fill_17rocblas_diagonal_iiT1_lPT2_llS9_llPT3_lli,comdat
	.globl	_ZL23rocblas_trmm_rNx_kernelILi32EfPKfKS1_KPfEv13rocblas_fill_17rocblas_diagonal_iiT1_lPT2_llS9_llPT3_lli ; -- Begin function _ZL23rocblas_trmm_rNx_kernelILi32EfPKfKS1_KPfEv13rocblas_fill_17rocblas_diagonal_iiT1_lPT2_llS9_llPT3_lli
	.p2align	8
	.type	_ZL23rocblas_trmm_rNx_kernelILi32EfPKfKS1_KPfEv13rocblas_fill_17rocblas_diagonal_iiT1_lPT2_llS9_llPT3_lli,@function
_ZL23rocblas_trmm_rNx_kernelILi32EfPKfKS1_KPfEv13rocblas_fill_17rocblas_diagonal_iiT1_lPT2_llS9_llPT3_lli: ; @_ZL23rocblas_trmm_rNx_kernelILi32EfPKfKS1_KPfEv13rocblas_fill_17rocblas_diagonal_iiT1_lPT2_llS9_llPT3_lli
; %bb.0:
	s_load_dwordx16 s[8:23], s[4:5], 0x10
	s_waitcnt lgkmcnt(0)
	s_mul_i32 s0, s11, s7
	s_mul_hi_u32 s1, s10, s7
	s_add_i32 s1, s1, s0
	s_mul_i32 s0, s10, s7
	s_lshl_b64 s[0:1], s[0:1], 2
	s_add_u32 s0, s8, s0
	s_addc_u32 s1, s9, s1
	s_load_dword s30, s[0:1], 0x0
	s_waitcnt lgkmcnt(0)
	v_cmp_eq_f32_e64 s[0:1], s30, 0
	s_and_b64 vcc, exec, s[0:1]
	s_cbranch_vccnz .LBB150_15
; %bb.1:
	s_load_dwordx4 s[8:11], s[4:5], 0x0
	s_load_dwordx4 s[0:3], s[4:5], 0x50
	s_mov_b32 s24, s7
	s_mov_b32 s25, 0
	s_lshl_b64 s[28:29], s[24:25], 3
	s_add_u32 s18, s18, s28
	s_addc_u32 s19, s19, s29
	s_waitcnt lgkmcnt(0)
	s_add_u32 s0, s0, s28
	s_addc_u32 s1, s1, s29
	s_load_dwordx2 s[24:25], s[18:19], 0x0
	v_lshlrev_b32_e32 v3, 5, v1
	s_load_dwordx2 s[18:19], s[0:1], 0x0
	v_add_lshl_u32 v4, v3, v0, 2
	v_mov_b32_e32 v2, 0
	v_cmp_gt_i32_e32 vcc, s11, v1
	v_cmp_gt_i32_e64 s[0:1], s11, v0
	ds_write2st64_b32 v4, v2, v2 offset1:16
	s_and_b64 s[0:1], vcc, s[0:1]
	v_lshlrev_b32_e32 v2, 2, v0
	s_and_saveexec_b64 s[26:27], s[0:1]
	s_cbranch_execz .LBB150_3
; %bb.2:
	v_mad_u64_u32 v[5:6], s[0:1], s14, v1, 0
	s_add_u32 s0, s12, s28
	s_addc_u32 s1, s13, s29
	s_load_dwordx2 s[0:1], s[0:1], 0x0
	v_mad_u64_u32 v[6:7], s[12:13], s15, v1, v[6:7]
	s_lshl_b64 s[12:13], s[16:17], 2
	s_waitcnt lgkmcnt(0)
	s_add_u32 s0, s0, s12
	v_lshlrev_b64 v[5:6], 2, v[5:6]
	s_addc_u32 s1, s1, s13
	v_mov_b32_e32 v7, s1
	v_add_co_u32_e64 v5, s[0:1], s0, v5
	v_addc_co_u32_e64 v6, s[0:1], v7, v6, s[0:1]
	v_add_co_u32_e64 v5, s[0:1], v5, v2
	v_addc_co_u32_e64 v6, s[0:1], 0, v6, s[0:1]
	flat_load_dword v5, v[5:6]
	s_waitcnt vmcnt(0) lgkmcnt(0)
	ds_write_b32 v4, v5
.LBB150_3:
	s_or_b64 exec, exec, s[26:27]
	s_add_i32 s0, s10, -1
	s_ashr_i32 s1, s0, 31
	s_lshr_b32 s1, s1, 27
	s_add_i32 s0, s0, s1
	s_ashr_i32 s1, s0, 5
	s_andn2_b32 s0, s0, 31
	s_sub_i32 s0, s10, s0
	s_cmp_ge_i32 s6, s1
	s_cselect_b32 s0, s0, 32
	s_lshl_b32 s6, s6, 5
	v_cmp_gt_i32_e64 s[0:1], s0, v0
	s_ashr_i32 s7, s6, 31
	s_and_b64 s[0:1], vcc, s[0:1]
	s_and_saveexec_b64 s[10:11], s[0:1]
	s_cbranch_execz .LBB150_5
; %bb.4:
	v_mad_u64_u32 v[5:6], s[12:13], s20, v1, 0
	s_lshl_b64 s[12:13], s[22:23], 2
	s_waitcnt lgkmcnt(0)
	s_add_u32 s14, s24, s12
	s_addc_u32 s15, s25, s13
	v_mad_u64_u32 v[6:7], s[12:13], s21, v1, v[6:7]
	s_lshl_b64 s[12:13], s[6:7], 2
	s_add_u32 s12, s14, s12
	v_lshlrev_b64 v[5:6], 2, v[5:6]
	s_addc_u32 s13, s15, s13
	v_mov_b32_e32 v7, s13
	v_add_co_u32_e32 v5, vcc, s12, v5
	v_addc_co_u32_e32 v6, vcc, v7, v6, vcc
	v_add_co_u32_e32 v5, vcc, v5, v2
	v_addc_co_u32_e32 v6, vcc, 0, v6, vcc
	flat_load_dword v5, v[5:6]
	v_add_u32_e32 v6, 0x1000, v4
	s_waitcnt vmcnt(0) lgkmcnt(0)
	ds_write_b32 v6, v5
.LBB150_5:
	s_or_b64 exec, exec, s[10:11]
	s_cmpk_eq_i32 s9, 0x84
	s_cselect_b64 s[10:11], -1, 0
	v_cmp_eq_u32_e32 vcc, v1, v0
	s_and_b64 s[12:13], vcc, s[10:11]
	s_and_saveexec_b64 s[10:11], s[12:13]
; %bb.6:
	v_mov_b32_e32 v5, 1.0
	ds_write_b32 v4, v5
; %bb.7:
	s_or_b64 exec, exec, s[10:11]
	s_cmpk_lg_i32 s8, 0x79
	s_cbranch_scc0 .LBB150_9
; %bb.8:
	v_cmp_lt_u32_e32 vcc, v0, v1
	s_and_b64 s[8:9], vcc, exec
	s_cbranch_execz .LBB150_10
	s_branch .LBB150_11
.LBB150_9:
	s_mov_b64 s[8:9], 0
.LBB150_10:
	v_cmp_gt_u32_e32 vcc, v0, v1
	s_andn2_b64 s[8:9], s[8:9], exec
	s_and_b64 s[10:11], vcc, exec
	s_or_b64 s[8:9], s[8:9], s[10:11]
.LBB150_11:
	s_and_saveexec_b64 s[10:11], s[8:9]
; %bb.12:
	v_mov_b32_e32 v0, 0
	ds_write_b32 v4, v0
; %bb.13:
	s_or_b64 exec, exec, s[10:11]
	s_waitcnt lgkmcnt(0)
	s_barrier
	s_and_saveexec_b64 s[8:9], s[0:1]
	s_cbranch_execz .LBB150_15
; %bb.14:
	v_add_u32_e32 v0, 0x1000, v2
	ds_read2_b32 v[19:20], v0 offset1:32
	v_lshlrev_b32_e32 v25, 2, v3
	ds_read_b128 v[3:6], v25
	ds_read_b128 v[7:10], v25 offset:16
	ds_read2_b32 v[21:22], v0 offset0:64 offset1:96
	ds_read_b128 v[11:14], v25 offset:32
	ds_read_b128 v[15:18], v25 offset:48
	ds_read2_b32 v[23:24], v0 offset0:128 offset1:160
	s_load_dwordx2 s[0:1], s[4:5], 0x60
	s_waitcnt lgkmcnt(0)
	v_fma_f32 v19, v19, v3, 0
	v_fmac_f32_e32 v19, v20, v4
	ds_read2_b32 v[3:4], v0 offset0:192 offset1:224
	v_fmac_f32_e32 v19, v21, v5
	v_fmac_f32_e32 v19, v22, v6
	v_fmac_f32_e32 v19, v23, v7
	v_add_u32_e32 v0, 0x1400, v2
	ds_read2_b32 v[5:6], v0 offset1:32
	v_fmac_f32_e32 v19, v24, v8
	s_waitcnt lgkmcnt(1)
	v_fmac_f32_e32 v19, v3, v9
	v_fmac_f32_e32 v19, v4, v10
	ds_read2_b32 v[3:4], v0 offset0:64 offset1:96
	ds_read2_b32 v[7:8], v0 offset0:128 offset1:160
	s_waitcnt lgkmcnt(2)
	v_fmac_f32_e32 v19, v5, v11
	v_fmac_f32_e32 v19, v6, v12
	ds_read2_b32 v[9:10], v0 offset0:192 offset1:224
	s_waitcnt lgkmcnt(2)
	v_fmac_f32_e32 v19, v3, v13
	v_add_u32_e32 v0, 0x1800, v2
	v_fmac_f32_e32 v19, v4, v14
	ds_read2_b32 v[11:12], v0 offset1:32
	ds_read_b128 v[3:6], v25 offset:64
	s_waitcnt lgkmcnt(3)
	v_fmac_f32_e32 v19, v7, v15
	v_fmac_f32_e32 v19, v8, v16
	s_waitcnt lgkmcnt(2)
	v_fmac_f32_e32 v19, v9, v17
	v_fmac_f32_e32 v19, v10, v18
	ds_read2_b32 v[13:14], v0 offset0:64 offset1:96
	ds_read2_b32 v[15:16], v0 offset0:128 offset1:160
	ds_read_b128 v[7:10], v25 offset:80
	s_waitcnt lgkmcnt(3)
	v_fmac_f32_e32 v19, v11, v3
	v_fmac_f32_e32 v19, v12, v4
	ds_read2_b32 v[11:12], v0 offset0:192 offset1:224
	s_waitcnt lgkmcnt(3)
	v_fmac_f32_e32 v19, v13, v5
	v_fmac_f32_e32 v19, v14, v6
	v_add_u32_e32 v0, 0x1c00, v2
	s_waitcnt lgkmcnt(1)
	v_fmac_f32_e32 v19, v15, v7
	ds_read2_b32 v[13:14], v0 offset1:32
	ds_read_b128 v[3:6], v25 offset:96
	v_fmac_f32_e32 v19, v16, v8
	s_waitcnt lgkmcnt(2)
	v_fmac_f32_e32 v19, v11, v9
	v_fmac_f32_e32 v19, v12, v10
	ds_read2_b32 v[11:12], v0 offset0:64 offset1:96
	ds_read_b128 v[7:10], v25 offset:112
	s_lshl_b64 s[0:1], s[0:1], 2
	s_add_u32 s4, s18, s0
	s_waitcnt lgkmcnt(2)
	v_fmac_f32_e32 v19, v13, v3
	s_addc_u32 s5, s19, s1
	s_lshl_b64 s[0:1], s[6:7], 2
	v_fmac_f32_e32 v19, v14, v4
	s_add_u32 s4, s4, s0
	s_waitcnt lgkmcnt(1)
	v_fmac_f32_e32 v19, v11, v5
	s_addc_u32 s5, s5, s1
	v_fmac_f32_e32 v19, v12, v6
	v_mad_u64_u32 v[5:6], s[0:1], s2, v1, 0
	ds_read2_b32 v[3:4], v0 offset0:128 offset1:160
	ds_read2_b32 v[11:12], v0 offset0:192 offset1:224
	v_mov_b32_e32 v0, v6
	v_mad_u64_u32 v[0:1], s[0:1], s3, v1, v[0:1]
	s_waitcnt lgkmcnt(1)
	v_fmac_f32_e32 v19, v3, v7
	v_fmac_f32_e32 v19, v4, v8
	v_mov_b32_e32 v6, v0
	v_lshlrev_b64 v[0:1], 2, v[5:6]
	v_mov_b32_e32 v4, s5
	v_add_co_u32_e32 v0, vcc, s4, v0
	s_waitcnt lgkmcnt(0)
	v_fmac_f32_e32 v19, v11, v9
	v_addc_co_u32_e32 v1, vcc, v4, v1, vcc
	v_fmac_f32_e32 v19, v12, v10
	v_add_co_u32_e32 v0, vcc, v0, v2
	v_mul_f32_e32 v3, s30, v19
	v_addc_co_u32_e32 v1, vcc, 0, v1, vcc
	flat_store_dword v[0:1], v3
.LBB150_15:
	s_endpgm
	.section	.rodata,"a",@progbits
	.p2align	6, 0x0
	.amdhsa_kernel _ZL23rocblas_trmm_rNx_kernelILi32EfPKfKS1_KPfEv13rocblas_fill_17rocblas_diagonal_iiT1_lPT2_llS9_llPT3_lli
		.amdhsa_group_segment_fixed_size 8192
		.amdhsa_private_segment_fixed_size 0
		.amdhsa_kernarg_size 108
		.amdhsa_user_sgpr_count 6
		.amdhsa_user_sgpr_private_segment_buffer 1
		.amdhsa_user_sgpr_dispatch_ptr 0
		.amdhsa_user_sgpr_queue_ptr 0
		.amdhsa_user_sgpr_kernarg_segment_ptr 1
		.amdhsa_user_sgpr_dispatch_id 0
		.amdhsa_user_sgpr_flat_scratch_init 0
		.amdhsa_user_sgpr_private_segment_size 0
		.amdhsa_uses_dynamic_stack 0
		.amdhsa_system_sgpr_private_segment_wavefront_offset 0
		.amdhsa_system_sgpr_workgroup_id_x 1
		.amdhsa_system_sgpr_workgroup_id_y 0
		.amdhsa_system_sgpr_workgroup_id_z 1
		.amdhsa_system_sgpr_workgroup_info 0
		.amdhsa_system_vgpr_workitem_id 1
		.amdhsa_next_free_vgpr 29
		.amdhsa_next_free_sgpr 61
		.amdhsa_reserve_vcc 1
		.amdhsa_reserve_flat_scratch 0
		.amdhsa_float_round_mode_32 0
		.amdhsa_float_round_mode_16_64 0
		.amdhsa_float_denorm_mode_32 3
		.amdhsa_float_denorm_mode_16_64 3
		.amdhsa_dx10_clamp 1
		.amdhsa_ieee_mode 1
		.amdhsa_fp16_overflow 0
		.amdhsa_exception_fp_ieee_invalid_op 0
		.amdhsa_exception_fp_denorm_src 0
		.amdhsa_exception_fp_ieee_div_zero 0
		.amdhsa_exception_fp_ieee_overflow 0
		.amdhsa_exception_fp_ieee_underflow 0
		.amdhsa_exception_fp_ieee_inexact 0
		.amdhsa_exception_int_div_zero 0
	.end_amdhsa_kernel
	.section	.text._ZL23rocblas_trmm_rNx_kernelILi32EfPKfKS1_KPfEv13rocblas_fill_17rocblas_diagonal_iiT1_lPT2_llS9_llPT3_lli,"axG",@progbits,_ZL23rocblas_trmm_rNx_kernelILi32EfPKfKS1_KPfEv13rocblas_fill_17rocblas_diagonal_iiT1_lPT2_llS9_llPT3_lli,comdat
.Lfunc_end150:
	.size	_ZL23rocblas_trmm_rNx_kernelILi32EfPKfKS1_KPfEv13rocblas_fill_17rocblas_diagonal_iiT1_lPT2_llS9_llPT3_lli, .Lfunc_end150-_ZL23rocblas_trmm_rNx_kernelILi32EfPKfKS1_KPfEv13rocblas_fill_17rocblas_diagonal_iiT1_lPT2_llS9_llPT3_lli
                                        ; -- End function
	.set _ZL23rocblas_trmm_rNx_kernelILi32EfPKfKS1_KPfEv13rocblas_fill_17rocblas_diagonal_iiT1_lPT2_llS9_llPT3_lli.num_vgpr, 26
	.set _ZL23rocblas_trmm_rNx_kernelILi32EfPKfKS1_KPfEv13rocblas_fill_17rocblas_diagonal_iiT1_lPT2_llS9_llPT3_lli.num_agpr, 0
	.set _ZL23rocblas_trmm_rNx_kernelILi32EfPKfKS1_KPfEv13rocblas_fill_17rocblas_diagonal_iiT1_lPT2_llS9_llPT3_lli.numbered_sgpr, 31
	.set _ZL23rocblas_trmm_rNx_kernelILi32EfPKfKS1_KPfEv13rocblas_fill_17rocblas_diagonal_iiT1_lPT2_llS9_llPT3_lli.num_named_barrier, 0
	.set _ZL23rocblas_trmm_rNx_kernelILi32EfPKfKS1_KPfEv13rocblas_fill_17rocblas_diagonal_iiT1_lPT2_llS9_llPT3_lli.private_seg_size, 0
	.set _ZL23rocblas_trmm_rNx_kernelILi32EfPKfKS1_KPfEv13rocblas_fill_17rocblas_diagonal_iiT1_lPT2_llS9_llPT3_lli.uses_vcc, 1
	.set _ZL23rocblas_trmm_rNx_kernelILi32EfPKfKS1_KPfEv13rocblas_fill_17rocblas_diagonal_iiT1_lPT2_llS9_llPT3_lli.uses_flat_scratch, 0
	.set _ZL23rocblas_trmm_rNx_kernelILi32EfPKfKS1_KPfEv13rocblas_fill_17rocblas_diagonal_iiT1_lPT2_llS9_llPT3_lli.has_dyn_sized_stack, 0
	.set _ZL23rocblas_trmm_rNx_kernelILi32EfPKfKS1_KPfEv13rocblas_fill_17rocblas_diagonal_iiT1_lPT2_llS9_llPT3_lli.has_recursion, 0
	.set _ZL23rocblas_trmm_rNx_kernelILi32EfPKfKS1_KPfEv13rocblas_fill_17rocblas_diagonal_iiT1_lPT2_llS9_llPT3_lli.has_indirect_call, 0
	.section	.AMDGPU.csdata,"",@progbits
; Kernel info:
; codeLenInByte = 1100
; TotalNumSgprs: 35
; NumVgprs: 26
; ScratchSize: 0
; MemoryBound: 0
; FloatMode: 240
; IeeeMode: 1
; LDSByteSize: 8192 bytes/workgroup (compile time only)
; SGPRBlocks: 8
; VGPRBlocks: 7
; NumSGPRsForWavesPerEU: 65
; NumVGPRsForWavesPerEU: 29
; Occupancy: 8
; WaveLimiterHint : 1
; COMPUTE_PGM_RSRC2:SCRATCH_EN: 0
; COMPUTE_PGM_RSRC2:USER_SGPR: 6
; COMPUTE_PGM_RSRC2:TRAP_HANDLER: 0
; COMPUTE_PGM_RSRC2:TGID_X_EN: 1
; COMPUTE_PGM_RSRC2:TGID_Y_EN: 0
; COMPUTE_PGM_RSRC2:TGID_Z_EN: 1
; COMPUTE_PGM_RSRC2:TIDIG_COMP_CNT: 1
	.section	.text._ZL23rocblas_trmm_rNx_kernelILi32EffKPKfKPfEv13rocblas_fill_17rocblas_diagonal_iiT1_lPT2_llS9_llPT3_lli,"axG",@progbits,_ZL23rocblas_trmm_rNx_kernelILi32EffKPKfKPfEv13rocblas_fill_17rocblas_diagonal_iiT1_lPT2_llS9_llPT3_lli,comdat
	.globl	_ZL23rocblas_trmm_rNx_kernelILi32EffKPKfKPfEv13rocblas_fill_17rocblas_diagonal_iiT1_lPT2_llS9_llPT3_lli ; -- Begin function _ZL23rocblas_trmm_rNx_kernelILi32EffKPKfKPfEv13rocblas_fill_17rocblas_diagonal_iiT1_lPT2_llS9_llPT3_lli
	.p2align	8
	.type	_ZL23rocblas_trmm_rNx_kernelILi32EffKPKfKPfEv13rocblas_fill_17rocblas_diagonal_iiT1_lPT2_llS9_llPT3_lli,@function
_ZL23rocblas_trmm_rNx_kernelILi32EffKPKfKPfEv13rocblas_fill_17rocblas_diagonal_iiT1_lPT2_llS9_llPT3_lli: ; @_ZL23rocblas_trmm_rNx_kernelILi32EffKPKfKPfEv13rocblas_fill_17rocblas_diagonal_iiT1_lPT2_llS9_llPT3_lli
; %bb.0:
	s_load_dword s30, s[4:5], 0x10
	s_mov_b32 s1, 0
	s_waitcnt lgkmcnt(0)
	v_cmp_eq_f32_e64 s[2:3], s30, 0
	s_and_b64 vcc, exec, s[2:3]
	s_cbranch_vccnz .LBB151_15
; %bb.1:
	s_load_dwordx16 s[8:23], s[4:5], 0x20
	s_load_dwordx4 s[24:27], s[4:5], 0x0
	s_mov_b32 s0, s7
	s_lshl_b64 s[28:29], s[0:1], 3
	v_lshlrev_b32_e32 v3, 5, v1
	s_waitcnt lgkmcnt(0)
	s_add_u32 s0, s14, s28
	s_addc_u32 s1, s15, s29
	s_load_dwordx2 s[14:15], s[0:1], 0x0
	s_add_u32 s0, s20, s28
	s_addc_u32 s1, s21, s29
	s_load_dwordx2 s[2:3], s[0:1], 0x0
	v_add_lshl_u32 v4, v3, v0, 2
	v_mov_b32_e32 v2, 0
	v_cmp_gt_i32_e32 vcc, s27, v1
	v_cmp_gt_i32_e64 s[0:1], s27, v0
	ds_write2st64_b32 v4, v2, v2 offset1:16
	s_and_b64 s[0:1], vcc, s[0:1]
	v_lshlrev_b32_e32 v2, 2, v0
	s_and_saveexec_b64 s[20:21], s[0:1]
	s_cbranch_execz .LBB151_3
; %bb.2:
	v_mad_u64_u32 v[5:6], s[0:1], s10, v1, 0
	s_add_u32 s0, s8, s28
	s_addc_u32 s1, s9, s29
	s_load_dwordx2 s[0:1], s[0:1], 0x0
	v_mad_u64_u32 v[6:7], s[8:9], s11, v1, v[6:7]
	s_lshl_b64 s[8:9], s[12:13], 2
	s_waitcnt lgkmcnt(0)
	s_add_u32 s0, s0, s8
	v_lshlrev_b64 v[5:6], 2, v[5:6]
	s_addc_u32 s1, s1, s9
	v_mov_b32_e32 v7, s1
	v_add_co_u32_e64 v5, s[0:1], s0, v5
	v_addc_co_u32_e64 v6, s[0:1], v7, v6, s[0:1]
	v_add_co_u32_e64 v5, s[0:1], v5, v2
	v_addc_co_u32_e64 v6, s[0:1], 0, v6, s[0:1]
	flat_load_dword v5, v[5:6]
	s_waitcnt vmcnt(0) lgkmcnt(0)
	ds_write_b32 v4, v5
.LBB151_3:
	s_or_b64 exec, exec, s[20:21]
	s_add_i32 s0, s26, -1
	s_ashr_i32 s1, s0, 31
	s_lshr_b32 s1, s1, 27
	s_add_i32 s0, s0, s1
	s_ashr_i32 s1, s0, 5
	s_andn2_b32 s0, s0, 31
	s_sub_i32 s0, s26, s0
	s_cmp_ge_i32 s6, s1
	s_cselect_b32 s0, s0, 32
	s_lshl_b32 s6, s6, 5
	v_cmp_gt_i32_e64 s[0:1], s0, v0
	s_ashr_i32 s7, s6, 31
	s_and_b64 s[0:1], vcc, s[0:1]
	s_and_saveexec_b64 s[8:9], s[0:1]
	s_cbranch_execz .LBB151_5
; %bb.4:
	v_mad_u64_u32 v[5:6], s[10:11], s16, v1, 0
	s_lshl_b64 s[10:11], s[18:19], 2
	s_waitcnt lgkmcnt(0)
	s_add_u32 s12, s14, s10
	s_addc_u32 s13, s15, s11
	v_mad_u64_u32 v[6:7], s[10:11], s17, v1, v[6:7]
	s_lshl_b64 s[10:11], s[6:7], 2
	s_add_u32 s10, s12, s10
	v_lshlrev_b64 v[5:6], 2, v[5:6]
	s_addc_u32 s11, s13, s11
	v_mov_b32_e32 v7, s11
	v_add_co_u32_e32 v5, vcc, s10, v5
	v_addc_co_u32_e32 v6, vcc, v7, v6, vcc
	v_add_co_u32_e32 v5, vcc, v5, v2
	v_addc_co_u32_e32 v6, vcc, 0, v6, vcc
	flat_load_dword v5, v[5:6]
	v_add_u32_e32 v6, 0x1000, v4
	s_waitcnt vmcnt(0) lgkmcnt(0)
	ds_write_b32 v6, v5
.LBB151_5:
	s_or_b64 exec, exec, s[8:9]
	s_cmpk_eq_i32 s25, 0x84
	s_cselect_b64 s[8:9], -1, 0
	v_cmp_eq_u32_e32 vcc, v1, v0
	s_and_b64 s[10:11], vcc, s[8:9]
	s_and_saveexec_b64 s[8:9], s[10:11]
; %bb.6:
	v_mov_b32_e32 v5, 1.0
	ds_write_b32 v4, v5
; %bb.7:
	s_or_b64 exec, exec, s[8:9]
	s_cmpk_lg_i32 s24, 0x79
	s_cbranch_scc0 .LBB151_9
; %bb.8:
	v_cmp_lt_u32_e32 vcc, v0, v1
	s_and_b64 s[8:9], vcc, exec
	s_cbranch_execz .LBB151_10
	s_branch .LBB151_11
.LBB151_9:
	s_mov_b64 s[8:9], 0
.LBB151_10:
	v_cmp_gt_u32_e32 vcc, v0, v1
	s_andn2_b64 s[8:9], s[8:9], exec
	s_and_b64 s[10:11], vcc, exec
	s_or_b64 s[8:9], s[8:9], s[10:11]
.LBB151_11:
	s_and_saveexec_b64 s[10:11], s[8:9]
; %bb.12:
	v_mov_b32_e32 v0, 0
	ds_write_b32 v4, v0
; %bb.13:
	s_or_b64 exec, exec, s[10:11]
	s_waitcnt lgkmcnt(0)
	s_barrier
	s_and_saveexec_b64 s[8:9], s[0:1]
	s_cbranch_execz .LBB151_15
; %bb.14:
	v_add_u32_e32 v0, 0x1000, v2
	ds_read2_b32 v[19:20], v0 offset1:32
	v_lshlrev_b32_e32 v25, 2, v3
	ds_read_b128 v[3:6], v25
	ds_read_b128 v[7:10], v25 offset:16
	ds_read2_b32 v[21:22], v0 offset0:64 offset1:96
	ds_read_b128 v[11:14], v25 offset:32
	ds_read_b128 v[15:18], v25 offset:48
	ds_read2_b32 v[23:24], v0 offset0:128 offset1:160
	s_load_dwordx2 s[0:1], s[4:5], 0x60
	s_waitcnt lgkmcnt(0)
	v_fma_f32 v19, v19, v3, 0
	v_fmac_f32_e32 v19, v20, v4
	ds_read2_b32 v[3:4], v0 offset0:192 offset1:224
	v_fmac_f32_e32 v19, v21, v5
	v_fmac_f32_e32 v19, v22, v6
	;; [unrolled: 1-line block ×3, first 2 shown]
	v_add_u32_e32 v0, 0x1400, v2
	ds_read2_b32 v[5:6], v0 offset1:32
	v_fmac_f32_e32 v19, v24, v8
	s_waitcnt lgkmcnt(1)
	v_fmac_f32_e32 v19, v3, v9
	v_fmac_f32_e32 v19, v4, v10
	ds_read2_b32 v[3:4], v0 offset0:64 offset1:96
	ds_read2_b32 v[7:8], v0 offset0:128 offset1:160
	s_waitcnt lgkmcnt(2)
	v_fmac_f32_e32 v19, v5, v11
	v_fmac_f32_e32 v19, v6, v12
	ds_read2_b32 v[9:10], v0 offset0:192 offset1:224
	s_waitcnt lgkmcnt(2)
	v_fmac_f32_e32 v19, v3, v13
	v_add_u32_e32 v0, 0x1800, v2
	v_fmac_f32_e32 v19, v4, v14
	ds_read2_b32 v[11:12], v0 offset1:32
	ds_read_b128 v[3:6], v25 offset:64
	s_waitcnt lgkmcnt(3)
	v_fmac_f32_e32 v19, v7, v15
	v_fmac_f32_e32 v19, v8, v16
	s_waitcnt lgkmcnt(2)
	v_fmac_f32_e32 v19, v9, v17
	v_fmac_f32_e32 v19, v10, v18
	ds_read2_b32 v[13:14], v0 offset0:64 offset1:96
	ds_read2_b32 v[15:16], v0 offset0:128 offset1:160
	ds_read_b128 v[7:10], v25 offset:80
	s_waitcnt lgkmcnt(3)
	v_fmac_f32_e32 v19, v11, v3
	v_fmac_f32_e32 v19, v12, v4
	ds_read2_b32 v[11:12], v0 offset0:192 offset1:224
	s_waitcnt lgkmcnt(3)
	v_fmac_f32_e32 v19, v13, v5
	v_fmac_f32_e32 v19, v14, v6
	v_add_u32_e32 v0, 0x1c00, v2
	s_waitcnt lgkmcnt(1)
	v_fmac_f32_e32 v19, v15, v7
	ds_read2_b32 v[13:14], v0 offset1:32
	ds_read_b128 v[3:6], v25 offset:96
	v_fmac_f32_e32 v19, v16, v8
	s_waitcnt lgkmcnt(2)
	v_fmac_f32_e32 v19, v11, v9
	v_fmac_f32_e32 v19, v12, v10
	ds_read2_b32 v[11:12], v0 offset0:64 offset1:96
	ds_read_b128 v[7:10], v25 offset:112
	s_lshl_b64 s[0:1], s[0:1], 2
	s_add_u32 s2, s2, s0
	s_waitcnt lgkmcnt(2)
	v_fmac_f32_e32 v19, v13, v3
	s_addc_u32 s3, s3, s1
	s_lshl_b64 s[0:1], s[6:7], 2
	v_fmac_f32_e32 v19, v14, v4
	s_add_u32 s2, s2, s0
	s_waitcnt lgkmcnt(1)
	v_fmac_f32_e32 v19, v11, v5
	s_addc_u32 s3, s3, s1
	v_fmac_f32_e32 v19, v12, v6
	v_mad_u64_u32 v[5:6], s[0:1], s22, v1, 0
	ds_read2_b32 v[3:4], v0 offset0:128 offset1:160
	ds_read2_b32 v[11:12], v0 offset0:192 offset1:224
	v_mov_b32_e32 v0, v6
	v_mad_u64_u32 v[0:1], s[0:1], s23, v1, v[0:1]
	s_waitcnt lgkmcnt(1)
	v_fmac_f32_e32 v19, v3, v7
	v_fmac_f32_e32 v19, v4, v8
	v_mov_b32_e32 v6, v0
	v_lshlrev_b64 v[0:1], 2, v[5:6]
	v_mov_b32_e32 v4, s3
	v_add_co_u32_e32 v0, vcc, s2, v0
	s_waitcnt lgkmcnt(0)
	v_fmac_f32_e32 v19, v11, v9
	v_addc_co_u32_e32 v1, vcc, v4, v1, vcc
	v_fmac_f32_e32 v19, v12, v10
	v_add_co_u32_e32 v0, vcc, v0, v2
	v_mul_f32_e32 v3, s30, v19
	v_addc_co_u32_e32 v1, vcc, 0, v1, vcc
	flat_store_dword v[0:1], v3
.LBB151_15:
	s_endpgm
	.section	.rodata,"a",@progbits
	.p2align	6, 0x0
	.amdhsa_kernel _ZL23rocblas_trmm_rNx_kernelILi32EffKPKfKPfEv13rocblas_fill_17rocblas_diagonal_iiT1_lPT2_llS9_llPT3_lli
		.amdhsa_group_segment_fixed_size 8192
		.amdhsa_private_segment_fixed_size 0
		.amdhsa_kernarg_size 108
		.amdhsa_user_sgpr_count 6
		.amdhsa_user_sgpr_private_segment_buffer 1
		.amdhsa_user_sgpr_dispatch_ptr 0
		.amdhsa_user_sgpr_queue_ptr 0
		.amdhsa_user_sgpr_kernarg_segment_ptr 1
		.amdhsa_user_sgpr_dispatch_id 0
		.amdhsa_user_sgpr_flat_scratch_init 0
		.amdhsa_user_sgpr_private_segment_size 0
		.amdhsa_uses_dynamic_stack 0
		.amdhsa_system_sgpr_private_segment_wavefront_offset 0
		.amdhsa_system_sgpr_workgroup_id_x 1
		.amdhsa_system_sgpr_workgroup_id_y 0
		.amdhsa_system_sgpr_workgroup_id_z 1
		.amdhsa_system_sgpr_workgroup_info 0
		.amdhsa_system_vgpr_workitem_id 1
		.amdhsa_next_free_vgpr 29
		.amdhsa_next_free_sgpr 61
		.amdhsa_reserve_vcc 1
		.amdhsa_reserve_flat_scratch 0
		.amdhsa_float_round_mode_32 0
		.amdhsa_float_round_mode_16_64 0
		.amdhsa_float_denorm_mode_32 3
		.amdhsa_float_denorm_mode_16_64 3
		.amdhsa_dx10_clamp 1
		.amdhsa_ieee_mode 1
		.amdhsa_fp16_overflow 0
		.amdhsa_exception_fp_ieee_invalid_op 0
		.amdhsa_exception_fp_denorm_src 0
		.amdhsa_exception_fp_ieee_div_zero 0
		.amdhsa_exception_fp_ieee_overflow 0
		.amdhsa_exception_fp_ieee_underflow 0
		.amdhsa_exception_fp_ieee_inexact 0
		.amdhsa_exception_int_div_zero 0
	.end_amdhsa_kernel
	.section	.text._ZL23rocblas_trmm_rNx_kernelILi32EffKPKfKPfEv13rocblas_fill_17rocblas_diagonal_iiT1_lPT2_llS9_llPT3_lli,"axG",@progbits,_ZL23rocblas_trmm_rNx_kernelILi32EffKPKfKPfEv13rocblas_fill_17rocblas_diagonal_iiT1_lPT2_llS9_llPT3_lli,comdat
.Lfunc_end151:
	.size	_ZL23rocblas_trmm_rNx_kernelILi32EffKPKfKPfEv13rocblas_fill_17rocblas_diagonal_iiT1_lPT2_llS9_llPT3_lli, .Lfunc_end151-_ZL23rocblas_trmm_rNx_kernelILi32EffKPKfKPfEv13rocblas_fill_17rocblas_diagonal_iiT1_lPT2_llS9_llPT3_lli
                                        ; -- End function
	.set _ZL23rocblas_trmm_rNx_kernelILi32EffKPKfKPfEv13rocblas_fill_17rocblas_diagonal_iiT1_lPT2_llS9_llPT3_lli.num_vgpr, 26
	.set _ZL23rocblas_trmm_rNx_kernelILi32EffKPKfKPfEv13rocblas_fill_17rocblas_diagonal_iiT1_lPT2_llS9_llPT3_lli.num_agpr, 0
	.set _ZL23rocblas_trmm_rNx_kernelILi32EffKPKfKPfEv13rocblas_fill_17rocblas_diagonal_iiT1_lPT2_llS9_llPT3_lli.numbered_sgpr, 31
	.set _ZL23rocblas_trmm_rNx_kernelILi32EffKPKfKPfEv13rocblas_fill_17rocblas_diagonal_iiT1_lPT2_llS9_llPT3_lli.num_named_barrier, 0
	.set _ZL23rocblas_trmm_rNx_kernelILi32EffKPKfKPfEv13rocblas_fill_17rocblas_diagonal_iiT1_lPT2_llS9_llPT3_lli.private_seg_size, 0
	.set _ZL23rocblas_trmm_rNx_kernelILi32EffKPKfKPfEv13rocblas_fill_17rocblas_diagonal_iiT1_lPT2_llS9_llPT3_lli.uses_vcc, 1
	.set _ZL23rocblas_trmm_rNx_kernelILi32EffKPKfKPfEv13rocblas_fill_17rocblas_diagonal_iiT1_lPT2_llS9_llPT3_lli.uses_flat_scratch, 0
	.set _ZL23rocblas_trmm_rNx_kernelILi32EffKPKfKPfEv13rocblas_fill_17rocblas_diagonal_iiT1_lPT2_llS9_llPT3_lli.has_dyn_sized_stack, 0
	.set _ZL23rocblas_trmm_rNx_kernelILi32EffKPKfKPfEv13rocblas_fill_17rocblas_diagonal_iiT1_lPT2_llS9_llPT3_lli.has_recursion, 0
	.set _ZL23rocblas_trmm_rNx_kernelILi32EffKPKfKPfEv13rocblas_fill_17rocblas_diagonal_iiT1_lPT2_llS9_llPT3_lli.has_indirect_call, 0
	.section	.AMDGPU.csdata,"",@progbits
; Kernel info:
; codeLenInByte = 1060
; TotalNumSgprs: 35
; NumVgprs: 26
; ScratchSize: 0
; MemoryBound: 0
; FloatMode: 240
; IeeeMode: 1
; LDSByteSize: 8192 bytes/workgroup (compile time only)
; SGPRBlocks: 8
; VGPRBlocks: 7
; NumSGPRsForWavesPerEU: 65
; NumVGPRsForWavesPerEU: 29
; Occupancy: 8
; WaveLimiterHint : 1
; COMPUTE_PGM_RSRC2:SCRATCH_EN: 0
; COMPUTE_PGM_RSRC2:USER_SGPR: 6
; COMPUTE_PGM_RSRC2:TRAP_HANDLER: 0
; COMPUTE_PGM_RSRC2:TGID_X_EN: 1
; COMPUTE_PGM_RSRC2:TGID_Y_EN: 0
; COMPUTE_PGM_RSRC2:TGID_Z_EN: 1
; COMPUTE_PGM_RSRC2:TIDIG_COMP_CNT: 1
	.section	.text._ZL23rocblas_trmm_rTx_kernelILi32ELb0EfPKfKS1_KPfEv13rocblas_fill_17rocblas_diagonal_iiT2_lPT3_llS9_llPT4_lli,"axG",@progbits,_ZL23rocblas_trmm_rTx_kernelILi32ELb0EfPKfKS1_KPfEv13rocblas_fill_17rocblas_diagonal_iiT2_lPT3_llS9_llPT4_lli,comdat
	.globl	_ZL23rocblas_trmm_rTx_kernelILi32ELb0EfPKfKS1_KPfEv13rocblas_fill_17rocblas_diagonal_iiT2_lPT3_llS9_llPT4_lli ; -- Begin function _ZL23rocblas_trmm_rTx_kernelILi32ELb0EfPKfKS1_KPfEv13rocblas_fill_17rocblas_diagonal_iiT2_lPT3_llS9_llPT4_lli
	.p2align	8
	.type	_ZL23rocblas_trmm_rTx_kernelILi32ELb0EfPKfKS1_KPfEv13rocblas_fill_17rocblas_diagonal_iiT2_lPT3_llS9_llPT4_lli,@function
_ZL23rocblas_trmm_rTx_kernelILi32ELb0EfPKfKS1_KPfEv13rocblas_fill_17rocblas_diagonal_iiT2_lPT3_llS9_llPT4_lli: ; @_ZL23rocblas_trmm_rTx_kernelILi32ELb0EfPKfKS1_KPfEv13rocblas_fill_17rocblas_diagonal_iiT2_lPT3_llS9_llPT4_lli
; %bb.0:
	s_load_dwordx16 s[8:23], s[4:5], 0x10
	s_waitcnt lgkmcnt(0)
	s_mul_i32 s0, s11, s7
	s_mul_hi_u32 s1, s10, s7
	s_add_i32 s1, s1, s0
	s_mul_i32 s0, s10, s7
	s_lshl_b64 s[0:1], s[0:1], 2
	s_add_u32 s0, s8, s0
	s_addc_u32 s1, s9, s1
	s_load_dword s30, s[0:1], 0x0
	s_waitcnt lgkmcnt(0)
	v_cmp_eq_f32_e64 s[0:1], s30, 0
	s_and_b64 vcc, exec, s[0:1]
	s_cbranch_vccnz .LBB152_15
; %bb.1:
	s_load_dwordx4 s[8:11], s[4:5], 0x0
	s_load_dwordx4 s[0:3], s[4:5], 0x50
	s_mov_b32 s24, s7
	s_mov_b32 s25, 0
	s_lshl_b64 s[28:29], s[24:25], 3
	s_add_u32 s18, s18, s28
	s_addc_u32 s19, s19, s29
	s_waitcnt lgkmcnt(0)
	s_add_u32 s0, s0, s28
	s_addc_u32 s1, s1, s29
	s_load_dwordx2 s[24:25], s[18:19], 0x0
	v_lshlrev_b32_e32 v2, 5, v1
	s_load_dwordx2 s[18:19], s[0:1], 0x0
	v_add_lshl_u32 v3, v2, v0, 2
	v_mov_b32_e32 v2, 0
	v_cmp_gt_i32_e32 vcc, s11, v1
	v_cmp_gt_i32_e64 s[0:1], s11, v0
	ds_write2st64_b32 v3, v2, v2 offset1:16
	s_and_b64 s[0:1], vcc, s[0:1]
	v_lshlrev_b32_e32 v2, 2, v0
	s_and_saveexec_b64 s[26:27], s[0:1]
	s_cbranch_execz .LBB152_3
; %bb.2:
	v_mad_u64_u32 v[4:5], s[0:1], s14, v1, 0
	s_add_u32 s0, s12, s28
	s_addc_u32 s1, s13, s29
	s_load_dwordx2 s[0:1], s[0:1], 0x0
	v_mad_u64_u32 v[5:6], s[12:13], s15, v1, v[5:6]
	s_lshl_b64 s[12:13], s[16:17], 2
	s_waitcnt lgkmcnt(0)
	s_add_u32 s0, s0, s12
	v_lshlrev_b64 v[4:5], 2, v[4:5]
	s_addc_u32 s1, s1, s13
	v_mov_b32_e32 v6, s1
	v_add_co_u32_e64 v4, s[0:1], s0, v4
	v_addc_co_u32_e64 v5, s[0:1], v6, v5, s[0:1]
	v_add_co_u32_e64 v4, s[0:1], v4, v2
	v_addc_co_u32_e64 v5, s[0:1], 0, v5, s[0:1]
	flat_load_dword v4, v[4:5]
	s_waitcnt vmcnt(0) lgkmcnt(0)
	ds_write_b32 v3, v4
.LBB152_3:
	s_or_b64 exec, exec, s[26:27]
	s_add_i32 s0, s10, -1
	s_ashr_i32 s1, s0, 31
	s_lshr_b32 s1, s1, 27
	s_add_i32 s0, s0, s1
	s_ashr_i32 s1, s0, 5
	s_andn2_b32 s0, s0, 31
	s_sub_i32 s0, s10, s0
	s_cmp_ge_i32 s6, s1
	s_cselect_b32 s0, s0, 32
	s_lshl_b32 s6, s6, 5
	v_cmp_gt_i32_e64 s[0:1], s0, v0
	s_ashr_i32 s7, s6, 31
	s_and_b64 s[0:1], vcc, s[0:1]
	s_and_saveexec_b64 s[10:11], s[0:1]
	s_cbranch_execz .LBB152_5
; %bb.4:
	v_mad_u64_u32 v[4:5], s[12:13], s20, v1, 0
	s_lshl_b64 s[12:13], s[22:23], 2
	s_waitcnt lgkmcnt(0)
	s_add_u32 s14, s24, s12
	s_addc_u32 s15, s25, s13
	v_mad_u64_u32 v[5:6], s[12:13], s21, v1, v[5:6]
	s_lshl_b64 s[12:13], s[6:7], 2
	s_add_u32 s12, s14, s12
	v_lshlrev_b64 v[4:5], 2, v[4:5]
	s_addc_u32 s13, s15, s13
	v_mov_b32_e32 v6, s13
	v_add_co_u32_e32 v4, vcc, s12, v4
	v_addc_co_u32_e32 v5, vcc, v6, v5, vcc
	v_add_co_u32_e32 v4, vcc, v4, v2
	v_addc_co_u32_e32 v5, vcc, 0, v5, vcc
	flat_load_dword v4, v[4:5]
	v_add_u32_e32 v5, 0x1000, v3
	s_waitcnt vmcnt(0) lgkmcnt(0)
	ds_write_b32 v5, v4
.LBB152_5:
	s_or_b64 exec, exec, s[10:11]
	s_cmpk_eq_i32 s9, 0x84
	s_cselect_b64 s[10:11], -1, 0
	v_cmp_eq_u32_e32 vcc, v1, v0
	s_and_b64 s[12:13], vcc, s[10:11]
	s_and_saveexec_b64 s[10:11], s[12:13]
; %bb.6:
	v_mov_b32_e32 v4, 1.0
	ds_write_b32 v3, v4
; %bb.7:
	s_or_b64 exec, exec, s[10:11]
	s_cmpk_lg_i32 s8, 0x79
	s_cbranch_scc0 .LBB152_9
; %bb.8:
	v_cmp_lt_u32_e32 vcc, v0, v1
	s_and_b64 s[8:9], vcc, exec
	s_cbranch_execz .LBB152_10
	s_branch .LBB152_11
.LBB152_9:
	s_mov_b64 s[8:9], 0
.LBB152_10:
	v_cmp_gt_u32_e32 vcc, v0, v1
	s_andn2_b64 s[8:9], s[8:9], exec
	s_and_b64 s[10:11], vcc, exec
	s_or_b64 s[8:9], s[8:9], s[10:11]
.LBB152_11:
	s_and_saveexec_b64 s[10:11], s[8:9]
; %bb.12:
	v_mov_b32_e32 v0, 0
	ds_write_b32 v3, v0
; %bb.13:
	s_or_b64 exec, exec, s[10:11]
	s_waitcnt lgkmcnt(0)
	s_barrier
	s_and_saveexec_b64 s[8:9], s[0:1]
	s_cbranch_execz .LBB152_15
; %bb.14:
	v_add_u32_e32 v0, 0x1000, v2
	ds_read2_b32 v[3:4], v0 offset1:32
	v_lshlrev_b32_e32 v15, 2, v1
	ds_read2_b32 v[5:6], v15 offset1:32
	ds_read2_b32 v[7:8], v0 offset0:64 offset1:96
	ds_read2_b32 v[9:10], v15 offset0:64 offset1:96
	;; [unrolled: 1-line block ×4, first 2 shown]
	v_add_u32_e32 v17, 0x400, v15
	s_load_dwordx2 s[0:1], s[4:5], 0x60
	s_waitcnt lgkmcnt(0)
	v_fma_f32 v16, v3, v5, 0
	v_fmac_f32_e32 v16, v4, v6
	ds_read2_b32 v[3:4], v0 offset0:192 offset1:224
	ds_read2_b32 v[5:6], v15 offset0:192 offset1:224
	v_fmac_f32_e32 v16, v7, v9
	v_add_u32_e32 v0, 0x1400, v2
	v_fmac_f32_e32 v16, v8, v10
	ds_read2_b32 v[7:8], v0 offset1:32
	v_fmac_f32_e32 v16, v11, v13
	v_fmac_f32_e32 v16, v12, v14
	ds_read2_b32 v[9:10], v17 offset1:32
	ds_read2_b32 v[11:12], v0 offset0:64 offset1:96
	ds_read2_b32 v[13:14], v17 offset0:64 offset1:96
	s_waitcnt lgkmcnt(4)
	v_fmac_f32_e32 v16, v3, v5
	v_fmac_f32_e32 v16, v4, v6
	s_waitcnt lgkmcnt(2)
	v_fmac_f32_e32 v16, v7, v9
	v_fmac_f32_e32 v16, v8, v10
	ds_read2_b32 v[3:4], v0 offset0:128 offset1:160
	ds_read2_b32 v[5:6], v17 offset0:128 offset1:160
	;; [unrolled: 1-line block ×4, first 2 shown]
	s_waitcnt lgkmcnt(4)
	v_fmac_f32_e32 v16, v11, v13
	v_add_u32_e32 v0, 0x1800, v2
	v_add_u32_e32 v17, 0x800, v15
	v_fmac_f32_e32 v16, v12, v14
	ds_read2_b32 v[11:12], v0 offset1:32
	ds_read2_b32 v[13:14], v17 offset1:32
	s_waitcnt lgkmcnt(4)
	v_fmac_f32_e32 v16, v3, v5
	v_fmac_f32_e32 v16, v4, v6
	s_waitcnt lgkmcnt(2)
	v_fmac_f32_e32 v16, v7, v9
	v_fmac_f32_e32 v16, v8, v10
	;; [unrolled: 3-line block ×3, first 2 shown]
	ds_read2_b32 v[3:4], v0 offset0:64 offset1:96
	ds_read2_b32 v[5:6], v17 offset0:64 offset1:96
	;; [unrolled: 1-line block ×6, first 2 shown]
	s_waitcnt lgkmcnt(4)
	v_fmac_f32_e32 v16, v3, v5
	v_add_u32_e32 v0, 0x1c00, v2
	v_fmac_f32_e32 v16, v4, v6
	ds_read2_b32 v[3:4], v0 offset1:32
	s_waitcnt lgkmcnt(3)
	v_fmac_f32_e32 v16, v7, v9
	s_lshl_b64 s[0:1], s[0:1], 2
	v_fmac_f32_e32 v16, v8, v10
	s_add_u32 s4, s18, s0
	s_waitcnt lgkmcnt(1)
	v_fmac_f32_e32 v16, v11, v13
	v_add_u32_e32 v15, 0xc00, v15
	s_addc_u32 s5, s19, s1
	s_lshl_b64 s[0:1], s[6:7], 2
	v_fmac_f32_e32 v16, v12, v14
	ds_read2_b32 v[5:6], v15 offset1:32
	ds_read2_b32 v[7:8], v0 offset0:64 offset1:96
	ds_read2_b32 v[9:10], v15 offset0:64 offset1:96
	;; [unrolled: 1-line block ×4, first 2 shown]
	s_add_u32 s4, s4, s0
	s_waitcnt lgkmcnt(4)
	v_fmac_f32_e32 v16, v3, v5
	s_addc_u32 s5, s5, s1
	v_fmac_f32_e32 v16, v4, v6
	v_mad_u64_u32 v[3:4], s[0:1], s2, v1, 0
	s_waitcnt lgkmcnt(2)
	v_fmac_f32_e32 v16, v7, v9
	v_fmac_f32_e32 v16, v8, v10
	ds_read2_b32 v[5:6], v0 offset0:192 offset1:224
	ds_read2_b32 v[7:8], v15 offset0:192 offset1:224
	v_mov_b32_e32 v0, v4
	v_mad_u64_u32 v[0:1], s[0:1], s3, v1, v[0:1]
	s_waitcnt lgkmcnt(2)
	v_fmac_f32_e32 v16, v11, v13
	v_fmac_f32_e32 v16, v12, v14
	v_mov_b32_e32 v4, v0
	v_lshlrev_b64 v[0:1], 2, v[3:4]
	v_mov_b32_e32 v3, s5
	v_add_co_u32_e32 v0, vcc, s4, v0
	s_waitcnt lgkmcnt(0)
	v_fmac_f32_e32 v16, v5, v7
	v_addc_co_u32_e32 v1, vcc, v3, v1, vcc
	v_fmac_f32_e32 v16, v6, v8
	v_add_co_u32_e32 v0, vcc, v0, v2
	v_mul_f32_e32 v5, s30, v16
	v_addc_co_u32_e32 v1, vcc, 0, v1, vcc
	flat_store_dword v[0:1], v5
.LBB152_15:
	s_endpgm
	.section	.rodata,"a",@progbits
	.p2align	6, 0x0
	.amdhsa_kernel _ZL23rocblas_trmm_rTx_kernelILi32ELb0EfPKfKS1_KPfEv13rocblas_fill_17rocblas_diagonal_iiT2_lPT3_llS9_llPT4_lli
		.amdhsa_group_segment_fixed_size 8192
		.amdhsa_private_segment_fixed_size 0
		.amdhsa_kernarg_size 108
		.amdhsa_user_sgpr_count 6
		.amdhsa_user_sgpr_private_segment_buffer 1
		.amdhsa_user_sgpr_dispatch_ptr 0
		.amdhsa_user_sgpr_queue_ptr 0
		.amdhsa_user_sgpr_kernarg_segment_ptr 1
		.amdhsa_user_sgpr_dispatch_id 0
		.amdhsa_user_sgpr_flat_scratch_init 0
		.amdhsa_user_sgpr_private_segment_size 0
		.amdhsa_uses_dynamic_stack 0
		.amdhsa_system_sgpr_private_segment_wavefront_offset 0
		.amdhsa_system_sgpr_workgroup_id_x 1
		.amdhsa_system_sgpr_workgroup_id_y 0
		.amdhsa_system_sgpr_workgroup_id_z 1
		.amdhsa_system_sgpr_workgroup_info 0
		.amdhsa_system_vgpr_workitem_id 1
		.amdhsa_next_free_vgpr 29
		.amdhsa_next_free_sgpr 61
		.amdhsa_reserve_vcc 1
		.amdhsa_reserve_flat_scratch 0
		.amdhsa_float_round_mode_32 0
		.amdhsa_float_round_mode_16_64 0
		.amdhsa_float_denorm_mode_32 3
		.amdhsa_float_denorm_mode_16_64 3
		.amdhsa_dx10_clamp 1
		.amdhsa_ieee_mode 1
		.amdhsa_fp16_overflow 0
		.amdhsa_exception_fp_ieee_invalid_op 0
		.amdhsa_exception_fp_denorm_src 0
		.amdhsa_exception_fp_ieee_div_zero 0
		.amdhsa_exception_fp_ieee_overflow 0
		.amdhsa_exception_fp_ieee_underflow 0
		.amdhsa_exception_fp_ieee_inexact 0
		.amdhsa_exception_int_div_zero 0
	.end_amdhsa_kernel
	.section	.text._ZL23rocblas_trmm_rTx_kernelILi32ELb0EfPKfKS1_KPfEv13rocblas_fill_17rocblas_diagonal_iiT2_lPT3_llS9_llPT4_lli,"axG",@progbits,_ZL23rocblas_trmm_rTx_kernelILi32ELb0EfPKfKS1_KPfEv13rocblas_fill_17rocblas_diagonal_iiT2_lPT3_llS9_llPT4_lli,comdat
.Lfunc_end152:
	.size	_ZL23rocblas_trmm_rTx_kernelILi32ELb0EfPKfKS1_KPfEv13rocblas_fill_17rocblas_diagonal_iiT2_lPT3_llS9_llPT4_lli, .Lfunc_end152-_ZL23rocblas_trmm_rTx_kernelILi32ELb0EfPKfKS1_KPfEv13rocblas_fill_17rocblas_diagonal_iiT2_lPT3_llS9_llPT4_lli
                                        ; -- End function
	.set _ZL23rocblas_trmm_rTx_kernelILi32ELb0EfPKfKS1_KPfEv13rocblas_fill_17rocblas_diagonal_iiT2_lPT3_llS9_llPT4_lli.num_vgpr, 18
	.set _ZL23rocblas_trmm_rTx_kernelILi32ELb0EfPKfKS1_KPfEv13rocblas_fill_17rocblas_diagonal_iiT2_lPT3_llS9_llPT4_lli.num_agpr, 0
	.set _ZL23rocblas_trmm_rTx_kernelILi32ELb0EfPKfKS1_KPfEv13rocblas_fill_17rocblas_diagonal_iiT2_lPT3_llS9_llPT4_lli.numbered_sgpr, 31
	.set _ZL23rocblas_trmm_rTx_kernelILi32ELb0EfPKfKS1_KPfEv13rocblas_fill_17rocblas_diagonal_iiT2_lPT3_llS9_llPT4_lli.num_named_barrier, 0
	.set _ZL23rocblas_trmm_rTx_kernelILi32ELb0EfPKfKS1_KPfEv13rocblas_fill_17rocblas_diagonal_iiT2_lPT3_llS9_llPT4_lli.private_seg_size, 0
	.set _ZL23rocblas_trmm_rTx_kernelILi32ELb0EfPKfKS1_KPfEv13rocblas_fill_17rocblas_diagonal_iiT2_lPT3_llS9_llPT4_lli.uses_vcc, 1
	.set _ZL23rocblas_trmm_rTx_kernelILi32ELb0EfPKfKS1_KPfEv13rocblas_fill_17rocblas_diagonal_iiT2_lPT3_llS9_llPT4_lli.uses_flat_scratch, 0
	.set _ZL23rocblas_trmm_rTx_kernelILi32ELb0EfPKfKS1_KPfEv13rocblas_fill_17rocblas_diagonal_iiT2_lPT3_llS9_llPT4_lli.has_dyn_sized_stack, 0
	.set _ZL23rocblas_trmm_rTx_kernelILi32ELb0EfPKfKS1_KPfEv13rocblas_fill_17rocblas_diagonal_iiT2_lPT3_llS9_llPT4_lli.has_recursion, 0
	.set _ZL23rocblas_trmm_rTx_kernelILi32ELb0EfPKfKS1_KPfEv13rocblas_fill_17rocblas_diagonal_iiT2_lPT3_llS9_llPT4_lli.has_indirect_call, 0
	.section	.AMDGPU.csdata,"",@progbits
; Kernel info:
; codeLenInByte = 1188
; TotalNumSgprs: 35
; NumVgprs: 18
; ScratchSize: 0
; MemoryBound: 0
; FloatMode: 240
; IeeeMode: 1
; LDSByteSize: 8192 bytes/workgroup (compile time only)
; SGPRBlocks: 8
; VGPRBlocks: 7
; NumSGPRsForWavesPerEU: 65
; NumVGPRsForWavesPerEU: 29
; Occupancy: 8
; WaveLimiterHint : 1
; COMPUTE_PGM_RSRC2:SCRATCH_EN: 0
; COMPUTE_PGM_RSRC2:USER_SGPR: 6
; COMPUTE_PGM_RSRC2:TRAP_HANDLER: 0
; COMPUTE_PGM_RSRC2:TGID_X_EN: 1
; COMPUTE_PGM_RSRC2:TGID_Y_EN: 0
; COMPUTE_PGM_RSRC2:TGID_Z_EN: 1
; COMPUTE_PGM_RSRC2:TIDIG_COMP_CNT: 1
	.section	.text._ZL23rocblas_trmm_rTx_kernelILi32ELb0EffKPKfKPfEv13rocblas_fill_17rocblas_diagonal_iiT2_lPT3_llS9_llPT4_lli,"axG",@progbits,_ZL23rocblas_trmm_rTx_kernelILi32ELb0EffKPKfKPfEv13rocblas_fill_17rocblas_diagonal_iiT2_lPT3_llS9_llPT4_lli,comdat
	.globl	_ZL23rocblas_trmm_rTx_kernelILi32ELb0EffKPKfKPfEv13rocblas_fill_17rocblas_diagonal_iiT2_lPT3_llS9_llPT4_lli ; -- Begin function _ZL23rocblas_trmm_rTx_kernelILi32ELb0EffKPKfKPfEv13rocblas_fill_17rocblas_diagonal_iiT2_lPT3_llS9_llPT4_lli
	.p2align	8
	.type	_ZL23rocblas_trmm_rTx_kernelILi32ELb0EffKPKfKPfEv13rocblas_fill_17rocblas_diagonal_iiT2_lPT3_llS9_llPT4_lli,@function
_ZL23rocblas_trmm_rTx_kernelILi32ELb0EffKPKfKPfEv13rocblas_fill_17rocblas_diagonal_iiT2_lPT3_llS9_llPT4_lli: ; @_ZL23rocblas_trmm_rTx_kernelILi32ELb0EffKPKfKPfEv13rocblas_fill_17rocblas_diagonal_iiT2_lPT3_llS9_llPT4_lli
; %bb.0:
	s_load_dword s30, s[4:5], 0x10
	s_mov_b32 s1, 0
	s_waitcnt lgkmcnt(0)
	v_cmp_eq_f32_e64 s[2:3], s30, 0
	s_and_b64 vcc, exec, s[2:3]
	s_cbranch_vccnz .LBB153_15
; %bb.1:
	s_load_dwordx16 s[8:23], s[4:5], 0x20
	s_load_dwordx4 s[24:27], s[4:5], 0x0
	s_mov_b32 s0, s7
	s_lshl_b64 s[28:29], s[0:1], 3
	v_lshlrev_b32_e32 v2, 5, v1
	s_waitcnt lgkmcnt(0)
	s_add_u32 s0, s14, s28
	s_addc_u32 s1, s15, s29
	s_load_dwordx2 s[14:15], s[0:1], 0x0
	s_add_u32 s0, s20, s28
	s_addc_u32 s1, s21, s29
	s_load_dwordx2 s[2:3], s[0:1], 0x0
	v_add_lshl_u32 v3, v2, v0, 2
	v_mov_b32_e32 v2, 0
	v_cmp_gt_i32_e32 vcc, s27, v1
	v_cmp_gt_i32_e64 s[0:1], s27, v0
	ds_write2st64_b32 v3, v2, v2 offset1:16
	s_and_b64 s[0:1], vcc, s[0:1]
	v_lshlrev_b32_e32 v2, 2, v0
	s_and_saveexec_b64 s[20:21], s[0:1]
	s_cbranch_execz .LBB153_3
; %bb.2:
	v_mad_u64_u32 v[4:5], s[0:1], s10, v1, 0
	s_add_u32 s0, s8, s28
	s_addc_u32 s1, s9, s29
	s_load_dwordx2 s[0:1], s[0:1], 0x0
	v_mad_u64_u32 v[5:6], s[8:9], s11, v1, v[5:6]
	s_lshl_b64 s[8:9], s[12:13], 2
	s_waitcnt lgkmcnt(0)
	s_add_u32 s0, s0, s8
	v_lshlrev_b64 v[4:5], 2, v[4:5]
	s_addc_u32 s1, s1, s9
	v_mov_b32_e32 v6, s1
	v_add_co_u32_e64 v4, s[0:1], s0, v4
	v_addc_co_u32_e64 v5, s[0:1], v6, v5, s[0:1]
	v_add_co_u32_e64 v4, s[0:1], v4, v2
	v_addc_co_u32_e64 v5, s[0:1], 0, v5, s[0:1]
	flat_load_dword v4, v[4:5]
	s_waitcnt vmcnt(0) lgkmcnt(0)
	ds_write_b32 v3, v4
.LBB153_3:
	s_or_b64 exec, exec, s[20:21]
	s_add_i32 s0, s26, -1
	s_ashr_i32 s1, s0, 31
	s_lshr_b32 s1, s1, 27
	s_add_i32 s0, s0, s1
	s_ashr_i32 s1, s0, 5
	s_andn2_b32 s0, s0, 31
	s_sub_i32 s0, s26, s0
	s_cmp_ge_i32 s6, s1
	s_cselect_b32 s0, s0, 32
	s_lshl_b32 s6, s6, 5
	v_cmp_gt_i32_e64 s[0:1], s0, v0
	s_ashr_i32 s7, s6, 31
	s_and_b64 s[0:1], vcc, s[0:1]
	s_and_saveexec_b64 s[8:9], s[0:1]
	s_cbranch_execz .LBB153_5
; %bb.4:
	v_mad_u64_u32 v[4:5], s[10:11], s16, v1, 0
	s_lshl_b64 s[10:11], s[18:19], 2
	s_waitcnt lgkmcnt(0)
	s_add_u32 s12, s14, s10
	s_addc_u32 s13, s15, s11
	v_mad_u64_u32 v[5:6], s[10:11], s17, v1, v[5:6]
	s_lshl_b64 s[10:11], s[6:7], 2
	s_add_u32 s10, s12, s10
	v_lshlrev_b64 v[4:5], 2, v[4:5]
	s_addc_u32 s11, s13, s11
	v_mov_b32_e32 v6, s11
	v_add_co_u32_e32 v4, vcc, s10, v4
	v_addc_co_u32_e32 v5, vcc, v6, v5, vcc
	v_add_co_u32_e32 v4, vcc, v4, v2
	v_addc_co_u32_e32 v5, vcc, 0, v5, vcc
	flat_load_dword v4, v[4:5]
	v_add_u32_e32 v5, 0x1000, v3
	s_waitcnt vmcnt(0) lgkmcnt(0)
	ds_write_b32 v5, v4
.LBB153_5:
	s_or_b64 exec, exec, s[8:9]
	s_cmpk_eq_i32 s25, 0x84
	s_cselect_b64 s[8:9], -1, 0
	v_cmp_eq_u32_e32 vcc, v1, v0
	s_and_b64 s[10:11], vcc, s[8:9]
	s_and_saveexec_b64 s[8:9], s[10:11]
; %bb.6:
	v_mov_b32_e32 v4, 1.0
	ds_write_b32 v3, v4
; %bb.7:
	s_or_b64 exec, exec, s[8:9]
	s_cmpk_lg_i32 s24, 0x79
	s_cbranch_scc0 .LBB153_9
; %bb.8:
	v_cmp_lt_u32_e32 vcc, v0, v1
	s_and_b64 s[8:9], vcc, exec
	s_cbranch_execz .LBB153_10
	s_branch .LBB153_11
.LBB153_9:
	s_mov_b64 s[8:9], 0
.LBB153_10:
	v_cmp_gt_u32_e32 vcc, v0, v1
	s_andn2_b64 s[8:9], s[8:9], exec
	s_and_b64 s[10:11], vcc, exec
	s_or_b64 s[8:9], s[8:9], s[10:11]
.LBB153_11:
	s_and_saveexec_b64 s[10:11], s[8:9]
; %bb.12:
	v_mov_b32_e32 v0, 0
	ds_write_b32 v3, v0
; %bb.13:
	s_or_b64 exec, exec, s[10:11]
	s_waitcnt lgkmcnt(0)
	s_barrier
	s_and_saveexec_b64 s[8:9], s[0:1]
	s_cbranch_execz .LBB153_15
; %bb.14:
	v_add_u32_e32 v0, 0x1000, v2
	ds_read2_b32 v[3:4], v0 offset1:32
	v_lshlrev_b32_e32 v15, 2, v1
	ds_read2_b32 v[5:6], v15 offset1:32
	ds_read2_b32 v[7:8], v0 offset0:64 offset1:96
	ds_read2_b32 v[9:10], v15 offset0:64 offset1:96
	;; [unrolled: 1-line block ×4, first 2 shown]
	v_add_u32_e32 v17, 0x400, v15
	s_load_dwordx2 s[0:1], s[4:5], 0x60
	s_waitcnt lgkmcnt(0)
	v_fma_f32 v16, v3, v5, 0
	v_fmac_f32_e32 v16, v4, v6
	ds_read2_b32 v[3:4], v0 offset0:192 offset1:224
	ds_read2_b32 v[5:6], v15 offset0:192 offset1:224
	v_fmac_f32_e32 v16, v7, v9
	v_add_u32_e32 v0, 0x1400, v2
	v_fmac_f32_e32 v16, v8, v10
	ds_read2_b32 v[7:8], v0 offset1:32
	v_fmac_f32_e32 v16, v11, v13
	v_fmac_f32_e32 v16, v12, v14
	ds_read2_b32 v[9:10], v17 offset1:32
	ds_read2_b32 v[11:12], v0 offset0:64 offset1:96
	ds_read2_b32 v[13:14], v17 offset0:64 offset1:96
	s_waitcnt lgkmcnt(4)
	v_fmac_f32_e32 v16, v3, v5
	v_fmac_f32_e32 v16, v4, v6
	s_waitcnt lgkmcnt(2)
	v_fmac_f32_e32 v16, v7, v9
	v_fmac_f32_e32 v16, v8, v10
	ds_read2_b32 v[3:4], v0 offset0:128 offset1:160
	ds_read2_b32 v[5:6], v17 offset0:128 offset1:160
	;; [unrolled: 1-line block ×4, first 2 shown]
	s_waitcnt lgkmcnt(4)
	v_fmac_f32_e32 v16, v11, v13
	v_add_u32_e32 v0, 0x1800, v2
	v_add_u32_e32 v17, 0x800, v15
	v_fmac_f32_e32 v16, v12, v14
	ds_read2_b32 v[11:12], v0 offset1:32
	ds_read2_b32 v[13:14], v17 offset1:32
	s_waitcnt lgkmcnt(4)
	v_fmac_f32_e32 v16, v3, v5
	v_fmac_f32_e32 v16, v4, v6
	s_waitcnt lgkmcnt(2)
	v_fmac_f32_e32 v16, v7, v9
	v_fmac_f32_e32 v16, v8, v10
	;; [unrolled: 3-line block ×3, first 2 shown]
	ds_read2_b32 v[3:4], v0 offset0:64 offset1:96
	ds_read2_b32 v[5:6], v17 offset0:64 offset1:96
	;; [unrolled: 1-line block ×6, first 2 shown]
	s_waitcnt lgkmcnt(4)
	v_fmac_f32_e32 v16, v3, v5
	v_add_u32_e32 v0, 0x1c00, v2
	v_fmac_f32_e32 v16, v4, v6
	ds_read2_b32 v[3:4], v0 offset1:32
	s_waitcnt lgkmcnt(3)
	v_fmac_f32_e32 v16, v7, v9
	s_lshl_b64 s[0:1], s[0:1], 2
	v_fmac_f32_e32 v16, v8, v10
	s_add_u32 s2, s2, s0
	s_waitcnt lgkmcnt(1)
	v_fmac_f32_e32 v16, v11, v13
	v_add_u32_e32 v15, 0xc00, v15
	s_addc_u32 s3, s3, s1
	s_lshl_b64 s[0:1], s[6:7], 2
	v_fmac_f32_e32 v16, v12, v14
	ds_read2_b32 v[5:6], v15 offset1:32
	ds_read2_b32 v[7:8], v0 offset0:64 offset1:96
	ds_read2_b32 v[9:10], v15 offset0:64 offset1:96
	;; [unrolled: 1-line block ×4, first 2 shown]
	s_add_u32 s2, s2, s0
	s_waitcnt lgkmcnt(4)
	v_fmac_f32_e32 v16, v3, v5
	s_addc_u32 s3, s3, s1
	v_fmac_f32_e32 v16, v4, v6
	v_mad_u64_u32 v[3:4], s[0:1], s22, v1, 0
	s_waitcnt lgkmcnt(2)
	v_fmac_f32_e32 v16, v7, v9
	v_fmac_f32_e32 v16, v8, v10
	ds_read2_b32 v[5:6], v0 offset0:192 offset1:224
	ds_read2_b32 v[7:8], v15 offset0:192 offset1:224
	v_mov_b32_e32 v0, v4
	v_mad_u64_u32 v[0:1], s[0:1], s23, v1, v[0:1]
	s_waitcnt lgkmcnt(2)
	v_fmac_f32_e32 v16, v11, v13
	v_fmac_f32_e32 v16, v12, v14
	v_mov_b32_e32 v4, v0
	v_lshlrev_b64 v[0:1], 2, v[3:4]
	v_mov_b32_e32 v3, s3
	v_add_co_u32_e32 v0, vcc, s2, v0
	s_waitcnt lgkmcnt(0)
	v_fmac_f32_e32 v16, v5, v7
	v_addc_co_u32_e32 v1, vcc, v3, v1, vcc
	v_fmac_f32_e32 v16, v6, v8
	v_add_co_u32_e32 v0, vcc, v0, v2
	v_mul_f32_e32 v5, s30, v16
	v_addc_co_u32_e32 v1, vcc, 0, v1, vcc
	flat_store_dword v[0:1], v5
.LBB153_15:
	s_endpgm
	.section	.rodata,"a",@progbits
	.p2align	6, 0x0
	.amdhsa_kernel _ZL23rocblas_trmm_rTx_kernelILi32ELb0EffKPKfKPfEv13rocblas_fill_17rocblas_diagonal_iiT2_lPT3_llS9_llPT4_lli
		.amdhsa_group_segment_fixed_size 8192
		.amdhsa_private_segment_fixed_size 0
		.amdhsa_kernarg_size 108
		.amdhsa_user_sgpr_count 6
		.amdhsa_user_sgpr_private_segment_buffer 1
		.amdhsa_user_sgpr_dispatch_ptr 0
		.amdhsa_user_sgpr_queue_ptr 0
		.amdhsa_user_sgpr_kernarg_segment_ptr 1
		.amdhsa_user_sgpr_dispatch_id 0
		.amdhsa_user_sgpr_flat_scratch_init 0
		.amdhsa_user_sgpr_private_segment_size 0
		.amdhsa_uses_dynamic_stack 0
		.amdhsa_system_sgpr_private_segment_wavefront_offset 0
		.amdhsa_system_sgpr_workgroup_id_x 1
		.amdhsa_system_sgpr_workgroup_id_y 0
		.amdhsa_system_sgpr_workgroup_id_z 1
		.amdhsa_system_sgpr_workgroup_info 0
		.amdhsa_system_vgpr_workitem_id 1
		.amdhsa_next_free_vgpr 29
		.amdhsa_next_free_sgpr 61
		.amdhsa_reserve_vcc 1
		.amdhsa_reserve_flat_scratch 0
		.amdhsa_float_round_mode_32 0
		.amdhsa_float_round_mode_16_64 0
		.amdhsa_float_denorm_mode_32 3
		.amdhsa_float_denorm_mode_16_64 3
		.amdhsa_dx10_clamp 1
		.amdhsa_ieee_mode 1
		.amdhsa_fp16_overflow 0
		.amdhsa_exception_fp_ieee_invalid_op 0
		.amdhsa_exception_fp_denorm_src 0
		.amdhsa_exception_fp_ieee_div_zero 0
		.amdhsa_exception_fp_ieee_overflow 0
		.amdhsa_exception_fp_ieee_underflow 0
		.amdhsa_exception_fp_ieee_inexact 0
		.amdhsa_exception_int_div_zero 0
	.end_amdhsa_kernel
	.section	.text._ZL23rocblas_trmm_rTx_kernelILi32ELb0EffKPKfKPfEv13rocblas_fill_17rocblas_diagonal_iiT2_lPT3_llS9_llPT4_lli,"axG",@progbits,_ZL23rocblas_trmm_rTx_kernelILi32ELb0EffKPKfKPfEv13rocblas_fill_17rocblas_diagonal_iiT2_lPT3_llS9_llPT4_lli,comdat
.Lfunc_end153:
	.size	_ZL23rocblas_trmm_rTx_kernelILi32ELb0EffKPKfKPfEv13rocblas_fill_17rocblas_diagonal_iiT2_lPT3_llS9_llPT4_lli, .Lfunc_end153-_ZL23rocblas_trmm_rTx_kernelILi32ELb0EffKPKfKPfEv13rocblas_fill_17rocblas_diagonal_iiT2_lPT3_llS9_llPT4_lli
                                        ; -- End function
	.set _ZL23rocblas_trmm_rTx_kernelILi32ELb0EffKPKfKPfEv13rocblas_fill_17rocblas_diagonal_iiT2_lPT3_llS9_llPT4_lli.num_vgpr, 18
	.set _ZL23rocblas_trmm_rTx_kernelILi32ELb0EffKPKfKPfEv13rocblas_fill_17rocblas_diagonal_iiT2_lPT3_llS9_llPT4_lli.num_agpr, 0
	.set _ZL23rocblas_trmm_rTx_kernelILi32ELb0EffKPKfKPfEv13rocblas_fill_17rocblas_diagonal_iiT2_lPT3_llS9_llPT4_lli.numbered_sgpr, 31
	.set _ZL23rocblas_trmm_rTx_kernelILi32ELb0EffKPKfKPfEv13rocblas_fill_17rocblas_diagonal_iiT2_lPT3_llS9_llPT4_lli.num_named_barrier, 0
	.set _ZL23rocblas_trmm_rTx_kernelILi32ELb0EffKPKfKPfEv13rocblas_fill_17rocblas_diagonal_iiT2_lPT3_llS9_llPT4_lli.private_seg_size, 0
	.set _ZL23rocblas_trmm_rTx_kernelILi32ELb0EffKPKfKPfEv13rocblas_fill_17rocblas_diagonal_iiT2_lPT3_llS9_llPT4_lli.uses_vcc, 1
	.set _ZL23rocblas_trmm_rTx_kernelILi32ELb0EffKPKfKPfEv13rocblas_fill_17rocblas_diagonal_iiT2_lPT3_llS9_llPT4_lli.uses_flat_scratch, 0
	.set _ZL23rocblas_trmm_rTx_kernelILi32ELb0EffKPKfKPfEv13rocblas_fill_17rocblas_diagonal_iiT2_lPT3_llS9_llPT4_lli.has_dyn_sized_stack, 0
	.set _ZL23rocblas_trmm_rTx_kernelILi32ELb0EffKPKfKPfEv13rocblas_fill_17rocblas_diagonal_iiT2_lPT3_llS9_llPT4_lli.has_recursion, 0
	.set _ZL23rocblas_trmm_rTx_kernelILi32ELb0EffKPKfKPfEv13rocblas_fill_17rocblas_diagonal_iiT2_lPT3_llS9_llPT4_lli.has_indirect_call, 0
	.section	.AMDGPU.csdata,"",@progbits
; Kernel info:
; codeLenInByte = 1148
; TotalNumSgprs: 35
; NumVgprs: 18
; ScratchSize: 0
; MemoryBound: 0
; FloatMode: 240
; IeeeMode: 1
; LDSByteSize: 8192 bytes/workgroup (compile time only)
; SGPRBlocks: 8
; VGPRBlocks: 7
; NumSGPRsForWavesPerEU: 65
; NumVGPRsForWavesPerEU: 29
; Occupancy: 8
; WaveLimiterHint : 1
; COMPUTE_PGM_RSRC2:SCRATCH_EN: 0
; COMPUTE_PGM_RSRC2:USER_SGPR: 6
; COMPUTE_PGM_RSRC2:TRAP_HANDLER: 0
; COMPUTE_PGM_RSRC2:TGID_X_EN: 1
; COMPUTE_PGM_RSRC2:TGID_Y_EN: 0
; COMPUTE_PGM_RSRC2:TGID_Z_EN: 1
; COMPUTE_PGM_RSRC2:TIDIG_COMP_CNT: 1
	.section	.text._ZL23rocblas_trmm_rTx_kernelILi32ELb1EfPKfKS1_KPfEv13rocblas_fill_17rocblas_diagonal_iiT2_lPT3_llS9_llPT4_lli,"axG",@progbits,_ZL23rocblas_trmm_rTx_kernelILi32ELb1EfPKfKS1_KPfEv13rocblas_fill_17rocblas_diagonal_iiT2_lPT3_llS9_llPT4_lli,comdat
	.globl	_ZL23rocblas_trmm_rTx_kernelILi32ELb1EfPKfKS1_KPfEv13rocblas_fill_17rocblas_diagonal_iiT2_lPT3_llS9_llPT4_lli ; -- Begin function _ZL23rocblas_trmm_rTx_kernelILi32ELb1EfPKfKS1_KPfEv13rocblas_fill_17rocblas_diagonal_iiT2_lPT3_llS9_llPT4_lli
	.p2align	8
	.type	_ZL23rocblas_trmm_rTx_kernelILi32ELb1EfPKfKS1_KPfEv13rocblas_fill_17rocblas_diagonal_iiT2_lPT3_llS9_llPT4_lli,@function
_ZL23rocblas_trmm_rTx_kernelILi32ELb1EfPKfKS1_KPfEv13rocblas_fill_17rocblas_diagonal_iiT2_lPT3_llS9_llPT4_lli: ; @_ZL23rocblas_trmm_rTx_kernelILi32ELb1EfPKfKS1_KPfEv13rocblas_fill_17rocblas_diagonal_iiT2_lPT3_llS9_llPT4_lli
; %bb.0:
	s_load_dwordx16 s[8:23], s[4:5], 0x10
	s_waitcnt lgkmcnt(0)
	s_mul_i32 s0, s11, s7
	s_mul_hi_u32 s1, s10, s7
	s_add_i32 s1, s1, s0
	s_mul_i32 s0, s10, s7
	s_lshl_b64 s[0:1], s[0:1], 2
	s_add_u32 s0, s8, s0
	s_addc_u32 s1, s9, s1
	s_load_dword s30, s[0:1], 0x0
	s_waitcnt lgkmcnt(0)
	v_cmp_eq_f32_e64 s[0:1], s30, 0
	s_and_b64 vcc, exec, s[0:1]
	s_cbranch_vccnz .LBB154_15
; %bb.1:
	s_load_dwordx4 s[8:11], s[4:5], 0x0
	s_load_dwordx4 s[0:3], s[4:5], 0x50
	s_mov_b32 s24, s7
	s_mov_b32 s25, 0
	s_lshl_b64 s[28:29], s[24:25], 3
	s_add_u32 s18, s18, s28
	s_addc_u32 s19, s19, s29
	s_waitcnt lgkmcnt(0)
	s_add_u32 s0, s0, s28
	s_addc_u32 s1, s1, s29
	s_load_dwordx2 s[24:25], s[18:19], 0x0
	v_lshlrev_b32_e32 v2, 5, v1
	s_load_dwordx2 s[18:19], s[0:1], 0x0
	v_add_lshl_u32 v3, v2, v0, 2
	v_mov_b32_e32 v2, 0
	v_cmp_gt_i32_e32 vcc, s11, v1
	v_cmp_gt_i32_e64 s[0:1], s11, v0
	ds_write2st64_b32 v3, v2, v2 offset1:16
	s_and_b64 s[0:1], vcc, s[0:1]
	v_lshlrev_b32_e32 v2, 2, v0
	s_and_saveexec_b64 s[26:27], s[0:1]
	s_cbranch_execz .LBB154_3
; %bb.2:
	v_mad_u64_u32 v[4:5], s[0:1], s14, v1, 0
	s_add_u32 s0, s12, s28
	s_addc_u32 s1, s13, s29
	s_load_dwordx2 s[0:1], s[0:1], 0x0
	v_mad_u64_u32 v[5:6], s[12:13], s15, v1, v[5:6]
	s_lshl_b64 s[12:13], s[16:17], 2
	s_waitcnt lgkmcnt(0)
	s_add_u32 s0, s0, s12
	v_lshlrev_b64 v[4:5], 2, v[4:5]
	s_addc_u32 s1, s1, s13
	v_mov_b32_e32 v6, s1
	v_add_co_u32_e64 v4, s[0:1], s0, v4
	v_addc_co_u32_e64 v5, s[0:1], v6, v5, s[0:1]
	v_add_co_u32_e64 v4, s[0:1], v4, v2
	v_addc_co_u32_e64 v5, s[0:1], 0, v5, s[0:1]
	flat_load_dword v4, v[4:5]
	s_waitcnt vmcnt(0) lgkmcnt(0)
	ds_write_b32 v3, v4
.LBB154_3:
	s_or_b64 exec, exec, s[26:27]
	s_add_i32 s0, s10, -1
	s_ashr_i32 s1, s0, 31
	s_lshr_b32 s1, s1, 27
	s_add_i32 s0, s0, s1
	s_ashr_i32 s1, s0, 5
	s_andn2_b32 s0, s0, 31
	s_sub_i32 s0, s10, s0
	s_cmp_ge_i32 s6, s1
	s_cselect_b32 s0, s0, 32
	s_lshl_b32 s6, s6, 5
	v_cmp_gt_i32_e64 s[0:1], s0, v0
	s_ashr_i32 s7, s6, 31
	s_and_b64 s[0:1], vcc, s[0:1]
	s_and_saveexec_b64 s[10:11], s[0:1]
	s_cbranch_execz .LBB154_5
; %bb.4:
	v_mad_u64_u32 v[4:5], s[12:13], s20, v1, 0
	s_lshl_b64 s[12:13], s[22:23], 2
	s_waitcnt lgkmcnt(0)
	s_add_u32 s14, s24, s12
	s_addc_u32 s15, s25, s13
	v_mad_u64_u32 v[5:6], s[12:13], s21, v1, v[5:6]
	s_lshl_b64 s[12:13], s[6:7], 2
	s_add_u32 s12, s14, s12
	v_lshlrev_b64 v[4:5], 2, v[4:5]
	s_addc_u32 s13, s15, s13
	v_mov_b32_e32 v6, s13
	v_add_co_u32_e32 v4, vcc, s12, v4
	v_addc_co_u32_e32 v5, vcc, v6, v5, vcc
	v_add_co_u32_e32 v4, vcc, v4, v2
	v_addc_co_u32_e32 v5, vcc, 0, v5, vcc
	flat_load_dword v4, v[4:5]
	v_add_u32_e32 v5, 0x1000, v3
	s_waitcnt vmcnt(0) lgkmcnt(0)
	ds_write_b32 v5, v4
.LBB154_5:
	s_or_b64 exec, exec, s[10:11]
	s_cmpk_eq_i32 s9, 0x84
	s_cselect_b64 s[10:11], -1, 0
	v_cmp_eq_u32_e32 vcc, v1, v0
	s_and_b64 s[12:13], vcc, s[10:11]
	s_and_saveexec_b64 s[10:11], s[12:13]
; %bb.6:
	v_mov_b32_e32 v4, 1.0
	ds_write_b32 v3, v4
; %bb.7:
	s_or_b64 exec, exec, s[10:11]
	s_cmpk_lg_i32 s8, 0x79
	s_cbranch_scc0 .LBB154_9
; %bb.8:
	v_cmp_lt_u32_e32 vcc, v0, v1
	s_and_b64 s[8:9], vcc, exec
	s_cbranch_execz .LBB154_10
	s_branch .LBB154_11
.LBB154_9:
	s_mov_b64 s[8:9], 0
.LBB154_10:
	v_cmp_gt_u32_e32 vcc, v0, v1
	s_andn2_b64 s[8:9], s[8:9], exec
	s_and_b64 s[10:11], vcc, exec
	s_or_b64 s[8:9], s[8:9], s[10:11]
.LBB154_11:
	s_and_saveexec_b64 s[10:11], s[8:9]
; %bb.12:
	v_mov_b32_e32 v0, 0
	ds_write_b32 v3, v0
; %bb.13:
	s_or_b64 exec, exec, s[10:11]
	s_waitcnt lgkmcnt(0)
	s_barrier
	s_and_saveexec_b64 s[8:9], s[0:1]
	s_cbranch_execz .LBB154_15
; %bb.14:
	v_add_u32_e32 v0, 0x1000, v2
	ds_read2_b32 v[3:4], v0 offset1:32
	v_lshlrev_b32_e32 v15, 2, v1
	ds_read2_b32 v[5:6], v15 offset1:32
	ds_read2_b32 v[7:8], v0 offset0:64 offset1:96
	ds_read2_b32 v[9:10], v15 offset0:64 offset1:96
	;; [unrolled: 1-line block ×4, first 2 shown]
	v_add_u32_e32 v17, 0x400, v15
	s_load_dwordx2 s[0:1], s[4:5], 0x60
	s_waitcnt lgkmcnt(0)
	v_fma_f32 v16, v3, v5, 0
	v_fmac_f32_e32 v16, v4, v6
	ds_read2_b32 v[3:4], v0 offset0:192 offset1:224
	ds_read2_b32 v[5:6], v15 offset0:192 offset1:224
	v_fmac_f32_e32 v16, v7, v9
	v_add_u32_e32 v0, 0x1400, v2
	v_fmac_f32_e32 v16, v8, v10
	ds_read2_b32 v[7:8], v0 offset1:32
	v_fmac_f32_e32 v16, v11, v13
	v_fmac_f32_e32 v16, v12, v14
	ds_read2_b32 v[9:10], v17 offset1:32
	ds_read2_b32 v[11:12], v0 offset0:64 offset1:96
	ds_read2_b32 v[13:14], v17 offset0:64 offset1:96
	s_waitcnt lgkmcnt(4)
	v_fmac_f32_e32 v16, v3, v5
	v_fmac_f32_e32 v16, v4, v6
	s_waitcnt lgkmcnt(2)
	v_fmac_f32_e32 v16, v7, v9
	v_fmac_f32_e32 v16, v8, v10
	ds_read2_b32 v[3:4], v0 offset0:128 offset1:160
	ds_read2_b32 v[5:6], v17 offset0:128 offset1:160
	;; [unrolled: 1-line block ×4, first 2 shown]
	s_waitcnt lgkmcnt(4)
	v_fmac_f32_e32 v16, v11, v13
	v_add_u32_e32 v0, 0x1800, v2
	v_add_u32_e32 v17, 0x800, v15
	v_fmac_f32_e32 v16, v12, v14
	ds_read2_b32 v[11:12], v0 offset1:32
	ds_read2_b32 v[13:14], v17 offset1:32
	s_waitcnt lgkmcnt(4)
	v_fmac_f32_e32 v16, v3, v5
	v_fmac_f32_e32 v16, v4, v6
	s_waitcnt lgkmcnt(2)
	v_fmac_f32_e32 v16, v7, v9
	v_fmac_f32_e32 v16, v8, v10
	;; [unrolled: 3-line block ×3, first 2 shown]
	ds_read2_b32 v[3:4], v0 offset0:64 offset1:96
	ds_read2_b32 v[5:6], v17 offset0:64 offset1:96
	;; [unrolled: 1-line block ×6, first 2 shown]
	s_waitcnt lgkmcnt(4)
	v_fmac_f32_e32 v16, v3, v5
	v_add_u32_e32 v0, 0x1c00, v2
	v_fmac_f32_e32 v16, v4, v6
	ds_read2_b32 v[3:4], v0 offset1:32
	s_waitcnt lgkmcnt(3)
	v_fmac_f32_e32 v16, v7, v9
	s_lshl_b64 s[0:1], s[0:1], 2
	v_fmac_f32_e32 v16, v8, v10
	s_add_u32 s4, s18, s0
	s_waitcnt lgkmcnt(1)
	v_fmac_f32_e32 v16, v11, v13
	v_add_u32_e32 v15, 0xc00, v15
	s_addc_u32 s5, s19, s1
	s_lshl_b64 s[0:1], s[6:7], 2
	v_fmac_f32_e32 v16, v12, v14
	ds_read2_b32 v[5:6], v15 offset1:32
	ds_read2_b32 v[7:8], v0 offset0:64 offset1:96
	ds_read2_b32 v[9:10], v15 offset0:64 offset1:96
	;; [unrolled: 1-line block ×4, first 2 shown]
	s_add_u32 s4, s4, s0
	s_waitcnt lgkmcnt(4)
	v_fmac_f32_e32 v16, v3, v5
	s_addc_u32 s5, s5, s1
	v_fmac_f32_e32 v16, v4, v6
	v_mad_u64_u32 v[3:4], s[0:1], s2, v1, 0
	s_waitcnt lgkmcnt(2)
	v_fmac_f32_e32 v16, v7, v9
	v_fmac_f32_e32 v16, v8, v10
	ds_read2_b32 v[5:6], v0 offset0:192 offset1:224
	ds_read2_b32 v[7:8], v15 offset0:192 offset1:224
	v_mov_b32_e32 v0, v4
	v_mad_u64_u32 v[0:1], s[0:1], s3, v1, v[0:1]
	s_waitcnt lgkmcnt(2)
	v_fmac_f32_e32 v16, v11, v13
	v_fmac_f32_e32 v16, v12, v14
	v_mov_b32_e32 v4, v0
	v_lshlrev_b64 v[0:1], 2, v[3:4]
	v_mov_b32_e32 v3, s5
	v_add_co_u32_e32 v0, vcc, s4, v0
	s_waitcnt lgkmcnt(0)
	v_fmac_f32_e32 v16, v5, v7
	v_addc_co_u32_e32 v1, vcc, v3, v1, vcc
	v_fmac_f32_e32 v16, v6, v8
	v_add_co_u32_e32 v0, vcc, v0, v2
	v_mul_f32_e32 v5, s30, v16
	v_addc_co_u32_e32 v1, vcc, 0, v1, vcc
	flat_store_dword v[0:1], v5
.LBB154_15:
	s_endpgm
	.section	.rodata,"a",@progbits
	.p2align	6, 0x0
	.amdhsa_kernel _ZL23rocblas_trmm_rTx_kernelILi32ELb1EfPKfKS1_KPfEv13rocblas_fill_17rocblas_diagonal_iiT2_lPT3_llS9_llPT4_lli
		.amdhsa_group_segment_fixed_size 8192
		.amdhsa_private_segment_fixed_size 0
		.amdhsa_kernarg_size 108
		.amdhsa_user_sgpr_count 6
		.amdhsa_user_sgpr_private_segment_buffer 1
		.amdhsa_user_sgpr_dispatch_ptr 0
		.amdhsa_user_sgpr_queue_ptr 0
		.amdhsa_user_sgpr_kernarg_segment_ptr 1
		.amdhsa_user_sgpr_dispatch_id 0
		.amdhsa_user_sgpr_flat_scratch_init 0
		.amdhsa_user_sgpr_private_segment_size 0
		.amdhsa_uses_dynamic_stack 0
		.amdhsa_system_sgpr_private_segment_wavefront_offset 0
		.amdhsa_system_sgpr_workgroup_id_x 1
		.amdhsa_system_sgpr_workgroup_id_y 0
		.amdhsa_system_sgpr_workgroup_id_z 1
		.amdhsa_system_sgpr_workgroup_info 0
		.amdhsa_system_vgpr_workitem_id 1
		.amdhsa_next_free_vgpr 29
		.amdhsa_next_free_sgpr 61
		.amdhsa_reserve_vcc 1
		.amdhsa_reserve_flat_scratch 0
		.amdhsa_float_round_mode_32 0
		.amdhsa_float_round_mode_16_64 0
		.amdhsa_float_denorm_mode_32 3
		.amdhsa_float_denorm_mode_16_64 3
		.amdhsa_dx10_clamp 1
		.amdhsa_ieee_mode 1
		.amdhsa_fp16_overflow 0
		.amdhsa_exception_fp_ieee_invalid_op 0
		.amdhsa_exception_fp_denorm_src 0
		.amdhsa_exception_fp_ieee_div_zero 0
		.amdhsa_exception_fp_ieee_overflow 0
		.amdhsa_exception_fp_ieee_underflow 0
		.amdhsa_exception_fp_ieee_inexact 0
		.amdhsa_exception_int_div_zero 0
	.end_amdhsa_kernel
	.section	.text._ZL23rocblas_trmm_rTx_kernelILi32ELb1EfPKfKS1_KPfEv13rocblas_fill_17rocblas_diagonal_iiT2_lPT3_llS9_llPT4_lli,"axG",@progbits,_ZL23rocblas_trmm_rTx_kernelILi32ELb1EfPKfKS1_KPfEv13rocblas_fill_17rocblas_diagonal_iiT2_lPT3_llS9_llPT4_lli,comdat
.Lfunc_end154:
	.size	_ZL23rocblas_trmm_rTx_kernelILi32ELb1EfPKfKS1_KPfEv13rocblas_fill_17rocblas_diagonal_iiT2_lPT3_llS9_llPT4_lli, .Lfunc_end154-_ZL23rocblas_trmm_rTx_kernelILi32ELb1EfPKfKS1_KPfEv13rocblas_fill_17rocblas_diagonal_iiT2_lPT3_llS9_llPT4_lli
                                        ; -- End function
	.set _ZL23rocblas_trmm_rTx_kernelILi32ELb1EfPKfKS1_KPfEv13rocblas_fill_17rocblas_diagonal_iiT2_lPT3_llS9_llPT4_lli.num_vgpr, 18
	.set _ZL23rocblas_trmm_rTx_kernelILi32ELb1EfPKfKS1_KPfEv13rocblas_fill_17rocblas_diagonal_iiT2_lPT3_llS9_llPT4_lli.num_agpr, 0
	.set _ZL23rocblas_trmm_rTx_kernelILi32ELb1EfPKfKS1_KPfEv13rocblas_fill_17rocblas_diagonal_iiT2_lPT3_llS9_llPT4_lli.numbered_sgpr, 31
	.set _ZL23rocblas_trmm_rTx_kernelILi32ELb1EfPKfKS1_KPfEv13rocblas_fill_17rocblas_diagonal_iiT2_lPT3_llS9_llPT4_lli.num_named_barrier, 0
	.set _ZL23rocblas_trmm_rTx_kernelILi32ELb1EfPKfKS1_KPfEv13rocblas_fill_17rocblas_diagonal_iiT2_lPT3_llS9_llPT4_lli.private_seg_size, 0
	.set _ZL23rocblas_trmm_rTx_kernelILi32ELb1EfPKfKS1_KPfEv13rocblas_fill_17rocblas_diagonal_iiT2_lPT3_llS9_llPT4_lli.uses_vcc, 1
	.set _ZL23rocblas_trmm_rTx_kernelILi32ELb1EfPKfKS1_KPfEv13rocblas_fill_17rocblas_diagonal_iiT2_lPT3_llS9_llPT4_lli.uses_flat_scratch, 0
	.set _ZL23rocblas_trmm_rTx_kernelILi32ELb1EfPKfKS1_KPfEv13rocblas_fill_17rocblas_diagonal_iiT2_lPT3_llS9_llPT4_lli.has_dyn_sized_stack, 0
	.set _ZL23rocblas_trmm_rTx_kernelILi32ELb1EfPKfKS1_KPfEv13rocblas_fill_17rocblas_diagonal_iiT2_lPT3_llS9_llPT4_lli.has_recursion, 0
	.set _ZL23rocblas_trmm_rTx_kernelILi32ELb1EfPKfKS1_KPfEv13rocblas_fill_17rocblas_diagonal_iiT2_lPT3_llS9_llPT4_lli.has_indirect_call, 0
	.section	.AMDGPU.csdata,"",@progbits
; Kernel info:
; codeLenInByte = 1188
; TotalNumSgprs: 35
; NumVgprs: 18
; ScratchSize: 0
; MemoryBound: 0
; FloatMode: 240
; IeeeMode: 1
; LDSByteSize: 8192 bytes/workgroup (compile time only)
; SGPRBlocks: 8
; VGPRBlocks: 7
; NumSGPRsForWavesPerEU: 65
; NumVGPRsForWavesPerEU: 29
; Occupancy: 8
; WaveLimiterHint : 1
; COMPUTE_PGM_RSRC2:SCRATCH_EN: 0
; COMPUTE_PGM_RSRC2:USER_SGPR: 6
; COMPUTE_PGM_RSRC2:TRAP_HANDLER: 0
; COMPUTE_PGM_RSRC2:TGID_X_EN: 1
; COMPUTE_PGM_RSRC2:TGID_Y_EN: 0
; COMPUTE_PGM_RSRC2:TGID_Z_EN: 1
; COMPUTE_PGM_RSRC2:TIDIG_COMP_CNT: 1
	.section	.text._ZL23rocblas_trmm_rTx_kernelILi32ELb1EffKPKfKPfEv13rocblas_fill_17rocblas_diagonal_iiT2_lPT3_llS9_llPT4_lli,"axG",@progbits,_ZL23rocblas_trmm_rTx_kernelILi32ELb1EffKPKfKPfEv13rocblas_fill_17rocblas_diagonal_iiT2_lPT3_llS9_llPT4_lli,comdat
	.globl	_ZL23rocblas_trmm_rTx_kernelILi32ELb1EffKPKfKPfEv13rocblas_fill_17rocblas_diagonal_iiT2_lPT3_llS9_llPT4_lli ; -- Begin function _ZL23rocblas_trmm_rTx_kernelILi32ELb1EffKPKfKPfEv13rocblas_fill_17rocblas_diagonal_iiT2_lPT3_llS9_llPT4_lli
	.p2align	8
	.type	_ZL23rocblas_trmm_rTx_kernelILi32ELb1EffKPKfKPfEv13rocblas_fill_17rocblas_diagonal_iiT2_lPT3_llS9_llPT4_lli,@function
_ZL23rocblas_trmm_rTx_kernelILi32ELb1EffKPKfKPfEv13rocblas_fill_17rocblas_diagonal_iiT2_lPT3_llS9_llPT4_lli: ; @_ZL23rocblas_trmm_rTx_kernelILi32ELb1EffKPKfKPfEv13rocblas_fill_17rocblas_diagonal_iiT2_lPT3_llS9_llPT4_lli
; %bb.0:
	s_load_dword s30, s[4:5], 0x10
	s_mov_b32 s1, 0
	s_waitcnt lgkmcnt(0)
	v_cmp_eq_f32_e64 s[2:3], s30, 0
	s_and_b64 vcc, exec, s[2:3]
	s_cbranch_vccnz .LBB155_15
; %bb.1:
	s_load_dwordx16 s[8:23], s[4:5], 0x20
	s_load_dwordx4 s[24:27], s[4:5], 0x0
	s_mov_b32 s0, s7
	s_lshl_b64 s[28:29], s[0:1], 3
	v_lshlrev_b32_e32 v2, 5, v1
	s_waitcnt lgkmcnt(0)
	s_add_u32 s0, s14, s28
	s_addc_u32 s1, s15, s29
	s_load_dwordx2 s[14:15], s[0:1], 0x0
	s_add_u32 s0, s20, s28
	s_addc_u32 s1, s21, s29
	s_load_dwordx2 s[2:3], s[0:1], 0x0
	v_add_lshl_u32 v3, v2, v0, 2
	v_mov_b32_e32 v2, 0
	v_cmp_gt_i32_e32 vcc, s27, v1
	v_cmp_gt_i32_e64 s[0:1], s27, v0
	ds_write2st64_b32 v3, v2, v2 offset1:16
	s_and_b64 s[0:1], vcc, s[0:1]
	v_lshlrev_b32_e32 v2, 2, v0
	s_and_saveexec_b64 s[20:21], s[0:1]
	s_cbranch_execz .LBB155_3
; %bb.2:
	v_mad_u64_u32 v[4:5], s[0:1], s10, v1, 0
	s_add_u32 s0, s8, s28
	s_addc_u32 s1, s9, s29
	s_load_dwordx2 s[0:1], s[0:1], 0x0
	v_mad_u64_u32 v[5:6], s[8:9], s11, v1, v[5:6]
	s_lshl_b64 s[8:9], s[12:13], 2
	s_waitcnt lgkmcnt(0)
	s_add_u32 s0, s0, s8
	v_lshlrev_b64 v[4:5], 2, v[4:5]
	s_addc_u32 s1, s1, s9
	v_mov_b32_e32 v6, s1
	v_add_co_u32_e64 v4, s[0:1], s0, v4
	v_addc_co_u32_e64 v5, s[0:1], v6, v5, s[0:1]
	v_add_co_u32_e64 v4, s[0:1], v4, v2
	v_addc_co_u32_e64 v5, s[0:1], 0, v5, s[0:1]
	flat_load_dword v4, v[4:5]
	s_waitcnt vmcnt(0) lgkmcnt(0)
	ds_write_b32 v3, v4
.LBB155_3:
	s_or_b64 exec, exec, s[20:21]
	s_add_i32 s0, s26, -1
	s_ashr_i32 s1, s0, 31
	s_lshr_b32 s1, s1, 27
	s_add_i32 s0, s0, s1
	s_ashr_i32 s1, s0, 5
	s_andn2_b32 s0, s0, 31
	s_sub_i32 s0, s26, s0
	s_cmp_ge_i32 s6, s1
	s_cselect_b32 s0, s0, 32
	s_lshl_b32 s6, s6, 5
	v_cmp_gt_i32_e64 s[0:1], s0, v0
	s_ashr_i32 s7, s6, 31
	s_and_b64 s[0:1], vcc, s[0:1]
	s_and_saveexec_b64 s[8:9], s[0:1]
	s_cbranch_execz .LBB155_5
; %bb.4:
	v_mad_u64_u32 v[4:5], s[10:11], s16, v1, 0
	s_lshl_b64 s[10:11], s[18:19], 2
	s_waitcnt lgkmcnt(0)
	s_add_u32 s12, s14, s10
	s_addc_u32 s13, s15, s11
	v_mad_u64_u32 v[5:6], s[10:11], s17, v1, v[5:6]
	s_lshl_b64 s[10:11], s[6:7], 2
	s_add_u32 s10, s12, s10
	v_lshlrev_b64 v[4:5], 2, v[4:5]
	s_addc_u32 s11, s13, s11
	v_mov_b32_e32 v6, s11
	v_add_co_u32_e32 v4, vcc, s10, v4
	v_addc_co_u32_e32 v5, vcc, v6, v5, vcc
	v_add_co_u32_e32 v4, vcc, v4, v2
	v_addc_co_u32_e32 v5, vcc, 0, v5, vcc
	flat_load_dword v4, v[4:5]
	v_add_u32_e32 v5, 0x1000, v3
	s_waitcnt vmcnt(0) lgkmcnt(0)
	ds_write_b32 v5, v4
.LBB155_5:
	s_or_b64 exec, exec, s[8:9]
	s_cmpk_eq_i32 s25, 0x84
	s_cselect_b64 s[8:9], -1, 0
	v_cmp_eq_u32_e32 vcc, v1, v0
	s_and_b64 s[10:11], vcc, s[8:9]
	s_and_saveexec_b64 s[8:9], s[10:11]
; %bb.6:
	v_mov_b32_e32 v4, 1.0
	ds_write_b32 v3, v4
; %bb.7:
	s_or_b64 exec, exec, s[8:9]
	s_cmpk_lg_i32 s24, 0x79
	s_cbranch_scc0 .LBB155_9
; %bb.8:
	v_cmp_lt_u32_e32 vcc, v0, v1
	s_and_b64 s[8:9], vcc, exec
	s_cbranch_execz .LBB155_10
	s_branch .LBB155_11
.LBB155_9:
	s_mov_b64 s[8:9], 0
.LBB155_10:
	v_cmp_gt_u32_e32 vcc, v0, v1
	s_andn2_b64 s[8:9], s[8:9], exec
	s_and_b64 s[10:11], vcc, exec
	s_or_b64 s[8:9], s[8:9], s[10:11]
.LBB155_11:
	s_and_saveexec_b64 s[10:11], s[8:9]
; %bb.12:
	v_mov_b32_e32 v0, 0
	ds_write_b32 v3, v0
; %bb.13:
	s_or_b64 exec, exec, s[10:11]
	s_waitcnt lgkmcnt(0)
	s_barrier
	s_and_saveexec_b64 s[8:9], s[0:1]
	s_cbranch_execz .LBB155_15
; %bb.14:
	v_add_u32_e32 v0, 0x1000, v2
	ds_read2_b32 v[3:4], v0 offset1:32
	v_lshlrev_b32_e32 v15, 2, v1
	ds_read2_b32 v[5:6], v15 offset1:32
	ds_read2_b32 v[7:8], v0 offset0:64 offset1:96
	ds_read2_b32 v[9:10], v15 offset0:64 offset1:96
	;; [unrolled: 1-line block ×4, first 2 shown]
	v_add_u32_e32 v17, 0x400, v15
	s_load_dwordx2 s[0:1], s[4:5], 0x60
	s_waitcnt lgkmcnt(0)
	v_fma_f32 v16, v3, v5, 0
	v_fmac_f32_e32 v16, v4, v6
	ds_read2_b32 v[3:4], v0 offset0:192 offset1:224
	ds_read2_b32 v[5:6], v15 offset0:192 offset1:224
	v_fmac_f32_e32 v16, v7, v9
	v_add_u32_e32 v0, 0x1400, v2
	v_fmac_f32_e32 v16, v8, v10
	ds_read2_b32 v[7:8], v0 offset1:32
	v_fmac_f32_e32 v16, v11, v13
	v_fmac_f32_e32 v16, v12, v14
	ds_read2_b32 v[9:10], v17 offset1:32
	ds_read2_b32 v[11:12], v0 offset0:64 offset1:96
	ds_read2_b32 v[13:14], v17 offset0:64 offset1:96
	s_waitcnt lgkmcnt(4)
	v_fmac_f32_e32 v16, v3, v5
	v_fmac_f32_e32 v16, v4, v6
	s_waitcnt lgkmcnt(2)
	v_fmac_f32_e32 v16, v7, v9
	v_fmac_f32_e32 v16, v8, v10
	ds_read2_b32 v[3:4], v0 offset0:128 offset1:160
	ds_read2_b32 v[5:6], v17 offset0:128 offset1:160
	;; [unrolled: 1-line block ×4, first 2 shown]
	s_waitcnt lgkmcnt(4)
	v_fmac_f32_e32 v16, v11, v13
	v_add_u32_e32 v0, 0x1800, v2
	v_add_u32_e32 v17, 0x800, v15
	v_fmac_f32_e32 v16, v12, v14
	ds_read2_b32 v[11:12], v0 offset1:32
	ds_read2_b32 v[13:14], v17 offset1:32
	s_waitcnt lgkmcnt(4)
	v_fmac_f32_e32 v16, v3, v5
	v_fmac_f32_e32 v16, v4, v6
	s_waitcnt lgkmcnt(2)
	v_fmac_f32_e32 v16, v7, v9
	v_fmac_f32_e32 v16, v8, v10
	;; [unrolled: 3-line block ×3, first 2 shown]
	ds_read2_b32 v[3:4], v0 offset0:64 offset1:96
	ds_read2_b32 v[5:6], v17 offset0:64 offset1:96
	;; [unrolled: 1-line block ×6, first 2 shown]
	s_waitcnt lgkmcnt(4)
	v_fmac_f32_e32 v16, v3, v5
	v_add_u32_e32 v0, 0x1c00, v2
	v_fmac_f32_e32 v16, v4, v6
	ds_read2_b32 v[3:4], v0 offset1:32
	s_waitcnt lgkmcnt(3)
	v_fmac_f32_e32 v16, v7, v9
	s_lshl_b64 s[0:1], s[0:1], 2
	v_fmac_f32_e32 v16, v8, v10
	s_add_u32 s2, s2, s0
	s_waitcnt lgkmcnt(1)
	v_fmac_f32_e32 v16, v11, v13
	v_add_u32_e32 v15, 0xc00, v15
	s_addc_u32 s3, s3, s1
	s_lshl_b64 s[0:1], s[6:7], 2
	v_fmac_f32_e32 v16, v12, v14
	ds_read2_b32 v[5:6], v15 offset1:32
	ds_read2_b32 v[7:8], v0 offset0:64 offset1:96
	ds_read2_b32 v[9:10], v15 offset0:64 offset1:96
	;; [unrolled: 1-line block ×4, first 2 shown]
	s_add_u32 s2, s2, s0
	s_waitcnt lgkmcnt(4)
	v_fmac_f32_e32 v16, v3, v5
	s_addc_u32 s3, s3, s1
	v_fmac_f32_e32 v16, v4, v6
	v_mad_u64_u32 v[3:4], s[0:1], s22, v1, 0
	s_waitcnt lgkmcnt(2)
	v_fmac_f32_e32 v16, v7, v9
	v_fmac_f32_e32 v16, v8, v10
	ds_read2_b32 v[5:6], v0 offset0:192 offset1:224
	ds_read2_b32 v[7:8], v15 offset0:192 offset1:224
	v_mov_b32_e32 v0, v4
	v_mad_u64_u32 v[0:1], s[0:1], s23, v1, v[0:1]
	s_waitcnt lgkmcnt(2)
	v_fmac_f32_e32 v16, v11, v13
	v_fmac_f32_e32 v16, v12, v14
	v_mov_b32_e32 v4, v0
	v_lshlrev_b64 v[0:1], 2, v[3:4]
	v_mov_b32_e32 v3, s3
	v_add_co_u32_e32 v0, vcc, s2, v0
	s_waitcnt lgkmcnt(0)
	v_fmac_f32_e32 v16, v5, v7
	v_addc_co_u32_e32 v1, vcc, v3, v1, vcc
	v_fmac_f32_e32 v16, v6, v8
	v_add_co_u32_e32 v0, vcc, v0, v2
	v_mul_f32_e32 v5, s30, v16
	v_addc_co_u32_e32 v1, vcc, 0, v1, vcc
	flat_store_dword v[0:1], v5
.LBB155_15:
	s_endpgm
	.section	.rodata,"a",@progbits
	.p2align	6, 0x0
	.amdhsa_kernel _ZL23rocblas_trmm_rTx_kernelILi32ELb1EffKPKfKPfEv13rocblas_fill_17rocblas_diagonal_iiT2_lPT3_llS9_llPT4_lli
		.amdhsa_group_segment_fixed_size 8192
		.amdhsa_private_segment_fixed_size 0
		.amdhsa_kernarg_size 108
		.amdhsa_user_sgpr_count 6
		.amdhsa_user_sgpr_private_segment_buffer 1
		.amdhsa_user_sgpr_dispatch_ptr 0
		.amdhsa_user_sgpr_queue_ptr 0
		.amdhsa_user_sgpr_kernarg_segment_ptr 1
		.amdhsa_user_sgpr_dispatch_id 0
		.amdhsa_user_sgpr_flat_scratch_init 0
		.amdhsa_user_sgpr_private_segment_size 0
		.amdhsa_uses_dynamic_stack 0
		.amdhsa_system_sgpr_private_segment_wavefront_offset 0
		.amdhsa_system_sgpr_workgroup_id_x 1
		.amdhsa_system_sgpr_workgroup_id_y 0
		.amdhsa_system_sgpr_workgroup_id_z 1
		.amdhsa_system_sgpr_workgroup_info 0
		.amdhsa_system_vgpr_workitem_id 1
		.amdhsa_next_free_vgpr 29
		.amdhsa_next_free_sgpr 61
		.amdhsa_reserve_vcc 1
		.amdhsa_reserve_flat_scratch 0
		.amdhsa_float_round_mode_32 0
		.amdhsa_float_round_mode_16_64 0
		.amdhsa_float_denorm_mode_32 3
		.amdhsa_float_denorm_mode_16_64 3
		.amdhsa_dx10_clamp 1
		.amdhsa_ieee_mode 1
		.amdhsa_fp16_overflow 0
		.amdhsa_exception_fp_ieee_invalid_op 0
		.amdhsa_exception_fp_denorm_src 0
		.amdhsa_exception_fp_ieee_div_zero 0
		.amdhsa_exception_fp_ieee_overflow 0
		.amdhsa_exception_fp_ieee_underflow 0
		.amdhsa_exception_fp_ieee_inexact 0
		.amdhsa_exception_int_div_zero 0
	.end_amdhsa_kernel
	.section	.text._ZL23rocblas_trmm_rTx_kernelILi32ELb1EffKPKfKPfEv13rocblas_fill_17rocblas_diagonal_iiT2_lPT3_llS9_llPT4_lli,"axG",@progbits,_ZL23rocblas_trmm_rTx_kernelILi32ELb1EffKPKfKPfEv13rocblas_fill_17rocblas_diagonal_iiT2_lPT3_llS9_llPT4_lli,comdat
.Lfunc_end155:
	.size	_ZL23rocblas_trmm_rTx_kernelILi32ELb1EffKPKfKPfEv13rocblas_fill_17rocblas_diagonal_iiT2_lPT3_llS9_llPT4_lli, .Lfunc_end155-_ZL23rocblas_trmm_rTx_kernelILi32ELb1EffKPKfKPfEv13rocblas_fill_17rocblas_diagonal_iiT2_lPT3_llS9_llPT4_lli
                                        ; -- End function
	.set _ZL23rocblas_trmm_rTx_kernelILi32ELb1EffKPKfKPfEv13rocblas_fill_17rocblas_diagonal_iiT2_lPT3_llS9_llPT4_lli.num_vgpr, 18
	.set _ZL23rocblas_trmm_rTx_kernelILi32ELb1EffKPKfKPfEv13rocblas_fill_17rocblas_diagonal_iiT2_lPT3_llS9_llPT4_lli.num_agpr, 0
	.set _ZL23rocblas_trmm_rTx_kernelILi32ELb1EffKPKfKPfEv13rocblas_fill_17rocblas_diagonal_iiT2_lPT3_llS9_llPT4_lli.numbered_sgpr, 31
	.set _ZL23rocblas_trmm_rTx_kernelILi32ELb1EffKPKfKPfEv13rocblas_fill_17rocblas_diagonal_iiT2_lPT3_llS9_llPT4_lli.num_named_barrier, 0
	.set _ZL23rocblas_trmm_rTx_kernelILi32ELb1EffKPKfKPfEv13rocblas_fill_17rocblas_diagonal_iiT2_lPT3_llS9_llPT4_lli.private_seg_size, 0
	.set _ZL23rocblas_trmm_rTx_kernelILi32ELb1EffKPKfKPfEv13rocblas_fill_17rocblas_diagonal_iiT2_lPT3_llS9_llPT4_lli.uses_vcc, 1
	.set _ZL23rocblas_trmm_rTx_kernelILi32ELb1EffKPKfKPfEv13rocblas_fill_17rocblas_diagonal_iiT2_lPT3_llS9_llPT4_lli.uses_flat_scratch, 0
	.set _ZL23rocblas_trmm_rTx_kernelILi32ELb1EffKPKfKPfEv13rocblas_fill_17rocblas_diagonal_iiT2_lPT3_llS9_llPT4_lli.has_dyn_sized_stack, 0
	.set _ZL23rocblas_trmm_rTx_kernelILi32ELb1EffKPKfKPfEv13rocblas_fill_17rocblas_diagonal_iiT2_lPT3_llS9_llPT4_lli.has_recursion, 0
	.set _ZL23rocblas_trmm_rTx_kernelILi32ELb1EffKPKfKPfEv13rocblas_fill_17rocblas_diagonal_iiT2_lPT3_llS9_llPT4_lli.has_indirect_call, 0
	.section	.AMDGPU.csdata,"",@progbits
; Kernel info:
; codeLenInByte = 1148
; TotalNumSgprs: 35
; NumVgprs: 18
; ScratchSize: 0
; MemoryBound: 0
; FloatMode: 240
; IeeeMode: 1
; LDSByteSize: 8192 bytes/workgroup (compile time only)
; SGPRBlocks: 8
; VGPRBlocks: 7
; NumSGPRsForWavesPerEU: 65
; NumVGPRsForWavesPerEU: 29
; Occupancy: 8
; WaveLimiterHint : 1
; COMPUTE_PGM_RSRC2:SCRATCH_EN: 0
; COMPUTE_PGM_RSRC2:USER_SGPR: 6
; COMPUTE_PGM_RSRC2:TRAP_HANDLER: 0
; COMPUTE_PGM_RSRC2:TGID_X_EN: 1
; COMPUTE_PGM_RSRC2:TGID_Y_EN: 0
; COMPUTE_PGM_RSRC2:TGID_Z_EN: 1
; COMPUTE_PGM_RSRC2:TIDIG_COMP_CNT: 1
	.section	.text._ZL23rocblas_trmm_lNx_kernelILi32EdPKdKS1_KPdEv13rocblas_fill_17rocblas_diagonal_iiT1_lPT2_llS9_llPT3_lli,"axG",@progbits,_ZL23rocblas_trmm_lNx_kernelILi32EdPKdKS1_KPdEv13rocblas_fill_17rocblas_diagonal_iiT1_lPT2_llS9_llPT3_lli,comdat
	.globl	_ZL23rocblas_trmm_lNx_kernelILi32EdPKdKS1_KPdEv13rocblas_fill_17rocblas_diagonal_iiT1_lPT2_llS9_llPT3_lli ; -- Begin function _ZL23rocblas_trmm_lNx_kernelILi32EdPKdKS1_KPdEv13rocblas_fill_17rocblas_diagonal_iiT1_lPT2_llS9_llPT3_lli
	.p2align	8
	.type	_ZL23rocblas_trmm_lNx_kernelILi32EdPKdKS1_KPdEv13rocblas_fill_17rocblas_diagonal_iiT1_lPT2_llS9_llPT3_lli,@function
_ZL23rocblas_trmm_lNx_kernelILi32EdPKdKS1_KPdEv13rocblas_fill_17rocblas_diagonal_iiT1_lPT2_llS9_llPT3_lli: ; @_ZL23rocblas_trmm_lNx_kernelILi32EdPKdKS1_KPdEv13rocblas_fill_17rocblas_diagonal_iiT1_lPT2_llS9_llPT3_lli
; %bb.0:
	s_load_dwordx16 s[8:23], s[4:5], 0x10
	s_waitcnt lgkmcnt(0)
	s_mul_i32 s0, s11, s7
	s_mul_hi_u32 s1, s10, s7
	s_add_i32 s1, s1, s0
	s_mul_i32 s0, s10, s7
	s_lshl_b64 s[0:1], s[0:1], 3
	s_add_u32 s0, s8, s0
	s_addc_u32 s1, s9, s1
	s_load_dwordx2 s[24:25], s[0:1], 0x0
	s_waitcnt lgkmcnt(0)
	v_cmp_eq_f64_e64 s[0:1], s[24:25], 0
	s_and_b64 vcc, exec, s[0:1]
	s_cbranch_vccnz .LBB156_15
; %bb.1:
	s_load_dwordx4 s[8:11], s[4:5], 0x0
	s_load_dwordx4 s[0:3], s[4:5], 0x50
	s_mov_b32 s28, s7
	s_mov_b32 s29, 0
	s_lshl_b64 s[30:31], s[28:29], 3
	s_add_u32 s18, s18, s30
	s_addc_u32 s19, s19, s31
	s_waitcnt lgkmcnt(0)
	s_add_u32 s0, s0, s30
	s_addc_u32 s1, s1, s31
	s_load_dwordx2 s[26:27], s[18:19], 0x0
	s_mov_b32 s28, s29
	s_load_dwordx2 s[18:19], s[0:1], 0x0
	v_lshlrev_b32_e32 v3, 5, v1
	v_mov_b32_e32 v5, s28
	v_cmp_gt_i32_e64 s[0:1], s10, v1
	v_cmp_gt_i32_e32 vcc, s10, v0
	v_add_lshl_u32 v4, v3, v0, 3
	v_mov_b32_e32 v6, s29
	s_and_b64 s[0:1], s[0:1], vcc
	v_lshlrev_b32_e32 v2, 3, v0
	ds_write2st64_b64 v4, v[5:6], v[5:6] offset1:16
	s_and_saveexec_b64 s[28:29], s[0:1]
	s_cbranch_execz .LBB156_3
; %bb.2:
	v_mad_u64_u32 v[5:6], s[0:1], s14, v1, 0
	s_add_u32 s0, s12, s30
	s_addc_u32 s1, s13, s31
	s_load_dwordx2 s[0:1], s[0:1], 0x0
	v_mad_u64_u32 v[6:7], s[12:13], s15, v1, v[6:7]
	s_lshl_b64 s[12:13], s[16:17], 3
	s_waitcnt lgkmcnt(0)
	s_add_u32 s0, s0, s12
	v_lshlrev_b64 v[5:6], 3, v[5:6]
	s_addc_u32 s1, s1, s13
	v_mov_b32_e32 v7, s1
	v_add_co_u32_e64 v5, s[0:1], s0, v5
	v_addc_co_u32_e64 v6, s[0:1], v7, v6, s[0:1]
	v_add_co_u32_e64 v5, s[0:1], v5, v2
	v_addc_co_u32_e64 v6, s[0:1], 0, v6, s[0:1]
	flat_load_dwordx2 v[5:6], v[5:6]
	s_waitcnt vmcnt(0) lgkmcnt(0)
	ds_write_b64 v4, v[5:6]
.LBB156_3:
	s_or_b64 exec, exec, s[28:29]
	s_add_i32 s0, s11, -1
	s_ashr_i32 s1, s0, 31
	s_lshr_b32 s1, s1, 27
	s_add_i32 s0, s0, s1
	s_ashr_i32 s1, s0, 5
	s_andn2_b32 s0, s0, 31
	s_sub_i32 s0, s11, s0
	s_cmp_ge_i32 s6, s1
	s_cselect_b32 s0, s0, 32
	s_lshl_b32 s10, s6, 5
	v_cmp_gt_i32_e64 s[0:1], s0, v1
	s_ashr_i32 s11, s10, 31
	s_and_b64 s[0:1], vcc, s[0:1]
	s_and_saveexec_b64 s[6:7], s[0:1]
	s_cbranch_execz .LBB156_5
; %bb.4:
	s_lshl_b64 s[12:13], s[22:23], 3
	s_waitcnt lgkmcnt(0)
	s_add_u32 s16, s26, s12
	s_addc_u32 s17, s27, s13
	s_mul_i32 s12, s20, s11
	s_mul_hi_u32 s13, s20, s10
	s_add_i32 s14, s13, s12
	v_mad_u64_u32 v[5:6], s[12:13], s20, v1, 0
	s_mul_i32 s12, s21, s10
	s_add_i32 s13, s14, s12
	v_mad_u64_u32 v[6:7], s[14:15], s21, v1, v[6:7]
	s_mul_i32 s12, s20, s10
	s_lshl_b64 s[12:13], s[12:13], 3
	s_add_u32 s12, s16, s12
	v_lshlrev_b64 v[5:6], 3, v[5:6]
	s_addc_u32 s13, s17, s13
	v_mov_b32_e32 v7, s13
	v_add_co_u32_e32 v5, vcc, s12, v5
	v_addc_co_u32_e32 v6, vcc, v7, v6, vcc
	v_add_co_u32_e32 v5, vcc, v5, v2
	v_addc_co_u32_e32 v6, vcc, 0, v6, vcc
	flat_load_dwordx2 v[5:6], v[5:6]
	v_add_u32_e32 v7, 0x2000, v4
	s_waitcnt vmcnt(0) lgkmcnt(0)
	ds_write_b64 v7, v[5:6]
.LBB156_5:
	s_or_b64 exec, exec, s[6:7]
	s_cmpk_eq_i32 s9, 0x84
	s_cselect_b64 s[6:7], -1, 0
	v_cmp_eq_u32_e32 vcc, v1, v0
	s_and_b64 s[12:13], vcc, s[6:7]
	s_and_saveexec_b64 s[6:7], s[12:13]
; %bb.6:
	v_mov_b32_e32 v5, 0
	v_mov_b32_e32 v6, 0x3ff00000
	ds_write_b64 v4, v[5:6]
; %bb.7:
	s_or_b64 exec, exec, s[6:7]
	s_cmpk_lg_i32 s8, 0x79
	s_cbranch_scc0 .LBB156_9
; %bb.8:
	v_cmp_lt_u32_e32 vcc, v0, v1
	s_and_b64 s[6:7], vcc, exec
	s_cbranch_execz .LBB156_10
	s_branch .LBB156_11
.LBB156_9:
	s_mov_b64 s[6:7], 0
.LBB156_10:
	v_cmp_gt_u32_e32 vcc, v0, v1
	s_andn2_b64 s[6:7], s[6:7], exec
	s_and_b64 s[8:9], vcc, exec
	s_or_b64 s[6:7], s[6:7], s[8:9]
.LBB156_11:
	s_and_saveexec_b64 s[8:9], s[6:7]
; %bb.12:
	v_mov_b32_e32 v5, 0
	v_mov_b32_e32 v6, v5
	ds_write_b64 v4, v[5:6]
; %bb.13:
	s_or_b64 exec, exec, s[8:9]
	s_waitcnt lgkmcnt(0)
	s_barrier
	s_and_saveexec_b64 s[6:7], s[0:1]
	s_cbranch_execz .LBB156_15
; %bb.14:
	ds_read2_b64 v[4:7], v2 offset1:32
	v_lshlrev_b32_e32 v0, 3, v3
	ds_read_b128 v[8:11], v0 offset:8192
	ds_read_b128 v[12:15], v0 offset:8208
	v_add_u32_e32 v17, 0x800, v2
	s_load_dwordx2 s[0:1], s[4:5], 0x60
	s_mul_i32 s6, s2, s11
	s_waitcnt lgkmcnt(0)
	v_fma_f64 v[3:4], v[4:5], v[8:9], 0
	s_mul_hi_u32 s7, s2, s10
	s_mul_i32 s8, s3, s10
	s_lshl_b64 s[0:1], s[0:1], 3
	v_fma_f64 v[7:8], v[6:7], v[10:11], v[3:4]
	ds_read2_b64 v[3:6], v2 offset0:64 offset1:96
	s_waitcnt lgkmcnt(0)
	v_fma_f64 v[3:4], v[3:4], v[12:13], v[7:8]
	v_fma_f64 v[15:16], v[5:6], v[14:15], v[3:4]
	ds_read2_b64 v[3:6], v2 offset0:128 offset1:160
	ds_read_b128 v[7:10], v0 offset:8224
	ds_read_b128 v[11:14], v0 offset:8240
	s_waitcnt lgkmcnt(1)
	v_fma_f64 v[3:4], v[3:4], v[7:8], v[15:16]
	v_fma_f64 v[7:8], v[5:6], v[9:10], v[3:4]
	ds_read2_b64 v[3:6], v2 offset0:192 offset1:224
	s_waitcnt lgkmcnt(0)
	v_fma_f64 v[3:4], v[3:4], v[11:12], v[7:8]
	v_fma_f64 v[15:16], v[5:6], v[13:14], v[3:4]
	ds_read2_b64 v[3:6], v17 offset1:32
	ds_read_b128 v[7:10], v0 offset:8256
	ds_read_b128 v[11:14], v0 offset:8272
	s_waitcnt lgkmcnt(1)
	v_fma_f64 v[3:4], v[3:4], v[7:8], v[15:16]
	v_fma_f64 v[7:8], v[5:6], v[9:10], v[3:4]
	ds_read2_b64 v[3:6], v17 offset0:64 offset1:96
	s_waitcnt lgkmcnt(0)
	v_fma_f64 v[3:4], v[3:4], v[11:12], v[7:8]
	v_fma_f64 v[15:16], v[5:6], v[13:14], v[3:4]
	ds_read2_b64 v[3:6], v17 offset0:128 offset1:160
	ds_read_b128 v[7:10], v0 offset:8288
	ds_read_b128 v[11:14], v0 offset:8304
	s_waitcnt lgkmcnt(1)
	v_fma_f64 v[3:4], v[3:4], v[7:8], v[15:16]
	v_fma_f64 v[7:8], v[5:6], v[9:10], v[3:4]
	ds_read2_b64 v[3:6], v17 offset0:192 offset1:224
	v_add_u32_e32 v17, 0x1000, v2
	s_waitcnt lgkmcnt(0)
	v_fma_f64 v[3:4], v[3:4], v[11:12], v[7:8]
	v_fma_f64 v[15:16], v[5:6], v[13:14], v[3:4]
	ds_read2_b64 v[3:6], v17 offset1:32
	ds_read_b128 v[7:10], v0 offset:8320
	ds_read_b128 v[11:14], v0 offset:8336
	s_waitcnt lgkmcnt(1)
	v_fma_f64 v[3:4], v[3:4], v[7:8], v[15:16]
	v_fma_f64 v[7:8], v[5:6], v[9:10], v[3:4]
	ds_read2_b64 v[3:6], v17 offset0:64 offset1:96
	s_waitcnt lgkmcnt(0)
	v_fma_f64 v[3:4], v[3:4], v[11:12], v[7:8]
	v_fma_f64 v[15:16], v[5:6], v[13:14], v[3:4]
	ds_read2_b64 v[3:6], v17 offset0:128 offset1:160
	ds_read_b128 v[7:10], v0 offset:8352
	ds_read_b128 v[11:14], v0 offset:8368
	s_waitcnt lgkmcnt(1)
	v_fma_f64 v[3:4], v[3:4], v[7:8], v[15:16]
	v_fma_f64 v[7:8], v[5:6], v[9:10], v[3:4]
	ds_read2_b64 v[3:6], v17 offset0:192 offset1:224
	v_add_u32_e32 v17, 0x1800, v2
	s_waitcnt lgkmcnt(0)
	v_fma_f64 v[3:4], v[3:4], v[11:12], v[7:8]
	v_fma_f64 v[15:16], v[5:6], v[13:14], v[3:4]
	ds_read2_b64 v[3:6], v17 offset1:32
	ds_read_b128 v[7:10], v0 offset:8384
	ds_read_b128 v[11:14], v0 offset:8400
	s_waitcnt lgkmcnt(1)
	v_fma_f64 v[3:4], v[3:4], v[7:8], v[15:16]
	v_fma_f64 v[7:8], v[5:6], v[9:10], v[3:4]
	ds_read2_b64 v[3:6], v17 offset0:64 offset1:96
	s_waitcnt lgkmcnt(0)
	v_fma_f64 v[3:4], v[3:4], v[11:12], v[7:8]
	v_fma_f64 v[15:16], v[5:6], v[13:14], v[3:4]
	ds_read2_b64 v[3:6], v17 offset0:128 offset1:160
	ds_read_b128 v[7:10], v0 offset:8416
	ds_read_b128 v[11:14], v0 offset:8432
	s_waitcnt lgkmcnt(1)
	v_fma_f64 v[3:4], v[3:4], v[7:8], v[15:16]
	v_fma_f64 v[7:8], v[5:6], v[9:10], v[3:4]
	ds_read2_b64 v[3:6], v17 offset0:192 offset1:224
	v_mad_u64_u32 v[9:10], s[4:5], s2, v1, 0
	s_mul_i32 s2, s2, s10
	v_mov_b32_e32 v0, v10
	v_mad_u64_u32 v[0:1], s[4:5], s3, v1, v[0:1]
	s_waitcnt lgkmcnt(0)
	v_fma_f64 v[3:4], v[3:4], v[11:12], v[7:8]
	s_add_u32 s4, s18, s0
	s_addc_u32 s5, s19, s1
	s_add_i32 s0, s7, s6
	s_add_i32 s3, s0, s8
	s_lshl_b64 s[0:1], s[2:3], 3
	v_mov_b32_e32 v10, v0
	s_add_u32 s0, s4, s0
	v_fma_f64 v[3:4], v[5:6], v[13:14], v[3:4]
	v_lshlrev_b64 v[0:1], 3, v[9:10]
	s_addc_u32 s1, s5, s1
	v_mov_b32_e32 v5, s1
	v_add_co_u32_e32 v0, vcc, s0, v0
	v_addc_co_u32_e32 v1, vcc, v5, v1, vcc
	v_mul_f64 v[3:4], s[24:25], v[3:4]
	v_add_co_u32_e32 v0, vcc, v0, v2
	v_addc_co_u32_e32 v1, vcc, 0, v1, vcc
	flat_store_dwordx2 v[0:1], v[3:4]
.LBB156_15:
	s_endpgm
	.section	.rodata,"a",@progbits
	.p2align	6, 0x0
	.amdhsa_kernel _ZL23rocblas_trmm_lNx_kernelILi32EdPKdKS1_KPdEv13rocblas_fill_17rocblas_diagonal_iiT1_lPT2_llS9_llPT3_lli
		.amdhsa_group_segment_fixed_size 16384
		.amdhsa_private_segment_fixed_size 0
		.amdhsa_kernarg_size 108
		.amdhsa_user_sgpr_count 6
		.amdhsa_user_sgpr_private_segment_buffer 1
		.amdhsa_user_sgpr_dispatch_ptr 0
		.amdhsa_user_sgpr_queue_ptr 0
		.amdhsa_user_sgpr_kernarg_segment_ptr 1
		.amdhsa_user_sgpr_dispatch_id 0
		.amdhsa_user_sgpr_flat_scratch_init 0
		.amdhsa_user_sgpr_private_segment_size 0
		.amdhsa_uses_dynamic_stack 0
		.amdhsa_system_sgpr_private_segment_wavefront_offset 0
		.amdhsa_system_sgpr_workgroup_id_x 1
		.amdhsa_system_sgpr_workgroup_id_y 0
		.amdhsa_system_sgpr_workgroup_id_z 1
		.amdhsa_system_sgpr_workgroup_info 0
		.amdhsa_system_vgpr_workitem_id 1
		.amdhsa_next_free_vgpr 29
		.amdhsa_next_free_sgpr 61
		.amdhsa_reserve_vcc 1
		.amdhsa_reserve_flat_scratch 0
		.amdhsa_float_round_mode_32 0
		.amdhsa_float_round_mode_16_64 0
		.amdhsa_float_denorm_mode_32 3
		.amdhsa_float_denorm_mode_16_64 3
		.amdhsa_dx10_clamp 1
		.amdhsa_ieee_mode 1
		.amdhsa_fp16_overflow 0
		.amdhsa_exception_fp_ieee_invalid_op 0
		.amdhsa_exception_fp_denorm_src 0
		.amdhsa_exception_fp_ieee_div_zero 0
		.amdhsa_exception_fp_ieee_overflow 0
		.amdhsa_exception_fp_ieee_underflow 0
		.amdhsa_exception_fp_ieee_inexact 0
		.amdhsa_exception_int_div_zero 0
	.end_amdhsa_kernel
	.section	.text._ZL23rocblas_trmm_lNx_kernelILi32EdPKdKS1_KPdEv13rocblas_fill_17rocblas_diagonal_iiT1_lPT2_llS9_llPT3_lli,"axG",@progbits,_ZL23rocblas_trmm_lNx_kernelILi32EdPKdKS1_KPdEv13rocblas_fill_17rocblas_diagonal_iiT1_lPT2_llS9_llPT3_lli,comdat
.Lfunc_end156:
	.size	_ZL23rocblas_trmm_lNx_kernelILi32EdPKdKS1_KPdEv13rocblas_fill_17rocblas_diagonal_iiT1_lPT2_llS9_llPT3_lli, .Lfunc_end156-_ZL23rocblas_trmm_lNx_kernelILi32EdPKdKS1_KPdEv13rocblas_fill_17rocblas_diagonal_iiT1_lPT2_llS9_llPT3_lli
                                        ; -- End function
	.set _ZL23rocblas_trmm_lNx_kernelILi32EdPKdKS1_KPdEv13rocblas_fill_17rocblas_diagonal_iiT1_lPT2_llS9_llPT3_lli.num_vgpr, 18
	.set _ZL23rocblas_trmm_lNx_kernelILi32EdPKdKS1_KPdEv13rocblas_fill_17rocblas_diagonal_iiT1_lPT2_llS9_llPT3_lli.num_agpr, 0
	.set _ZL23rocblas_trmm_lNx_kernelILi32EdPKdKS1_KPdEv13rocblas_fill_17rocblas_diagonal_iiT1_lPT2_llS9_llPT3_lli.numbered_sgpr, 32
	.set _ZL23rocblas_trmm_lNx_kernelILi32EdPKdKS1_KPdEv13rocblas_fill_17rocblas_diagonal_iiT1_lPT2_llS9_llPT3_lli.num_named_barrier, 0
	.set _ZL23rocblas_trmm_lNx_kernelILi32EdPKdKS1_KPdEv13rocblas_fill_17rocblas_diagonal_iiT1_lPT2_llS9_llPT3_lli.private_seg_size, 0
	.set _ZL23rocblas_trmm_lNx_kernelILi32EdPKdKS1_KPdEv13rocblas_fill_17rocblas_diagonal_iiT1_lPT2_llS9_llPT3_lli.uses_vcc, 1
	.set _ZL23rocblas_trmm_lNx_kernelILi32EdPKdKS1_KPdEv13rocblas_fill_17rocblas_diagonal_iiT1_lPT2_llS9_llPT3_lli.uses_flat_scratch, 0
	.set _ZL23rocblas_trmm_lNx_kernelILi32EdPKdKS1_KPdEv13rocblas_fill_17rocblas_diagonal_iiT1_lPT2_llS9_llPT3_lli.has_dyn_sized_stack, 0
	.set _ZL23rocblas_trmm_lNx_kernelILi32EdPKdKS1_KPdEv13rocblas_fill_17rocblas_diagonal_iiT1_lPT2_llS9_llPT3_lli.has_recursion, 0
	.set _ZL23rocblas_trmm_lNx_kernelILi32EdPKdKS1_KPdEv13rocblas_fill_17rocblas_diagonal_iiT1_lPT2_llS9_llPT3_lli.has_indirect_call, 0
	.section	.AMDGPU.csdata,"",@progbits
; Kernel info:
; codeLenInByte = 1360
; TotalNumSgprs: 36
; NumVgprs: 18
; ScratchSize: 0
; MemoryBound: 0
; FloatMode: 240
; IeeeMode: 1
; LDSByteSize: 16384 bytes/workgroup (compile time only)
; SGPRBlocks: 8
; VGPRBlocks: 7
; NumSGPRsForWavesPerEU: 65
; NumVGPRsForWavesPerEU: 29
; Occupancy: 8
; WaveLimiterHint : 1
; COMPUTE_PGM_RSRC2:SCRATCH_EN: 0
; COMPUTE_PGM_RSRC2:USER_SGPR: 6
; COMPUTE_PGM_RSRC2:TRAP_HANDLER: 0
; COMPUTE_PGM_RSRC2:TGID_X_EN: 1
; COMPUTE_PGM_RSRC2:TGID_Y_EN: 0
; COMPUTE_PGM_RSRC2:TGID_Z_EN: 1
; COMPUTE_PGM_RSRC2:TIDIG_COMP_CNT: 1
	.section	.text._ZL23rocblas_trmm_lNx_kernelILi32EddKPKdKPdEv13rocblas_fill_17rocblas_diagonal_iiT1_lPT2_llS9_llPT3_lli,"axG",@progbits,_ZL23rocblas_trmm_lNx_kernelILi32EddKPKdKPdEv13rocblas_fill_17rocblas_diagonal_iiT1_lPT2_llS9_llPT3_lli,comdat
	.globl	_ZL23rocblas_trmm_lNx_kernelILi32EddKPKdKPdEv13rocblas_fill_17rocblas_diagonal_iiT1_lPT2_llS9_llPT3_lli ; -- Begin function _ZL23rocblas_trmm_lNx_kernelILi32EddKPKdKPdEv13rocblas_fill_17rocblas_diagonal_iiT1_lPT2_llS9_llPT3_lli
	.p2align	8
	.type	_ZL23rocblas_trmm_lNx_kernelILi32EddKPKdKPdEv13rocblas_fill_17rocblas_diagonal_iiT1_lPT2_llS9_llPT3_lli,@function
_ZL23rocblas_trmm_lNx_kernelILi32EddKPKdKPdEv13rocblas_fill_17rocblas_diagonal_iiT1_lPT2_llS9_llPT3_lli: ; @_ZL23rocblas_trmm_lNx_kernelILi32EddKPKdKPdEv13rocblas_fill_17rocblas_diagonal_iiT1_lPT2_llS9_llPT3_lli
; %bb.0:
	s_load_dwordx2 s[2:3], s[4:5], 0x10
	s_waitcnt lgkmcnt(0)
	v_cmp_eq_f64_e64 s[8:9], s[2:3], 0
	s_and_b64 vcc, exec, s[8:9]
	s_cbranch_vccnz .LBB157_15
; %bb.1:
	s_load_dwordx16 s[8:23], s[4:5], 0x20
	s_load_dwordx4 s[24:27], s[4:5], 0x0
	s_mov_b32 s0, s7
	s_mov_b32 s1, 0
	s_lshl_b64 s[30:31], s[0:1], 3
	s_waitcnt lgkmcnt(0)
	s_add_u32 s14, s14, s30
	s_addc_u32 s15, s15, s31
	s_load_dwordx2 s[28:29], s[14:15], 0x0
	s_add_u32 s14, s20, s30
	s_addc_u32 s15, s21, s31
	s_load_dwordx2 s[14:15], s[14:15], 0x0
	s_mov_b32 s0, s1
	v_mov_b32_e32 v6, s1
	v_lshlrev_b32_e32 v3, 5, v1
	v_mov_b32_e32 v5, s0
	v_cmp_gt_i32_e64 s[0:1], s26, v1
	v_cmp_gt_i32_e32 vcc, s26, v0
	v_add_lshl_u32 v4, v3, v0, 3
	s_and_b64 s[0:1], s[0:1], vcc
	v_lshlrev_b32_e32 v2, 3, v0
	ds_write2st64_b64 v4, v[5:6], v[5:6] offset1:16
	s_and_saveexec_b64 s[20:21], s[0:1]
	s_cbranch_execz .LBB157_3
; %bb.2:
	v_mad_u64_u32 v[5:6], s[0:1], s10, v1, 0
	s_add_u32 s0, s8, s30
	s_addc_u32 s1, s9, s31
	s_load_dwordx2 s[0:1], s[0:1], 0x0
	v_mad_u64_u32 v[6:7], s[8:9], s11, v1, v[6:7]
	s_lshl_b64 s[8:9], s[12:13], 3
	s_waitcnt lgkmcnt(0)
	s_add_u32 s0, s0, s8
	v_lshlrev_b64 v[5:6], 3, v[5:6]
	s_addc_u32 s1, s1, s9
	v_mov_b32_e32 v7, s1
	v_add_co_u32_e64 v5, s[0:1], s0, v5
	v_addc_co_u32_e64 v6, s[0:1], v7, v6, s[0:1]
	v_add_co_u32_e64 v5, s[0:1], v5, v2
	v_addc_co_u32_e64 v6, s[0:1], 0, v6, s[0:1]
	flat_load_dwordx2 v[5:6], v[5:6]
	s_waitcnt vmcnt(0) lgkmcnt(0)
	ds_write_b64 v4, v[5:6]
.LBB157_3:
	s_or_b64 exec, exec, s[20:21]
	s_add_i32 s0, s27, -1
	s_ashr_i32 s1, s0, 31
	s_lshr_b32 s1, s1, 27
	s_add_i32 s0, s0, s1
	s_ashr_i32 s1, s0, 5
	s_andn2_b32 s0, s0, 31
	s_sub_i32 s0, s27, s0
	s_cmp_ge_i32 s6, s1
	s_cselect_b32 s0, s0, 32
	s_lshl_b32 s10, s6, 5
	v_cmp_gt_i32_e64 s[0:1], s0, v1
	s_ashr_i32 s11, s10, 31
	s_and_b64 s[0:1], vcc, s[0:1]
	s_and_saveexec_b64 s[6:7], s[0:1]
	s_cbranch_execz .LBB157_5
; %bb.4:
	s_lshl_b64 s[8:9], s[18:19], 3
	s_waitcnt lgkmcnt(0)
	s_add_u32 s18, s28, s8
	s_addc_u32 s19, s29, s9
	s_mul_i32 s8, s16, s11
	s_mul_hi_u32 s9, s16, s10
	s_add_i32 s12, s9, s8
	v_mad_u64_u32 v[5:6], s[8:9], s16, v1, 0
	s_mul_i32 s8, s17, s10
	s_add_i32 s9, s12, s8
	v_mad_u64_u32 v[6:7], s[12:13], s17, v1, v[6:7]
	s_mul_i32 s8, s16, s10
	s_lshl_b64 s[8:9], s[8:9], 3
	s_add_u32 s8, s18, s8
	v_lshlrev_b64 v[5:6], 3, v[5:6]
	s_addc_u32 s9, s19, s9
	v_mov_b32_e32 v7, s9
	v_add_co_u32_e32 v5, vcc, s8, v5
	v_addc_co_u32_e32 v6, vcc, v7, v6, vcc
	v_add_co_u32_e32 v5, vcc, v5, v2
	v_addc_co_u32_e32 v6, vcc, 0, v6, vcc
	flat_load_dwordx2 v[5:6], v[5:6]
	v_add_u32_e32 v7, 0x2000, v4
	s_waitcnt vmcnt(0) lgkmcnt(0)
	ds_write_b64 v7, v[5:6]
.LBB157_5:
	s_or_b64 exec, exec, s[6:7]
	s_cmpk_eq_i32 s25, 0x84
	s_cselect_b64 s[6:7], -1, 0
	v_cmp_eq_u32_e32 vcc, v1, v0
	s_and_b64 s[8:9], vcc, s[6:7]
	s_and_saveexec_b64 s[6:7], s[8:9]
; %bb.6:
	v_mov_b32_e32 v5, 0
	v_mov_b32_e32 v6, 0x3ff00000
	ds_write_b64 v4, v[5:6]
; %bb.7:
	s_or_b64 exec, exec, s[6:7]
	s_cmpk_lg_i32 s24, 0x79
	s_cbranch_scc0 .LBB157_9
; %bb.8:
	v_cmp_lt_u32_e32 vcc, v0, v1
	s_and_b64 s[6:7], vcc, exec
	s_cbranch_execz .LBB157_10
	s_branch .LBB157_11
.LBB157_9:
	s_mov_b64 s[6:7], 0
.LBB157_10:
	v_cmp_gt_u32_e32 vcc, v0, v1
	s_andn2_b64 s[6:7], s[6:7], exec
	s_and_b64 s[8:9], vcc, exec
	s_or_b64 s[6:7], s[6:7], s[8:9]
.LBB157_11:
	s_and_saveexec_b64 s[8:9], s[6:7]
; %bb.12:
	v_mov_b32_e32 v5, 0
	v_mov_b32_e32 v6, v5
	ds_write_b64 v4, v[5:6]
; %bb.13:
	s_or_b64 exec, exec, s[8:9]
	s_waitcnt lgkmcnt(0)
	s_barrier
	s_and_saveexec_b64 s[6:7], s[0:1]
	s_cbranch_execz .LBB157_15
; %bb.14:
	ds_read2_b64 v[4:7], v2 offset1:32
	v_lshlrev_b32_e32 v0, 3, v3
	ds_read_b128 v[8:11], v0 offset:8192
	ds_read_b128 v[12:15], v0 offset:8208
	v_add_u32_e32 v17, 0x800, v2
	s_load_dwordx2 s[0:1], s[4:5], 0x60
	s_mul_i32 s8, s22, s11
	s_waitcnt lgkmcnt(0)
	v_fma_f64 v[3:4], v[4:5], v[8:9], 0
	s_mul_hi_u32 s9, s22, s10
	s_lshl_b64 s[0:1], s[0:1], 3
	v_fma_f64 v[7:8], v[6:7], v[10:11], v[3:4]
	ds_read2_b64 v[3:6], v2 offset0:64 offset1:96
	s_waitcnt lgkmcnt(0)
	v_fma_f64 v[3:4], v[3:4], v[12:13], v[7:8]
	v_fma_f64 v[15:16], v[5:6], v[14:15], v[3:4]
	ds_read2_b64 v[3:6], v2 offset0:128 offset1:160
	ds_read_b128 v[7:10], v0 offset:8224
	ds_read_b128 v[11:14], v0 offset:8240
	s_waitcnt lgkmcnt(1)
	v_fma_f64 v[3:4], v[3:4], v[7:8], v[15:16]
	v_fma_f64 v[7:8], v[5:6], v[9:10], v[3:4]
	ds_read2_b64 v[3:6], v2 offset0:192 offset1:224
	s_waitcnt lgkmcnt(0)
	v_fma_f64 v[3:4], v[3:4], v[11:12], v[7:8]
	v_fma_f64 v[15:16], v[5:6], v[13:14], v[3:4]
	ds_read2_b64 v[3:6], v17 offset1:32
	ds_read_b128 v[7:10], v0 offset:8256
	ds_read_b128 v[11:14], v0 offset:8272
	s_waitcnt lgkmcnt(1)
	v_fma_f64 v[3:4], v[3:4], v[7:8], v[15:16]
	v_fma_f64 v[7:8], v[5:6], v[9:10], v[3:4]
	ds_read2_b64 v[3:6], v17 offset0:64 offset1:96
	s_waitcnt lgkmcnt(0)
	v_fma_f64 v[3:4], v[3:4], v[11:12], v[7:8]
	v_fma_f64 v[15:16], v[5:6], v[13:14], v[3:4]
	ds_read2_b64 v[3:6], v17 offset0:128 offset1:160
	ds_read_b128 v[7:10], v0 offset:8288
	ds_read_b128 v[11:14], v0 offset:8304
	s_waitcnt lgkmcnt(1)
	v_fma_f64 v[3:4], v[3:4], v[7:8], v[15:16]
	v_fma_f64 v[7:8], v[5:6], v[9:10], v[3:4]
	ds_read2_b64 v[3:6], v17 offset0:192 offset1:224
	v_add_u32_e32 v17, 0x1000, v2
	s_waitcnt lgkmcnt(0)
	v_fma_f64 v[3:4], v[3:4], v[11:12], v[7:8]
	v_fma_f64 v[15:16], v[5:6], v[13:14], v[3:4]
	ds_read2_b64 v[3:6], v17 offset1:32
	ds_read_b128 v[7:10], v0 offset:8320
	ds_read_b128 v[11:14], v0 offset:8336
	s_waitcnt lgkmcnt(1)
	v_fma_f64 v[3:4], v[3:4], v[7:8], v[15:16]
	v_fma_f64 v[7:8], v[5:6], v[9:10], v[3:4]
	ds_read2_b64 v[3:6], v17 offset0:64 offset1:96
	s_waitcnt lgkmcnt(0)
	v_fma_f64 v[3:4], v[3:4], v[11:12], v[7:8]
	v_fma_f64 v[15:16], v[5:6], v[13:14], v[3:4]
	ds_read2_b64 v[3:6], v17 offset0:128 offset1:160
	ds_read_b128 v[7:10], v0 offset:8352
	ds_read_b128 v[11:14], v0 offset:8368
	s_waitcnt lgkmcnt(1)
	v_fma_f64 v[3:4], v[3:4], v[7:8], v[15:16]
	v_fma_f64 v[7:8], v[5:6], v[9:10], v[3:4]
	ds_read2_b64 v[3:6], v17 offset0:192 offset1:224
	v_add_u32_e32 v17, 0x1800, v2
	s_waitcnt lgkmcnt(0)
	v_fma_f64 v[3:4], v[3:4], v[11:12], v[7:8]
	v_fma_f64 v[15:16], v[5:6], v[13:14], v[3:4]
	ds_read2_b64 v[3:6], v17 offset1:32
	ds_read_b128 v[7:10], v0 offset:8384
	ds_read_b128 v[11:14], v0 offset:8400
	s_waitcnt lgkmcnt(1)
	v_fma_f64 v[3:4], v[3:4], v[7:8], v[15:16]
	v_fma_f64 v[7:8], v[5:6], v[9:10], v[3:4]
	ds_read2_b64 v[3:6], v17 offset0:64 offset1:96
	s_waitcnt lgkmcnt(0)
	v_fma_f64 v[3:4], v[3:4], v[11:12], v[7:8]
	v_fma_f64 v[15:16], v[5:6], v[13:14], v[3:4]
	ds_read2_b64 v[3:6], v17 offset0:128 offset1:160
	ds_read_b128 v[7:10], v0 offset:8416
	ds_read_b128 v[11:14], v0 offset:8432
	s_waitcnt lgkmcnt(1)
	v_fma_f64 v[3:4], v[3:4], v[7:8], v[15:16]
	v_fma_f64 v[7:8], v[5:6], v[9:10], v[3:4]
	ds_read2_b64 v[3:6], v17 offset0:192 offset1:224
	v_mad_u64_u32 v[9:10], s[4:5], s22, v1, 0
	s_mul_i32 s5, s23, s10
	s_mul_i32 s4, s22, s10
	v_mov_b32_e32 v0, v10
	v_mad_u64_u32 v[0:1], s[6:7], s23, v1, v[0:1]
	s_waitcnt lgkmcnt(0)
	v_fma_f64 v[3:4], v[3:4], v[11:12], v[7:8]
	s_add_u32 s6, s14, s0
	s_addc_u32 s7, s15, s1
	s_add_i32 s0, s9, s8
	s_add_i32 s5, s0, s5
	s_lshl_b64 s[0:1], s[4:5], 3
	v_mov_b32_e32 v10, v0
	s_add_u32 s0, s6, s0
	v_fma_f64 v[3:4], v[5:6], v[13:14], v[3:4]
	v_lshlrev_b64 v[0:1], 3, v[9:10]
	s_addc_u32 s1, s7, s1
	v_mov_b32_e32 v5, s1
	v_add_co_u32_e32 v0, vcc, s0, v0
	v_addc_co_u32_e32 v1, vcc, v5, v1, vcc
	v_mul_f64 v[3:4], s[2:3], v[3:4]
	v_add_co_u32_e32 v0, vcc, v0, v2
	v_addc_co_u32_e32 v1, vcc, 0, v1, vcc
	flat_store_dwordx2 v[0:1], v[3:4]
.LBB157_15:
	s_endpgm
	.section	.rodata,"a",@progbits
	.p2align	6, 0x0
	.amdhsa_kernel _ZL23rocblas_trmm_lNx_kernelILi32EddKPKdKPdEv13rocblas_fill_17rocblas_diagonal_iiT1_lPT2_llS9_llPT3_lli
		.amdhsa_group_segment_fixed_size 16384
		.amdhsa_private_segment_fixed_size 0
		.amdhsa_kernarg_size 108
		.amdhsa_user_sgpr_count 6
		.amdhsa_user_sgpr_private_segment_buffer 1
		.amdhsa_user_sgpr_dispatch_ptr 0
		.amdhsa_user_sgpr_queue_ptr 0
		.amdhsa_user_sgpr_kernarg_segment_ptr 1
		.amdhsa_user_sgpr_dispatch_id 0
		.amdhsa_user_sgpr_flat_scratch_init 0
		.amdhsa_user_sgpr_private_segment_size 0
		.amdhsa_uses_dynamic_stack 0
		.amdhsa_system_sgpr_private_segment_wavefront_offset 0
		.amdhsa_system_sgpr_workgroup_id_x 1
		.amdhsa_system_sgpr_workgroup_id_y 0
		.amdhsa_system_sgpr_workgroup_id_z 1
		.amdhsa_system_sgpr_workgroup_info 0
		.amdhsa_system_vgpr_workitem_id 1
		.amdhsa_next_free_vgpr 29
		.amdhsa_next_free_sgpr 61
		.amdhsa_reserve_vcc 1
		.amdhsa_reserve_flat_scratch 0
		.amdhsa_float_round_mode_32 0
		.amdhsa_float_round_mode_16_64 0
		.amdhsa_float_denorm_mode_32 3
		.amdhsa_float_denorm_mode_16_64 3
		.amdhsa_dx10_clamp 1
		.amdhsa_ieee_mode 1
		.amdhsa_fp16_overflow 0
		.amdhsa_exception_fp_ieee_invalid_op 0
		.amdhsa_exception_fp_denorm_src 0
		.amdhsa_exception_fp_ieee_div_zero 0
		.amdhsa_exception_fp_ieee_overflow 0
		.amdhsa_exception_fp_ieee_underflow 0
		.amdhsa_exception_fp_ieee_inexact 0
		.amdhsa_exception_int_div_zero 0
	.end_amdhsa_kernel
	.section	.text._ZL23rocblas_trmm_lNx_kernelILi32EddKPKdKPdEv13rocblas_fill_17rocblas_diagonal_iiT1_lPT2_llS9_llPT3_lli,"axG",@progbits,_ZL23rocblas_trmm_lNx_kernelILi32EddKPKdKPdEv13rocblas_fill_17rocblas_diagonal_iiT1_lPT2_llS9_llPT3_lli,comdat
.Lfunc_end157:
	.size	_ZL23rocblas_trmm_lNx_kernelILi32EddKPKdKPdEv13rocblas_fill_17rocblas_diagonal_iiT1_lPT2_llS9_llPT3_lli, .Lfunc_end157-_ZL23rocblas_trmm_lNx_kernelILi32EddKPKdKPdEv13rocblas_fill_17rocblas_diagonal_iiT1_lPT2_llS9_llPT3_lli
                                        ; -- End function
	.set _ZL23rocblas_trmm_lNx_kernelILi32EddKPKdKPdEv13rocblas_fill_17rocblas_diagonal_iiT1_lPT2_llS9_llPT3_lli.num_vgpr, 18
	.set _ZL23rocblas_trmm_lNx_kernelILi32EddKPKdKPdEv13rocblas_fill_17rocblas_diagonal_iiT1_lPT2_llS9_llPT3_lli.num_agpr, 0
	.set _ZL23rocblas_trmm_lNx_kernelILi32EddKPKdKPdEv13rocblas_fill_17rocblas_diagonal_iiT1_lPT2_llS9_llPT3_lli.numbered_sgpr, 32
	.set _ZL23rocblas_trmm_lNx_kernelILi32EddKPKdKPdEv13rocblas_fill_17rocblas_diagonal_iiT1_lPT2_llS9_llPT3_lli.num_named_barrier, 0
	.set _ZL23rocblas_trmm_lNx_kernelILi32EddKPKdKPdEv13rocblas_fill_17rocblas_diagonal_iiT1_lPT2_llS9_llPT3_lli.private_seg_size, 0
	.set _ZL23rocblas_trmm_lNx_kernelILi32EddKPKdKPdEv13rocblas_fill_17rocblas_diagonal_iiT1_lPT2_llS9_llPT3_lli.uses_vcc, 1
	.set _ZL23rocblas_trmm_lNx_kernelILi32EddKPKdKPdEv13rocblas_fill_17rocblas_diagonal_iiT1_lPT2_llS9_llPT3_lli.uses_flat_scratch, 0
	.set _ZL23rocblas_trmm_lNx_kernelILi32EddKPKdKPdEv13rocblas_fill_17rocblas_diagonal_iiT1_lPT2_llS9_llPT3_lli.has_dyn_sized_stack, 0
	.set _ZL23rocblas_trmm_lNx_kernelILi32EddKPKdKPdEv13rocblas_fill_17rocblas_diagonal_iiT1_lPT2_llS9_llPT3_lli.has_recursion, 0
	.set _ZL23rocblas_trmm_lNx_kernelILi32EddKPKdKPdEv13rocblas_fill_17rocblas_diagonal_iiT1_lPT2_llS9_llPT3_lli.has_indirect_call, 0
	.section	.AMDGPU.csdata,"",@progbits
; Kernel info:
; codeLenInByte = 1320
; TotalNumSgprs: 36
; NumVgprs: 18
; ScratchSize: 0
; MemoryBound: 0
; FloatMode: 240
; IeeeMode: 1
; LDSByteSize: 16384 bytes/workgroup (compile time only)
; SGPRBlocks: 8
; VGPRBlocks: 7
; NumSGPRsForWavesPerEU: 65
; NumVGPRsForWavesPerEU: 29
; Occupancy: 8
; WaveLimiterHint : 1
; COMPUTE_PGM_RSRC2:SCRATCH_EN: 0
; COMPUTE_PGM_RSRC2:USER_SGPR: 6
; COMPUTE_PGM_RSRC2:TRAP_HANDLER: 0
; COMPUTE_PGM_RSRC2:TGID_X_EN: 1
; COMPUTE_PGM_RSRC2:TGID_Y_EN: 0
; COMPUTE_PGM_RSRC2:TGID_Z_EN: 1
; COMPUTE_PGM_RSRC2:TIDIG_COMP_CNT: 1
	.section	.text._ZL23rocblas_trmm_lTx_kernelILi32ELb0EdPKdKS1_KPdEv13rocblas_fill_17rocblas_diagonal_iiT2_lPT3_llS9_llPT4_lli,"axG",@progbits,_ZL23rocblas_trmm_lTx_kernelILi32ELb0EdPKdKS1_KPdEv13rocblas_fill_17rocblas_diagonal_iiT2_lPT3_llS9_llPT4_lli,comdat
	.globl	_ZL23rocblas_trmm_lTx_kernelILi32ELb0EdPKdKS1_KPdEv13rocblas_fill_17rocblas_diagonal_iiT2_lPT3_llS9_llPT4_lli ; -- Begin function _ZL23rocblas_trmm_lTx_kernelILi32ELb0EdPKdKS1_KPdEv13rocblas_fill_17rocblas_diagonal_iiT2_lPT3_llS9_llPT4_lli
	.p2align	8
	.type	_ZL23rocblas_trmm_lTx_kernelILi32ELb0EdPKdKS1_KPdEv13rocblas_fill_17rocblas_diagonal_iiT2_lPT3_llS9_llPT4_lli,@function
_ZL23rocblas_trmm_lTx_kernelILi32ELb0EdPKdKS1_KPdEv13rocblas_fill_17rocblas_diagonal_iiT2_lPT3_llS9_llPT4_lli: ; @_ZL23rocblas_trmm_lTx_kernelILi32ELb0EdPKdKS1_KPdEv13rocblas_fill_17rocblas_diagonal_iiT2_lPT3_llS9_llPT4_lli
; %bb.0:
	s_load_dwordx16 s[8:23], s[4:5], 0x10
	s_waitcnt lgkmcnt(0)
	s_mul_i32 s0, s11, s7
	s_mul_hi_u32 s1, s10, s7
	s_add_i32 s1, s1, s0
	s_mul_i32 s0, s10, s7
	s_lshl_b64 s[0:1], s[0:1], 3
	s_add_u32 s0, s8, s0
	s_addc_u32 s1, s9, s1
	s_load_dwordx2 s[24:25], s[0:1], 0x0
	s_waitcnt lgkmcnt(0)
	v_cmp_eq_f64_e64 s[0:1], s[24:25], 0
	s_and_b64 vcc, exec, s[0:1]
	s_cbranch_vccnz .LBB158_15
; %bb.1:
	s_mov_b32 s26, s7
	s_mov_b32 s27, 0
	s_load_dwordx4 s[8:11], s[4:5], 0x0
	s_load_dwordx4 s[0:3], s[4:5], 0x50
	s_lshl_b64 s[30:31], s[26:27], 3
	s_add_u32 s12, s12, s30
	s_addc_u32 s13, s13, s31
	s_load_dwordx2 s[28:29], s[12:13], 0x0
	s_add_u32 s12, s18, s30
	s_addc_u32 s13, s19, s31
	s_waitcnt lgkmcnt(0)
	s_add_u32 s0, s0, s30
	s_addc_u32 s1, s1, s31
	s_load_dwordx2 s[18:19], s[12:13], 0x0
	s_mov_b32 s26, s27
	s_load_dwordx2 s[12:13], s[0:1], 0x0
	v_lshlrev_b32_e32 v3, 5, v1
	v_mov_b32_e32 v5, s26
	v_cmp_gt_i32_e64 s[0:1], s10, v1
	v_cmp_gt_i32_e32 vcc, s10, v0
	v_add_lshl_u32 v4, v3, v0, 3
	v_mov_b32_e32 v6, s27
	s_and_b64 s[0:1], s[0:1], vcc
	v_lshlrev_b32_e32 v2, 3, v0
	ds_write2st64_b64 v4, v[5:6], v[5:6] offset1:16
	s_waitcnt lgkmcnt(0)
	s_barrier
	s_and_saveexec_b64 s[26:27], s[0:1]
	s_cbranch_execz .LBB158_3
; %bb.2:
	v_mad_u64_u32 v[5:6], s[0:1], s14, v1, 0
	s_lshl_b64 s[0:1], s[16:17], 3
	s_add_u32 s0, s28, s0
	v_mad_u64_u32 v[6:7], s[14:15], s15, v1, v[6:7]
	s_addc_u32 s1, s29, s1
	v_mov_b32_e32 v7, s1
	v_lshlrev_b64 v[5:6], 3, v[5:6]
	v_add_co_u32_e64 v5, s[0:1], s0, v5
	v_addc_co_u32_e64 v6, s[0:1], v7, v6, s[0:1]
	v_add_co_u32_e64 v5, s[0:1], v5, v2
	v_addc_co_u32_e64 v6, s[0:1], 0, v6, s[0:1]
	flat_load_dwordx2 v[5:6], v[5:6]
	v_lshlrev_b32_e32 v7, 3, v1
	v_lshl_add_u32 v7, v0, 8, v7
	s_waitcnt vmcnt(0) lgkmcnt(0)
	ds_write_b64 v7, v[5:6]
.LBB158_3:
	s_or_b64 exec, exec, s[26:27]
	s_add_i32 s0, s11, -1
	s_ashr_i32 s1, s0, 31
	s_lshr_b32 s1, s1, 27
	s_add_i32 s0, s0, s1
	s_ashr_i32 s1, s0, 5
	s_andn2_b32 s0, s0, 31
	s_sub_i32 s0, s11, s0
	s_cmp_ge_i32 s6, s1
	s_cselect_b32 s0, s0, 32
	s_lshl_b32 s10, s6, 5
	v_cmp_gt_i32_e64 s[0:1], s0, v1
	s_ashr_i32 s11, s10, 31
	s_and_b64 s[0:1], vcc, s[0:1]
	s_and_saveexec_b64 s[6:7], s[0:1]
	s_cbranch_execz .LBB158_5
; %bb.4:
	s_lshl_b64 s[14:15], s[22:23], 3
	s_add_u32 s18, s18, s14
	s_addc_u32 s19, s19, s15
	s_mul_i32 s14, s20, s11
	s_mul_hi_u32 s15, s20, s10
	s_add_i32 s16, s15, s14
	v_mad_u64_u32 v[5:6], s[14:15], s20, v1, 0
	s_mul_i32 s14, s21, s10
	s_add_i32 s15, s16, s14
	v_mad_u64_u32 v[6:7], s[16:17], s21, v1, v[6:7]
	s_mul_i32 s14, s20, s10
	s_lshl_b64 s[14:15], s[14:15], 3
	s_add_u32 s14, s18, s14
	v_lshlrev_b64 v[5:6], 3, v[5:6]
	s_addc_u32 s15, s19, s15
	v_mov_b32_e32 v7, s15
	v_add_co_u32_e32 v5, vcc, s14, v5
	v_addc_co_u32_e32 v6, vcc, v7, v6, vcc
	v_add_co_u32_e32 v5, vcc, v5, v2
	v_addc_co_u32_e32 v6, vcc, 0, v6, vcc
	flat_load_dwordx2 v[5:6], v[5:6]
	v_add_u32_e32 v7, 0x2000, v4
	s_waitcnt vmcnt(0) lgkmcnt(0)
	ds_write_b64 v7, v[5:6]
.LBB158_5:
	s_or_b64 exec, exec, s[6:7]
	s_cmpk_eq_i32 s9, 0x84
	s_cselect_b64 s[6:7], -1, 0
	v_cmp_eq_u32_e32 vcc, v1, v0
	s_and_b64 s[14:15], vcc, s[6:7]
	s_and_saveexec_b64 s[6:7], s[14:15]
; %bb.6:
	v_mov_b32_e32 v5, 0
	v_mov_b32_e32 v6, 0x3ff00000
	ds_write_b64 v4, v[5:6]
; %bb.7:
	s_or_b64 exec, exec, s[6:7]
	s_cmpk_lg_i32 s8, 0x7a
	s_waitcnt lgkmcnt(0)
	s_barrier
	s_cbranch_scc0 .LBB158_9
; %bb.8:
	v_cmp_lt_u32_e32 vcc, v0, v1
	s_and_b64 s[6:7], vcc, exec
	s_cbranch_execz .LBB158_10
	s_branch .LBB158_11
.LBB158_9:
	s_mov_b64 s[6:7], 0
.LBB158_10:
	v_cmp_gt_u32_e32 vcc, v0, v1
	s_andn2_b64 s[6:7], s[6:7], exec
	s_and_b64 s[8:9], vcc, exec
	s_or_b64 s[6:7], s[6:7], s[8:9]
.LBB158_11:
	s_and_saveexec_b64 s[8:9], s[6:7]
; %bb.12:
	v_mov_b32_e32 v5, 0
	v_mov_b32_e32 v6, v5
	ds_write_b64 v4, v[5:6]
; %bb.13:
	s_or_b64 exec, exec, s[8:9]
	s_waitcnt lgkmcnt(0)
	s_barrier
	s_and_saveexec_b64 s[6:7], s[0:1]
	s_cbranch_execz .LBB158_15
; %bb.14:
	ds_read2_b64 v[4:7], v2 offset1:32
	v_lshlrev_b32_e32 v0, 3, v3
	ds_read_b128 v[8:11], v0 offset:8192
	ds_read_b128 v[12:15], v0 offset:8208
	v_add_u32_e32 v17, 0x800, v2
	s_load_dwordx2 s[0:1], s[4:5], 0x60
	s_mul_i32 s6, s2, s11
	s_waitcnt lgkmcnt(0)
	v_fma_f64 v[3:4], v[4:5], v[8:9], 0
	s_mul_hi_u32 s7, s2, s10
	s_mul_i32 s8, s3, s10
	s_lshl_b64 s[0:1], s[0:1], 3
	v_fma_f64 v[7:8], v[6:7], v[10:11], v[3:4]
	ds_read2_b64 v[3:6], v2 offset0:64 offset1:96
	s_waitcnt lgkmcnt(0)
	v_fma_f64 v[3:4], v[3:4], v[12:13], v[7:8]
	v_fma_f64 v[15:16], v[5:6], v[14:15], v[3:4]
	ds_read2_b64 v[3:6], v2 offset0:128 offset1:160
	ds_read_b128 v[7:10], v0 offset:8224
	ds_read_b128 v[11:14], v0 offset:8240
	s_waitcnt lgkmcnt(1)
	v_fma_f64 v[3:4], v[3:4], v[7:8], v[15:16]
	v_fma_f64 v[7:8], v[5:6], v[9:10], v[3:4]
	ds_read2_b64 v[3:6], v2 offset0:192 offset1:224
	s_waitcnt lgkmcnt(0)
	v_fma_f64 v[3:4], v[3:4], v[11:12], v[7:8]
	v_fma_f64 v[15:16], v[5:6], v[13:14], v[3:4]
	ds_read2_b64 v[3:6], v17 offset1:32
	ds_read_b128 v[7:10], v0 offset:8256
	ds_read_b128 v[11:14], v0 offset:8272
	s_waitcnt lgkmcnt(1)
	v_fma_f64 v[3:4], v[3:4], v[7:8], v[15:16]
	v_fma_f64 v[7:8], v[5:6], v[9:10], v[3:4]
	ds_read2_b64 v[3:6], v17 offset0:64 offset1:96
	s_waitcnt lgkmcnt(0)
	v_fma_f64 v[3:4], v[3:4], v[11:12], v[7:8]
	v_fma_f64 v[15:16], v[5:6], v[13:14], v[3:4]
	ds_read2_b64 v[3:6], v17 offset0:128 offset1:160
	ds_read_b128 v[7:10], v0 offset:8288
	ds_read_b128 v[11:14], v0 offset:8304
	s_waitcnt lgkmcnt(1)
	v_fma_f64 v[3:4], v[3:4], v[7:8], v[15:16]
	v_fma_f64 v[7:8], v[5:6], v[9:10], v[3:4]
	ds_read2_b64 v[3:6], v17 offset0:192 offset1:224
	v_add_u32_e32 v17, 0x1000, v2
	s_waitcnt lgkmcnt(0)
	v_fma_f64 v[3:4], v[3:4], v[11:12], v[7:8]
	v_fma_f64 v[15:16], v[5:6], v[13:14], v[3:4]
	ds_read2_b64 v[3:6], v17 offset1:32
	ds_read_b128 v[7:10], v0 offset:8320
	ds_read_b128 v[11:14], v0 offset:8336
	s_waitcnt lgkmcnt(1)
	v_fma_f64 v[3:4], v[3:4], v[7:8], v[15:16]
	v_fma_f64 v[7:8], v[5:6], v[9:10], v[3:4]
	ds_read2_b64 v[3:6], v17 offset0:64 offset1:96
	s_waitcnt lgkmcnt(0)
	v_fma_f64 v[3:4], v[3:4], v[11:12], v[7:8]
	v_fma_f64 v[15:16], v[5:6], v[13:14], v[3:4]
	ds_read2_b64 v[3:6], v17 offset0:128 offset1:160
	ds_read_b128 v[7:10], v0 offset:8352
	ds_read_b128 v[11:14], v0 offset:8368
	s_waitcnt lgkmcnt(1)
	v_fma_f64 v[3:4], v[3:4], v[7:8], v[15:16]
	v_fma_f64 v[7:8], v[5:6], v[9:10], v[3:4]
	ds_read2_b64 v[3:6], v17 offset0:192 offset1:224
	v_add_u32_e32 v17, 0x1800, v2
	s_waitcnt lgkmcnt(0)
	v_fma_f64 v[3:4], v[3:4], v[11:12], v[7:8]
	v_fma_f64 v[15:16], v[5:6], v[13:14], v[3:4]
	ds_read2_b64 v[3:6], v17 offset1:32
	ds_read_b128 v[7:10], v0 offset:8384
	ds_read_b128 v[11:14], v0 offset:8400
	s_waitcnt lgkmcnt(1)
	v_fma_f64 v[3:4], v[3:4], v[7:8], v[15:16]
	v_fma_f64 v[7:8], v[5:6], v[9:10], v[3:4]
	ds_read2_b64 v[3:6], v17 offset0:64 offset1:96
	s_waitcnt lgkmcnt(0)
	v_fma_f64 v[3:4], v[3:4], v[11:12], v[7:8]
	v_fma_f64 v[15:16], v[5:6], v[13:14], v[3:4]
	ds_read2_b64 v[3:6], v17 offset0:128 offset1:160
	ds_read_b128 v[7:10], v0 offset:8416
	ds_read_b128 v[11:14], v0 offset:8432
	s_waitcnt lgkmcnt(1)
	v_fma_f64 v[3:4], v[3:4], v[7:8], v[15:16]
	v_fma_f64 v[7:8], v[5:6], v[9:10], v[3:4]
	ds_read2_b64 v[3:6], v17 offset0:192 offset1:224
	v_mad_u64_u32 v[9:10], s[4:5], s2, v1, 0
	s_mul_i32 s2, s2, s10
	v_mov_b32_e32 v0, v10
	v_mad_u64_u32 v[0:1], s[4:5], s3, v1, v[0:1]
	s_waitcnt lgkmcnt(0)
	v_fma_f64 v[3:4], v[3:4], v[11:12], v[7:8]
	s_add_u32 s4, s12, s0
	s_addc_u32 s5, s13, s1
	s_add_i32 s0, s7, s6
	s_add_i32 s3, s0, s8
	s_lshl_b64 s[0:1], s[2:3], 3
	v_mov_b32_e32 v10, v0
	s_add_u32 s0, s4, s0
	v_fma_f64 v[3:4], v[5:6], v[13:14], v[3:4]
	v_lshlrev_b64 v[0:1], 3, v[9:10]
	s_addc_u32 s1, s5, s1
	v_mov_b32_e32 v5, s1
	v_add_co_u32_e32 v0, vcc, s0, v0
	v_addc_co_u32_e32 v1, vcc, v5, v1, vcc
	v_mul_f64 v[3:4], s[24:25], v[3:4]
	v_add_co_u32_e32 v0, vcc, v0, v2
	v_addc_co_u32_e32 v1, vcc, 0, v1, vcc
	flat_store_dwordx2 v[0:1], v[3:4]
.LBB158_15:
	s_endpgm
	.section	.rodata,"a",@progbits
	.p2align	6, 0x0
	.amdhsa_kernel _ZL23rocblas_trmm_lTx_kernelILi32ELb0EdPKdKS1_KPdEv13rocblas_fill_17rocblas_diagonal_iiT2_lPT3_llS9_llPT4_lli
		.amdhsa_group_segment_fixed_size 16384
		.amdhsa_private_segment_fixed_size 0
		.amdhsa_kernarg_size 108
		.amdhsa_user_sgpr_count 6
		.amdhsa_user_sgpr_private_segment_buffer 1
		.amdhsa_user_sgpr_dispatch_ptr 0
		.amdhsa_user_sgpr_queue_ptr 0
		.amdhsa_user_sgpr_kernarg_segment_ptr 1
		.amdhsa_user_sgpr_dispatch_id 0
		.amdhsa_user_sgpr_flat_scratch_init 0
		.amdhsa_user_sgpr_private_segment_size 0
		.amdhsa_uses_dynamic_stack 0
		.amdhsa_system_sgpr_private_segment_wavefront_offset 0
		.amdhsa_system_sgpr_workgroup_id_x 1
		.amdhsa_system_sgpr_workgroup_id_y 0
		.amdhsa_system_sgpr_workgroup_id_z 1
		.amdhsa_system_sgpr_workgroup_info 0
		.amdhsa_system_vgpr_workitem_id 1
		.amdhsa_next_free_vgpr 29
		.amdhsa_next_free_sgpr 61
		.amdhsa_reserve_vcc 1
		.amdhsa_reserve_flat_scratch 0
		.amdhsa_float_round_mode_32 0
		.amdhsa_float_round_mode_16_64 0
		.amdhsa_float_denorm_mode_32 3
		.amdhsa_float_denorm_mode_16_64 3
		.amdhsa_dx10_clamp 1
		.amdhsa_ieee_mode 1
		.amdhsa_fp16_overflow 0
		.amdhsa_exception_fp_ieee_invalid_op 0
		.amdhsa_exception_fp_denorm_src 0
		.amdhsa_exception_fp_ieee_div_zero 0
		.amdhsa_exception_fp_ieee_overflow 0
		.amdhsa_exception_fp_ieee_underflow 0
		.amdhsa_exception_fp_ieee_inexact 0
		.amdhsa_exception_int_div_zero 0
	.end_amdhsa_kernel
	.section	.text._ZL23rocblas_trmm_lTx_kernelILi32ELb0EdPKdKS1_KPdEv13rocblas_fill_17rocblas_diagonal_iiT2_lPT3_llS9_llPT4_lli,"axG",@progbits,_ZL23rocblas_trmm_lTx_kernelILi32ELb0EdPKdKS1_KPdEv13rocblas_fill_17rocblas_diagonal_iiT2_lPT3_llS9_llPT4_lli,comdat
.Lfunc_end158:
	.size	_ZL23rocblas_trmm_lTx_kernelILi32ELb0EdPKdKS1_KPdEv13rocblas_fill_17rocblas_diagonal_iiT2_lPT3_llS9_llPT4_lli, .Lfunc_end158-_ZL23rocblas_trmm_lTx_kernelILi32ELb0EdPKdKS1_KPdEv13rocblas_fill_17rocblas_diagonal_iiT2_lPT3_llS9_llPT4_lli
                                        ; -- End function
	.set _ZL23rocblas_trmm_lTx_kernelILi32ELb0EdPKdKS1_KPdEv13rocblas_fill_17rocblas_diagonal_iiT2_lPT3_llS9_llPT4_lli.num_vgpr, 18
	.set _ZL23rocblas_trmm_lTx_kernelILi32ELb0EdPKdKS1_KPdEv13rocblas_fill_17rocblas_diagonal_iiT2_lPT3_llS9_llPT4_lli.num_agpr, 0
	.set _ZL23rocblas_trmm_lTx_kernelILi32ELb0EdPKdKS1_KPdEv13rocblas_fill_17rocblas_diagonal_iiT2_lPT3_llS9_llPT4_lli.numbered_sgpr, 32
	.set _ZL23rocblas_trmm_lTx_kernelILi32ELb0EdPKdKS1_KPdEv13rocblas_fill_17rocblas_diagonal_iiT2_lPT3_llS9_llPT4_lli.num_named_barrier, 0
	.set _ZL23rocblas_trmm_lTx_kernelILi32ELb0EdPKdKS1_KPdEv13rocblas_fill_17rocblas_diagonal_iiT2_lPT3_llS9_llPT4_lli.private_seg_size, 0
	.set _ZL23rocblas_trmm_lTx_kernelILi32ELb0EdPKdKS1_KPdEv13rocblas_fill_17rocblas_diagonal_iiT2_lPT3_llS9_llPT4_lli.uses_vcc, 1
	.set _ZL23rocblas_trmm_lTx_kernelILi32ELb0EdPKdKS1_KPdEv13rocblas_fill_17rocblas_diagonal_iiT2_lPT3_llS9_llPT4_lli.uses_flat_scratch, 0
	.set _ZL23rocblas_trmm_lTx_kernelILi32ELb0EdPKdKS1_KPdEv13rocblas_fill_17rocblas_diagonal_iiT2_lPT3_llS9_llPT4_lli.has_dyn_sized_stack, 0
	.set _ZL23rocblas_trmm_lTx_kernelILi32ELb0EdPKdKS1_KPdEv13rocblas_fill_17rocblas_diagonal_iiT2_lPT3_llS9_llPT4_lli.has_recursion, 0
	.set _ZL23rocblas_trmm_lTx_kernelILi32ELb0EdPKdKS1_KPdEv13rocblas_fill_17rocblas_diagonal_iiT2_lPT3_llS9_llPT4_lli.has_indirect_call, 0
	.section	.AMDGPU.csdata,"",@progbits
; Kernel info:
; codeLenInByte = 1380
; TotalNumSgprs: 36
; NumVgprs: 18
; ScratchSize: 0
; MemoryBound: 0
; FloatMode: 240
; IeeeMode: 1
; LDSByteSize: 16384 bytes/workgroup (compile time only)
; SGPRBlocks: 8
; VGPRBlocks: 7
; NumSGPRsForWavesPerEU: 65
; NumVGPRsForWavesPerEU: 29
; Occupancy: 8
; WaveLimiterHint : 1
; COMPUTE_PGM_RSRC2:SCRATCH_EN: 0
; COMPUTE_PGM_RSRC2:USER_SGPR: 6
; COMPUTE_PGM_RSRC2:TRAP_HANDLER: 0
; COMPUTE_PGM_RSRC2:TGID_X_EN: 1
; COMPUTE_PGM_RSRC2:TGID_Y_EN: 0
; COMPUTE_PGM_RSRC2:TGID_Z_EN: 1
; COMPUTE_PGM_RSRC2:TIDIG_COMP_CNT: 1
	.section	.text._ZL23rocblas_trmm_lTx_kernelILi32ELb0EddKPKdKPdEv13rocblas_fill_17rocblas_diagonal_iiT2_lPT3_llS9_llPT4_lli,"axG",@progbits,_ZL23rocblas_trmm_lTx_kernelILi32ELb0EddKPKdKPdEv13rocblas_fill_17rocblas_diagonal_iiT2_lPT3_llS9_llPT4_lli,comdat
	.globl	_ZL23rocblas_trmm_lTx_kernelILi32ELb0EddKPKdKPdEv13rocblas_fill_17rocblas_diagonal_iiT2_lPT3_llS9_llPT4_lli ; -- Begin function _ZL23rocblas_trmm_lTx_kernelILi32ELb0EddKPKdKPdEv13rocblas_fill_17rocblas_diagonal_iiT2_lPT3_llS9_llPT4_lli
	.p2align	8
	.type	_ZL23rocblas_trmm_lTx_kernelILi32ELb0EddKPKdKPdEv13rocblas_fill_17rocblas_diagonal_iiT2_lPT3_llS9_llPT4_lli,@function
_ZL23rocblas_trmm_lTx_kernelILi32ELb0EddKPKdKPdEv13rocblas_fill_17rocblas_diagonal_iiT2_lPT3_llS9_llPT4_lli: ; @_ZL23rocblas_trmm_lTx_kernelILi32ELb0EddKPKdKPdEv13rocblas_fill_17rocblas_diagonal_iiT2_lPT3_llS9_llPT4_lli
; %bb.0:
	s_load_dwordx2 s[2:3], s[4:5], 0x10
	s_waitcnt lgkmcnt(0)
	v_cmp_eq_f64_e64 s[8:9], s[2:3], 0
	s_and_b64 vcc, exec, s[8:9]
	s_cbranch_vccnz .LBB159_15
; %bb.1:
	s_load_dwordx16 s[8:23], s[4:5], 0x20
	s_load_dwordx4 s[24:27], s[4:5], 0x0
	s_mov_b32 s0, s7
	s_mov_b32 s1, 0
	s_lshl_b64 s[30:31], s[0:1], 3
	s_waitcnt lgkmcnt(0)
	s_add_u32 s8, s8, s30
	s_addc_u32 s9, s9, s31
	s_load_dwordx2 s[28:29], s[8:9], 0x0
	s_add_u32 s8, s14, s30
	s_addc_u32 s9, s15, s31
	s_load_dwordx2 s[14:15], s[8:9], 0x0
	;; [unrolled: 3-line block ×3, first 2 shown]
	s_mov_b32 s0, s1
	v_mov_b32_e32 v6, s1
	v_lshlrev_b32_e32 v3, 5, v1
	v_mov_b32_e32 v5, s0
	v_cmp_gt_i32_e64 s[0:1], s26, v1
	v_cmp_gt_i32_e32 vcc, s26, v0
	v_add_lshl_u32 v4, v3, v0, 3
	s_and_b64 s[0:1], s[0:1], vcc
	v_lshlrev_b32_e32 v2, 3, v0
	ds_write2st64_b64 v4, v[5:6], v[5:6] offset1:16
	s_waitcnt lgkmcnt(0)
	s_barrier
	s_and_saveexec_b64 s[20:21], s[0:1]
	s_cbranch_execz .LBB159_3
; %bb.2:
	v_mad_u64_u32 v[5:6], s[0:1], s10, v1, 0
	s_lshl_b64 s[0:1], s[12:13], 3
	s_add_u32 s0, s28, s0
	v_mad_u64_u32 v[6:7], s[10:11], s11, v1, v[6:7]
	s_addc_u32 s1, s29, s1
	v_mov_b32_e32 v7, s1
	v_lshlrev_b64 v[5:6], 3, v[5:6]
	v_add_co_u32_e64 v5, s[0:1], s0, v5
	v_addc_co_u32_e64 v6, s[0:1], v7, v6, s[0:1]
	v_add_co_u32_e64 v5, s[0:1], v5, v2
	v_addc_co_u32_e64 v6, s[0:1], 0, v6, s[0:1]
	flat_load_dwordx2 v[5:6], v[5:6]
	v_lshlrev_b32_e32 v7, 3, v1
	v_lshl_add_u32 v7, v0, 8, v7
	s_waitcnt vmcnt(0) lgkmcnt(0)
	ds_write_b64 v7, v[5:6]
.LBB159_3:
	s_or_b64 exec, exec, s[20:21]
	s_add_i32 s0, s27, -1
	s_ashr_i32 s1, s0, 31
	s_lshr_b32 s1, s1, 27
	s_add_i32 s0, s0, s1
	s_ashr_i32 s1, s0, 5
	s_andn2_b32 s0, s0, 31
	s_sub_i32 s0, s27, s0
	s_cmp_ge_i32 s6, s1
	s_cselect_b32 s0, s0, 32
	s_lshl_b32 s12, s6, 5
	v_cmp_gt_i32_e64 s[0:1], s0, v1
	s_ashr_i32 s13, s12, 31
	s_and_b64 s[0:1], vcc, s[0:1]
	s_and_saveexec_b64 s[6:7], s[0:1]
	s_cbranch_execz .LBB159_5
; %bb.4:
	s_lshl_b64 s[10:11], s[18:19], 3
	s_add_u32 s18, s14, s10
	s_addc_u32 s19, s15, s11
	s_mul_i32 s10, s16, s13
	s_mul_hi_u32 s11, s16, s12
	s_add_i32 s14, s11, s10
	v_mad_u64_u32 v[5:6], s[10:11], s16, v1, 0
	s_mul_i32 s10, s17, s12
	s_add_i32 s11, s14, s10
	v_mad_u64_u32 v[6:7], s[14:15], s17, v1, v[6:7]
	s_mul_i32 s10, s16, s12
	s_lshl_b64 s[10:11], s[10:11], 3
	s_add_u32 s10, s18, s10
	v_lshlrev_b64 v[5:6], 3, v[5:6]
	s_addc_u32 s11, s19, s11
	v_mov_b32_e32 v7, s11
	v_add_co_u32_e32 v5, vcc, s10, v5
	v_addc_co_u32_e32 v6, vcc, v7, v6, vcc
	v_add_co_u32_e32 v5, vcc, v5, v2
	v_addc_co_u32_e32 v6, vcc, 0, v6, vcc
	flat_load_dwordx2 v[5:6], v[5:6]
	v_add_u32_e32 v7, 0x2000, v4
	s_waitcnt vmcnt(0) lgkmcnt(0)
	ds_write_b64 v7, v[5:6]
.LBB159_5:
	s_or_b64 exec, exec, s[6:7]
	s_cmpk_eq_i32 s25, 0x84
	s_cselect_b64 s[6:7], -1, 0
	v_cmp_eq_u32_e32 vcc, v1, v0
	s_and_b64 s[10:11], vcc, s[6:7]
	s_and_saveexec_b64 s[6:7], s[10:11]
; %bb.6:
	v_mov_b32_e32 v5, 0
	v_mov_b32_e32 v6, 0x3ff00000
	ds_write_b64 v4, v[5:6]
; %bb.7:
	s_or_b64 exec, exec, s[6:7]
	s_cmpk_lg_i32 s24, 0x7a
	s_waitcnt lgkmcnt(0)
	s_barrier
	s_cbranch_scc0 .LBB159_9
; %bb.8:
	v_cmp_lt_u32_e32 vcc, v0, v1
	s_and_b64 s[6:7], vcc, exec
	s_cbranch_execz .LBB159_10
	s_branch .LBB159_11
.LBB159_9:
	s_mov_b64 s[6:7], 0
.LBB159_10:
	v_cmp_gt_u32_e32 vcc, v0, v1
	s_andn2_b64 s[6:7], s[6:7], exec
	s_and_b64 s[10:11], vcc, exec
	s_or_b64 s[6:7], s[6:7], s[10:11]
.LBB159_11:
	s_and_saveexec_b64 s[10:11], s[6:7]
; %bb.12:
	v_mov_b32_e32 v5, 0
	v_mov_b32_e32 v6, v5
	ds_write_b64 v4, v[5:6]
; %bb.13:
	s_or_b64 exec, exec, s[10:11]
	s_waitcnt lgkmcnt(0)
	s_barrier
	s_and_saveexec_b64 s[6:7], s[0:1]
	s_cbranch_execz .LBB159_15
; %bb.14:
	ds_read2_b64 v[4:7], v2 offset1:32
	v_lshlrev_b32_e32 v0, 3, v3
	ds_read_b128 v[8:11], v0 offset:8192
	ds_read_b128 v[12:15], v0 offset:8208
	v_add_u32_e32 v17, 0x800, v2
	s_load_dwordx2 s[0:1], s[4:5], 0x60
	s_mul_i32 s10, s22, s13
	s_waitcnt lgkmcnt(0)
	v_fma_f64 v[3:4], v[4:5], v[8:9], 0
	s_mul_hi_u32 s11, s22, s12
	s_lshl_b64 s[0:1], s[0:1], 3
	v_fma_f64 v[7:8], v[6:7], v[10:11], v[3:4]
	ds_read2_b64 v[3:6], v2 offset0:64 offset1:96
	s_waitcnt lgkmcnt(0)
	v_fma_f64 v[3:4], v[3:4], v[12:13], v[7:8]
	v_fma_f64 v[15:16], v[5:6], v[14:15], v[3:4]
	ds_read2_b64 v[3:6], v2 offset0:128 offset1:160
	ds_read_b128 v[7:10], v0 offset:8224
	ds_read_b128 v[11:14], v0 offset:8240
	s_waitcnt lgkmcnt(1)
	v_fma_f64 v[3:4], v[3:4], v[7:8], v[15:16]
	v_fma_f64 v[7:8], v[5:6], v[9:10], v[3:4]
	ds_read2_b64 v[3:6], v2 offset0:192 offset1:224
	s_waitcnt lgkmcnt(0)
	v_fma_f64 v[3:4], v[3:4], v[11:12], v[7:8]
	v_fma_f64 v[15:16], v[5:6], v[13:14], v[3:4]
	ds_read2_b64 v[3:6], v17 offset1:32
	ds_read_b128 v[7:10], v0 offset:8256
	ds_read_b128 v[11:14], v0 offset:8272
	s_waitcnt lgkmcnt(1)
	v_fma_f64 v[3:4], v[3:4], v[7:8], v[15:16]
	v_fma_f64 v[7:8], v[5:6], v[9:10], v[3:4]
	ds_read2_b64 v[3:6], v17 offset0:64 offset1:96
	s_waitcnt lgkmcnt(0)
	v_fma_f64 v[3:4], v[3:4], v[11:12], v[7:8]
	v_fma_f64 v[15:16], v[5:6], v[13:14], v[3:4]
	ds_read2_b64 v[3:6], v17 offset0:128 offset1:160
	ds_read_b128 v[7:10], v0 offset:8288
	ds_read_b128 v[11:14], v0 offset:8304
	s_waitcnt lgkmcnt(1)
	v_fma_f64 v[3:4], v[3:4], v[7:8], v[15:16]
	v_fma_f64 v[7:8], v[5:6], v[9:10], v[3:4]
	ds_read2_b64 v[3:6], v17 offset0:192 offset1:224
	v_add_u32_e32 v17, 0x1000, v2
	s_waitcnt lgkmcnt(0)
	v_fma_f64 v[3:4], v[3:4], v[11:12], v[7:8]
	v_fma_f64 v[15:16], v[5:6], v[13:14], v[3:4]
	ds_read2_b64 v[3:6], v17 offset1:32
	ds_read_b128 v[7:10], v0 offset:8320
	ds_read_b128 v[11:14], v0 offset:8336
	s_waitcnt lgkmcnt(1)
	v_fma_f64 v[3:4], v[3:4], v[7:8], v[15:16]
	v_fma_f64 v[7:8], v[5:6], v[9:10], v[3:4]
	ds_read2_b64 v[3:6], v17 offset0:64 offset1:96
	s_waitcnt lgkmcnt(0)
	v_fma_f64 v[3:4], v[3:4], v[11:12], v[7:8]
	v_fma_f64 v[15:16], v[5:6], v[13:14], v[3:4]
	ds_read2_b64 v[3:6], v17 offset0:128 offset1:160
	ds_read_b128 v[7:10], v0 offset:8352
	ds_read_b128 v[11:14], v0 offset:8368
	s_waitcnt lgkmcnt(1)
	v_fma_f64 v[3:4], v[3:4], v[7:8], v[15:16]
	v_fma_f64 v[7:8], v[5:6], v[9:10], v[3:4]
	ds_read2_b64 v[3:6], v17 offset0:192 offset1:224
	v_add_u32_e32 v17, 0x1800, v2
	s_waitcnt lgkmcnt(0)
	v_fma_f64 v[3:4], v[3:4], v[11:12], v[7:8]
	v_fma_f64 v[15:16], v[5:6], v[13:14], v[3:4]
	ds_read2_b64 v[3:6], v17 offset1:32
	ds_read_b128 v[7:10], v0 offset:8384
	ds_read_b128 v[11:14], v0 offset:8400
	s_waitcnt lgkmcnt(1)
	v_fma_f64 v[3:4], v[3:4], v[7:8], v[15:16]
	v_fma_f64 v[7:8], v[5:6], v[9:10], v[3:4]
	ds_read2_b64 v[3:6], v17 offset0:64 offset1:96
	s_waitcnt lgkmcnt(0)
	v_fma_f64 v[3:4], v[3:4], v[11:12], v[7:8]
	v_fma_f64 v[15:16], v[5:6], v[13:14], v[3:4]
	ds_read2_b64 v[3:6], v17 offset0:128 offset1:160
	ds_read_b128 v[7:10], v0 offset:8416
	ds_read_b128 v[11:14], v0 offset:8432
	s_waitcnt lgkmcnt(1)
	v_fma_f64 v[3:4], v[3:4], v[7:8], v[15:16]
	v_fma_f64 v[7:8], v[5:6], v[9:10], v[3:4]
	ds_read2_b64 v[3:6], v17 offset0:192 offset1:224
	v_mad_u64_u32 v[9:10], s[4:5], s22, v1, 0
	s_mul_i32 s5, s23, s12
	s_mul_i32 s4, s22, s12
	v_mov_b32_e32 v0, v10
	v_mad_u64_u32 v[0:1], s[6:7], s23, v1, v[0:1]
	s_waitcnt lgkmcnt(0)
	v_fma_f64 v[3:4], v[3:4], v[11:12], v[7:8]
	s_add_u32 s6, s8, s0
	s_addc_u32 s7, s9, s1
	s_add_i32 s0, s11, s10
	s_add_i32 s5, s0, s5
	s_lshl_b64 s[0:1], s[4:5], 3
	v_mov_b32_e32 v10, v0
	s_add_u32 s0, s6, s0
	v_fma_f64 v[3:4], v[5:6], v[13:14], v[3:4]
	v_lshlrev_b64 v[0:1], 3, v[9:10]
	s_addc_u32 s1, s7, s1
	v_mov_b32_e32 v5, s1
	v_add_co_u32_e32 v0, vcc, s0, v0
	v_addc_co_u32_e32 v1, vcc, v5, v1, vcc
	v_mul_f64 v[3:4], s[2:3], v[3:4]
	v_add_co_u32_e32 v0, vcc, v0, v2
	v_addc_co_u32_e32 v1, vcc, 0, v1, vcc
	flat_store_dwordx2 v[0:1], v[3:4]
.LBB159_15:
	s_endpgm
	.section	.rodata,"a",@progbits
	.p2align	6, 0x0
	.amdhsa_kernel _ZL23rocblas_trmm_lTx_kernelILi32ELb0EddKPKdKPdEv13rocblas_fill_17rocblas_diagonal_iiT2_lPT3_llS9_llPT4_lli
		.amdhsa_group_segment_fixed_size 16384
		.amdhsa_private_segment_fixed_size 0
		.amdhsa_kernarg_size 108
		.amdhsa_user_sgpr_count 6
		.amdhsa_user_sgpr_private_segment_buffer 1
		.amdhsa_user_sgpr_dispatch_ptr 0
		.amdhsa_user_sgpr_queue_ptr 0
		.amdhsa_user_sgpr_kernarg_segment_ptr 1
		.amdhsa_user_sgpr_dispatch_id 0
		.amdhsa_user_sgpr_flat_scratch_init 0
		.amdhsa_user_sgpr_private_segment_size 0
		.amdhsa_uses_dynamic_stack 0
		.amdhsa_system_sgpr_private_segment_wavefront_offset 0
		.amdhsa_system_sgpr_workgroup_id_x 1
		.amdhsa_system_sgpr_workgroup_id_y 0
		.amdhsa_system_sgpr_workgroup_id_z 1
		.amdhsa_system_sgpr_workgroup_info 0
		.amdhsa_system_vgpr_workitem_id 1
		.amdhsa_next_free_vgpr 29
		.amdhsa_next_free_sgpr 61
		.amdhsa_reserve_vcc 1
		.amdhsa_reserve_flat_scratch 0
		.amdhsa_float_round_mode_32 0
		.amdhsa_float_round_mode_16_64 0
		.amdhsa_float_denorm_mode_32 3
		.amdhsa_float_denorm_mode_16_64 3
		.amdhsa_dx10_clamp 1
		.amdhsa_ieee_mode 1
		.amdhsa_fp16_overflow 0
		.amdhsa_exception_fp_ieee_invalid_op 0
		.amdhsa_exception_fp_denorm_src 0
		.amdhsa_exception_fp_ieee_div_zero 0
		.amdhsa_exception_fp_ieee_overflow 0
		.amdhsa_exception_fp_ieee_underflow 0
		.amdhsa_exception_fp_ieee_inexact 0
		.amdhsa_exception_int_div_zero 0
	.end_amdhsa_kernel
	.section	.text._ZL23rocblas_trmm_lTx_kernelILi32ELb0EddKPKdKPdEv13rocblas_fill_17rocblas_diagonal_iiT2_lPT3_llS9_llPT4_lli,"axG",@progbits,_ZL23rocblas_trmm_lTx_kernelILi32ELb0EddKPKdKPdEv13rocblas_fill_17rocblas_diagonal_iiT2_lPT3_llS9_llPT4_lli,comdat
.Lfunc_end159:
	.size	_ZL23rocblas_trmm_lTx_kernelILi32ELb0EddKPKdKPdEv13rocblas_fill_17rocblas_diagonal_iiT2_lPT3_llS9_llPT4_lli, .Lfunc_end159-_ZL23rocblas_trmm_lTx_kernelILi32ELb0EddKPKdKPdEv13rocblas_fill_17rocblas_diagonal_iiT2_lPT3_llS9_llPT4_lli
                                        ; -- End function
	.set _ZL23rocblas_trmm_lTx_kernelILi32ELb0EddKPKdKPdEv13rocblas_fill_17rocblas_diagonal_iiT2_lPT3_llS9_llPT4_lli.num_vgpr, 18
	.set _ZL23rocblas_trmm_lTx_kernelILi32ELb0EddKPKdKPdEv13rocblas_fill_17rocblas_diagonal_iiT2_lPT3_llS9_llPT4_lli.num_agpr, 0
	.set _ZL23rocblas_trmm_lTx_kernelILi32ELb0EddKPKdKPdEv13rocblas_fill_17rocblas_diagonal_iiT2_lPT3_llS9_llPT4_lli.numbered_sgpr, 32
	.set _ZL23rocblas_trmm_lTx_kernelILi32ELb0EddKPKdKPdEv13rocblas_fill_17rocblas_diagonal_iiT2_lPT3_llS9_llPT4_lli.num_named_barrier, 0
	.set _ZL23rocblas_trmm_lTx_kernelILi32ELb0EddKPKdKPdEv13rocblas_fill_17rocblas_diagonal_iiT2_lPT3_llS9_llPT4_lli.private_seg_size, 0
	.set _ZL23rocblas_trmm_lTx_kernelILi32ELb0EddKPKdKPdEv13rocblas_fill_17rocblas_diagonal_iiT2_lPT3_llS9_llPT4_lli.uses_vcc, 1
	.set _ZL23rocblas_trmm_lTx_kernelILi32ELb0EddKPKdKPdEv13rocblas_fill_17rocblas_diagonal_iiT2_lPT3_llS9_llPT4_lli.uses_flat_scratch, 0
	.set _ZL23rocblas_trmm_lTx_kernelILi32ELb0EddKPKdKPdEv13rocblas_fill_17rocblas_diagonal_iiT2_lPT3_llS9_llPT4_lli.has_dyn_sized_stack, 0
	.set _ZL23rocblas_trmm_lTx_kernelILi32ELb0EddKPKdKPdEv13rocblas_fill_17rocblas_diagonal_iiT2_lPT3_llS9_llPT4_lli.has_recursion, 0
	.set _ZL23rocblas_trmm_lTx_kernelILi32ELb0EddKPKdKPdEv13rocblas_fill_17rocblas_diagonal_iiT2_lPT3_llS9_llPT4_lli.has_indirect_call, 0
	.section	.AMDGPU.csdata,"",@progbits
; Kernel info:
; codeLenInByte = 1340
; TotalNumSgprs: 36
; NumVgprs: 18
; ScratchSize: 0
; MemoryBound: 0
; FloatMode: 240
; IeeeMode: 1
; LDSByteSize: 16384 bytes/workgroup (compile time only)
; SGPRBlocks: 8
; VGPRBlocks: 7
; NumSGPRsForWavesPerEU: 65
; NumVGPRsForWavesPerEU: 29
; Occupancy: 8
; WaveLimiterHint : 1
; COMPUTE_PGM_RSRC2:SCRATCH_EN: 0
; COMPUTE_PGM_RSRC2:USER_SGPR: 6
; COMPUTE_PGM_RSRC2:TRAP_HANDLER: 0
; COMPUTE_PGM_RSRC2:TGID_X_EN: 1
; COMPUTE_PGM_RSRC2:TGID_Y_EN: 0
; COMPUTE_PGM_RSRC2:TGID_Z_EN: 1
; COMPUTE_PGM_RSRC2:TIDIG_COMP_CNT: 1
	.section	.text._ZL23rocblas_trmm_lTx_kernelILi32ELb1EdPKdKS1_KPdEv13rocblas_fill_17rocblas_diagonal_iiT2_lPT3_llS9_llPT4_lli,"axG",@progbits,_ZL23rocblas_trmm_lTx_kernelILi32ELb1EdPKdKS1_KPdEv13rocblas_fill_17rocblas_diagonal_iiT2_lPT3_llS9_llPT4_lli,comdat
	.globl	_ZL23rocblas_trmm_lTx_kernelILi32ELb1EdPKdKS1_KPdEv13rocblas_fill_17rocblas_diagonal_iiT2_lPT3_llS9_llPT4_lli ; -- Begin function _ZL23rocblas_trmm_lTx_kernelILi32ELb1EdPKdKS1_KPdEv13rocblas_fill_17rocblas_diagonal_iiT2_lPT3_llS9_llPT4_lli
	.p2align	8
	.type	_ZL23rocblas_trmm_lTx_kernelILi32ELb1EdPKdKS1_KPdEv13rocblas_fill_17rocblas_diagonal_iiT2_lPT3_llS9_llPT4_lli,@function
_ZL23rocblas_trmm_lTx_kernelILi32ELb1EdPKdKS1_KPdEv13rocblas_fill_17rocblas_diagonal_iiT2_lPT3_llS9_llPT4_lli: ; @_ZL23rocblas_trmm_lTx_kernelILi32ELb1EdPKdKS1_KPdEv13rocblas_fill_17rocblas_diagonal_iiT2_lPT3_llS9_llPT4_lli
; %bb.0:
	s_load_dwordx16 s[8:23], s[4:5], 0x10
	s_waitcnt lgkmcnt(0)
	s_mul_i32 s0, s11, s7
	s_mul_hi_u32 s1, s10, s7
	s_add_i32 s1, s1, s0
	s_mul_i32 s0, s10, s7
	s_lshl_b64 s[0:1], s[0:1], 3
	s_add_u32 s0, s8, s0
	s_addc_u32 s1, s9, s1
	s_load_dwordx2 s[24:25], s[0:1], 0x0
	s_waitcnt lgkmcnt(0)
	v_cmp_eq_f64_e64 s[0:1], s[24:25], 0
	s_and_b64 vcc, exec, s[0:1]
	s_cbranch_vccnz .LBB160_15
; %bb.1:
	s_mov_b32 s26, s7
	s_mov_b32 s27, 0
	s_load_dwordx4 s[8:11], s[4:5], 0x0
	s_load_dwordx4 s[0:3], s[4:5], 0x50
	s_lshl_b64 s[30:31], s[26:27], 3
	s_add_u32 s12, s12, s30
	s_addc_u32 s13, s13, s31
	s_load_dwordx2 s[28:29], s[12:13], 0x0
	s_add_u32 s12, s18, s30
	s_addc_u32 s13, s19, s31
	s_waitcnt lgkmcnt(0)
	s_add_u32 s0, s0, s30
	s_addc_u32 s1, s1, s31
	s_load_dwordx2 s[18:19], s[12:13], 0x0
	s_mov_b32 s26, s27
	s_load_dwordx2 s[12:13], s[0:1], 0x0
	v_lshlrev_b32_e32 v3, 5, v1
	v_mov_b32_e32 v5, s26
	v_cmp_gt_i32_e64 s[0:1], s10, v1
	v_cmp_gt_i32_e32 vcc, s10, v0
	v_add_lshl_u32 v4, v3, v0, 3
	v_mov_b32_e32 v6, s27
	s_and_b64 s[0:1], s[0:1], vcc
	v_lshlrev_b32_e32 v2, 3, v0
	ds_write2st64_b64 v4, v[5:6], v[5:6] offset1:16
	s_waitcnt lgkmcnt(0)
	s_barrier
	s_and_saveexec_b64 s[26:27], s[0:1]
	s_cbranch_execz .LBB160_3
; %bb.2:
	v_mad_u64_u32 v[5:6], s[0:1], s14, v1, 0
	s_lshl_b64 s[0:1], s[16:17], 3
	s_add_u32 s0, s28, s0
	v_mad_u64_u32 v[6:7], s[14:15], s15, v1, v[6:7]
	s_addc_u32 s1, s29, s1
	v_mov_b32_e32 v7, s1
	v_lshlrev_b64 v[5:6], 3, v[5:6]
	v_add_co_u32_e64 v5, s[0:1], s0, v5
	v_addc_co_u32_e64 v6, s[0:1], v7, v6, s[0:1]
	v_add_co_u32_e64 v5, s[0:1], v5, v2
	v_addc_co_u32_e64 v6, s[0:1], 0, v6, s[0:1]
	flat_load_dwordx2 v[5:6], v[5:6]
	v_lshlrev_b32_e32 v7, 3, v1
	v_lshl_add_u32 v7, v0, 8, v7
	s_waitcnt vmcnt(0) lgkmcnt(0)
	ds_write_b64 v7, v[5:6]
.LBB160_3:
	s_or_b64 exec, exec, s[26:27]
	s_add_i32 s0, s11, -1
	s_ashr_i32 s1, s0, 31
	s_lshr_b32 s1, s1, 27
	s_add_i32 s0, s0, s1
	s_ashr_i32 s1, s0, 5
	s_andn2_b32 s0, s0, 31
	s_sub_i32 s0, s11, s0
	s_cmp_ge_i32 s6, s1
	s_cselect_b32 s0, s0, 32
	s_lshl_b32 s10, s6, 5
	v_cmp_gt_i32_e64 s[0:1], s0, v1
	s_ashr_i32 s11, s10, 31
	s_and_b64 s[0:1], vcc, s[0:1]
	s_and_saveexec_b64 s[6:7], s[0:1]
	s_cbranch_execz .LBB160_5
; %bb.4:
	s_lshl_b64 s[14:15], s[22:23], 3
	s_add_u32 s18, s18, s14
	s_addc_u32 s19, s19, s15
	s_mul_i32 s14, s20, s11
	s_mul_hi_u32 s15, s20, s10
	s_add_i32 s16, s15, s14
	v_mad_u64_u32 v[5:6], s[14:15], s20, v1, 0
	s_mul_i32 s14, s21, s10
	s_add_i32 s15, s16, s14
	v_mad_u64_u32 v[6:7], s[16:17], s21, v1, v[6:7]
	s_mul_i32 s14, s20, s10
	s_lshl_b64 s[14:15], s[14:15], 3
	s_add_u32 s14, s18, s14
	v_lshlrev_b64 v[5:6], 3, v[5:6]
	s_addc_u32 s15, s19, s15
	v_mov_b32_e32 v7, s15
	v_add_co_u32_e32 v5, vcc, s14, v5
	v_addc_co_u32_e32 v6, vcc, v7, v6, vcc
	v_add_co_u32_e32 v5, vcc, v5, v2
	v_addc_co_u32_e32 v6, vcc, 0, v6, vcc
	flat_load_dwordx2 v[5:6], v[5:6]
	v_add_u32_e32 v7, 0x2000, v4
	s_waitcnt vmcnt(0) lgkmcnt(0)
	ds_write_b64 v7, v[5:6]
.LBB160_5:
	s_or_b64 exec, exec, s[6:7]
	s_cmpk_eq_i32 s9, 0x84
	s_cselect_b64 s[6:7], -1, 0
	v_cmp_eq_u32_e32 vcc, v1, v0
	s_and_b64 s[14:15], vcc, s[6:7]
	s_and_saveexec_b64 s[6:7], s[14:15]
; %bb.6:
	v_mov_b32_e32 v5, 0
	v_mov_b32_e32 v6, 0x3ff00000
	ds_write_b64 v4, v[5:6]
; %bb.7:
	s_or_b64 exec, exec, s[6:7]
	s_cmpk_lg_i32 s8, 0x7a
	s_waitcnt lgkmcnt(0)
	s_barrier
	s_cbranch_scc0 .LBB160_9
; %bb.8:
	v_cmp_lt_u32_e32 vcc, v0, v1
	s_and_b64 s[6:7], vcc, exec
	s_cbranch_execz .LBB160_10
	s_branch .LBB160_11
.LBB160_9:
	s_mov_b64 s[6:7], 0
.LBB160_10:
	v_cmp_gt_u32_e32 vcc, v0, v1
	s_andn2_b64 s[6:7], s[6:7], exec
	s_and_b64 s[8:9], vcc, exec
	s_or_b64 s[6:7], s[6:7], s[8:9]
.LBB160_11:
	s_and_saveexec_b64 s[8:9], s[6:7]
; %bb.12:
	v_mov_b32_e32 v5, 0
	v_mov_b32_e32 v6, v5
	ds_write_b64 v4, v[5:6]
; %bb.13:
	s_or_b64 exec, exec, s[8:9]
	s_waitcnt lgkmcnt(0)
	s_barrier
	s_and_saveexec_b64 s[6:7], s[0:1]
	s_cbranch_execz .LBB160_15
; %bb.14:
	ds_read2_b64 v[4:7], v2 offset1:32
	v_lshlrev_b32_e32 v0, 3, v3
	ds_read_b128 v[8:11], v0 offset:8192
	ds_read_b128 v[12:15], v0 offset:8208
	v_add_u32_e32 v17, 0x800, v2
	s_load_dwordx2 s[0:1], s[4:5], 0x60
	s_mul_i32 s6, s2, s11
	s_waitcnt lgkmcnt(0)
	v_fma_f64 v[3:4], v[4:5], v[8:9], 0
	s_mul_hi_u32 s7, s2, s10
	s_mul_i32 s8, s3, s10
	s_lshl_b64 s[0:1], s[0:1], 3
	v_fma_f64 v[7:8], v[6:7], v[10:11], v[3:4]
	ds_read2_b64 v[3:6], v2 offset0:64 offset1:96
	s_waitcnt lgkmcnt(0)
	v_fma_f64 v[3:4], v[3:4], v[12:13], v[7:8]
	v_fma_f64 v[15:16], v[5:6], v[14:15], v[3:4]
	ds_read2_b64 v[3:6], v2 offset0:128 offset1:160
	ds_read_b128 v[7:10], v0 offset:8224
	ds_read_b128 v[11:14], v0 offset:8240
	s_waitcnt lgkmcnt(1)
	v_fma_f64 v[3:4], v[3:4], v[7:8], v[15:16]
	v_fma_f64 v[7:8], v[5:6], v[9:10], v[3:4]
	ds_read2_b64 v[3:6], v2 offset0:192 offset1:224
	s_waitcnt lgkmcnt(0)
	v_fma_f64 v[3:4], v[3:4], v[11:12], v[7:8]
	v_fma_f64 v[15:16], v[5:6], v[13:14], v[3:4]
	ds_read2_b64 v[3:6], v17 offset1:32
	ds_read_b128 v[7:10], v0 offset:8256
	ds_read_b128 v[11:14], v0 offset:8272
	s_waitcnt lgkmcnt(1)
	v_fma_f64 v[3:4], v[3:4], v[7:8], v[15:16]
	v_fma_f64 v[7:8], v[5:6], v[9:10], v[3:4]
	ds_read2_b64 v[3:6], v17 offset0:64 offset1:96
	s_waitcnt lgkmcnt(0)
	v_fma_f64 v[3:4], v[3:4], v[11:12], v[7:8]
	v_fma_f64 v[15:16], v[5:6], v[13:14], v[3:4]
	ds_read2_b64 v[3:6], v17 offset0:128 offset1:160
	ds_read_b128 v[7:10], v0 offset:8288
	ds_read_b128 v[11:14], v0 offset:8304
	s_waitcnt lgkmcnt(1)
	v_fma_f64 v[3:4], v[3:4], v[7:8], v[15:16]
	v_fma_f64 v[7:8], v[5:6], v[9:10], v[3:4]
	ds_read2_b64 v[3:6], v17 offset0:192 offset1:224
	v_add_u32_e32 v17, 0x1000, v2
	s_waitcnt lgkmcnt(0)
	v_fma_f64 v[3:4], v[3:4], v[11:12], v[7:8]
	v_fma_f64 v[15:16], v[5:6], v[13:14], v[3:4]
	ds_read2_b64 v[3:6], v17 offset1:32
	ds_read_b128 v[7:10], v0 offset:8320
	ds_read_b128 v[11:14], v0 offset:8336
	s_waitcnt lgkmcnt(1)
	v_fma_f64 v[3:4], v[3:4], v[7:8], v[15:16]
	v_fma_f64 v[7:8], v[5:6], v[9:10], v[3:4]
	ds_read2_b64 v[3:6], v17 offset0:64 offset1:96
	s_waitcnt lgkmcnt(0)
	v_fma_f64 v[3:4], v[3:4], v[11:12], v[7:8]
	v_fma_f64 v[15:16], v[5:6], v[13:14], v[3:4]
	ds_read2_b64 v[3:6], v17 offset0:128 offset1:160
	ds_read_b128 v[7:10], v0 offset:8352
	ds_read_b128 v[11:14], v0 offset:8368
	s_waitcnt lgkmcnt(1)
	v_fma_f64 v[3:4], v[3:4], v[7:8], v[15:16]
	v_fma_f64 v[7:8], v[5:6], v[9:10], v[3:4]
	ds_read2_b64 v[3:6], v17 offset0:192 offset1:224
	v_add_u32_e32 v17, 0x1800, v2
	s_waitcnt lgkmcnt(0)
	v_fma_f64 v[3:4], v[3:4], v[11:12], v[7:8]
	v_fma_f64 v[15:16], v[5:6], v[13:14], v[3:4]
	ds_read2_b64 v[3:6], v17 offset1:32
	ds_read_b128 v[7:10], v0 offset:8384
	ds_read_b128 v[11:14], v0 offset:8400
	s_waitcnt lgkmcnt(1)
	v_fma_f64 v[3:4], v[3:4], v[7:8], v[15:16]
	v_fma_f64 v[7:8], v[5:6], v[9:10], v[3:4]
	ds_read2_b64 v[3:6], v17 offset0:64 offset1:96
	s_waitcnt lgkmcnt(0)
	v_fma_f64 v[3:4], v[3:4], v[11:12], v[7:8]
	v_fma_f64 v[15:16], v[5:6], v[13:14], v[3:4]
	ds_read2_b64 v[3:6], v17 offset0:128 offset1:160
	ds_read_b128 v[7:10], v0 offset:8416
	ds_read_b128 v[11:14], v0 offset:8432
	s_waitcnt lgkmcnt(1)
	v_fma_f64 v[3:4], v[3:4], v[7:8], v[15:16]
	v_fma_f64 v[7:8], v[5:6], v[9:10], v[3:4]
	ds_read2_b64 v[3:6], v17 offset0:192 offset1:224
	v_mad_u64_u32 v[9:10], s[4:5], s2, v1, 0
	s_mul_i32 s2, s2, s10
	v_mov_b32_e32 v0, v10
	v_mad_u64_u32 v[0:1], s[4:5], s3, v1, v[0:1]
	s_waitcnt lgkmcnt(0)
	v_fma_f64 v[3:4], v[3:4], v[11:12], v[7:8]
	s_add_u32 s4, s12, s0
	s_addc_u32 s5, s13, s1
	s_add_i32 s0, s7, s6
	s_add_i32 s3, s0, s8
	s_lshl_b64 s[0:1], s[2:3], 3
	v_mov_b32_e32 v10, v0
	s_add_u32 s0, s4, s0
	v_fma_f64 v[3:4], v[5:6], v[13:14], v[3:4]
	v_lshlrev_b64 v[0:1], 3, v[9:10]
	s_addc_u32 s1, s5, s1
	v_mov_b32_e32 v5, s1
	v_add_co_u32_e32 v0, vcc, s0, v0
	v_addc_co_u32_e32 v1, vcc, v5, v1, vcc
	v_mul_f64 v[3:4], s[24:25], v[3:4]
	v_add_co_u32_e32 v0, vcc, v0, v2
	v_addc_co_u32_e32 v1, vcc, 0, v1, vcc
	flat_store_dwordx2 v[0:1], v[3:4]
.LBB160_15:
	s_endpgm
	.section	.rodata,"a",@progbits
	.p2align	6, 0x0
	.amdhsa_kernel _ZL23rocblas_trmm_lTx_kernelILi32ELb1EdPKdKS1_KPdEv13rocblas_fill_17rocblas_diagonal_iiT2_lPT3_llS9_llPT4_lli
		.amdhsa_group_segment_fixed_size 16384
		.amdhsa_private_segment_fixed_size 0
		.amdhsa_kernarg_size 108
		.amdhsa_user_sgpr_count 6
		.amdhsa_user_sgpr_private_segment_buffer 1
		.amdhsa_user_sgpr_dispatch_ptr 0
		.amdhsa_user_sgpr_queue_ptr 0
		.amdhsa_user_sgpr_kernarg_segment_ptr 1
		.amdhsa_user_sgpr_dispatch_id 0
		.amdhsa_user_sgpr_flat_scratch_init 0
		.amdhsa_user_sgpr_private_segment_size 0
		.amdhsa_uses_dynamic_stack 0
		.amdhsa_system_sgpr_private_segment_wavefront_offset 0
		.amdhsa_system_sgpr_workgroup_id_x 1
		.amdhsa_system_sgpr_workgroup_id_y 0
		.amdhsa_system_sgpr_workgroup_id_z 1
		.amdhsa_system_sgpr_workgroup_info 0
		.amdhsa_system_vgpr_workitem_id 1
		.amdhsa_next_free_vgpr 29
		.amdhsa_next_free_sgpr 61
		.amdhsa_reserve_vcc 1
		.amdhsa_reserve_flat_scratch 0
		.amdhsa_float_round_mode_32 0
		.amdhsa_float_round_mode_16_64 0
		.amdhsa_float_denorm_mode_32 3
		.amdhsa_float_denorm_mode_16_64 3
		.amdhsa_dx10_clamp 1
		.amdhsa_ieee_mode 1
		.amdhsa_fp16_overflow 0
		.amdhsa_exception_fp_ieee_invalid_op 0
		.amdhsa_exception_fp_denorm_src 0
		.amdhsa_exception_fp_ieee_div_zero 0
		.amdhsa_exception_fp_ieee_overflow 0
		.amdhsa_exception_fp_ieee_underflow 0
		.amdhsa_exception_fp_ieee_inexact 0
		.amdhsa_exception_int_div_zero 0
	.end_amdhsa_kernel
	.section	.text._ZL23rocblas_trmm_lTx_kernelILi32ELb1EdPKdKS1_KPdEv13rocblas_fill_17rocblas_diagonal_iiT2_lPT3_llS9_llPT4_lli,"axG",@progbits,_ZL23rocblas_trmm_lTx_kernelILi32ELb1EdPKdKS1_KPdEv13rocblas_fill_17rocblas_diagonal_iiT2_lPT3_llS9_llPT4_lli,comdat
.Lfunc_end160:
	.size	_ZL23rocblas_trmm_lTx_kernelILi32ELb1EdPKdKS1_KPdEv13rocblas_fill_17rocblas_diagonal_iiT2_lPT3_llS9_llPT4_lli, .Lfunc_end160-_ZL23rocblas_trmm_lTx_kernelILi32ELb1EdPKdKS1_KPdEv13rocblas_fill_17rocblas_diagonal_iiT2_lPT3_llS9_llPT4_lli
                                        ; -- End function
	.set _ZL23rocblas_trmm_lTx_kernelILi32ELb1EdPKdKS1_KPdEv13rocblas_fill_17rocblas_diagonal_iiT2_lPT3_llS9_llPT4_lli.num_vgpr, 18
	.set _ZL23rocblas_trmm_lTx_kernelILi32ELb1EdPKdKS1_KPdEv13rocblas_fill_17rocblas_diagonal_iiT2_lPT3_llS9_llPT4_lli.num_agpr, 0
	.set _ZL23rocblas_trmm_lTx_kernelILi32ELb1EdPKdKS1_KPdEv13rocblas_fill_17rocblas_diagonal_iiT2_lPT3_llS9_llPT4_lli.numbered_sgpr, 32
	.set _ZL23rocblas_trmm_lTx_kernelILi32ELb1EdPKdKS1_KPdEv13rocblas_fill_17rocblas_diagonal_iiT2_lPT3_llS9_llPT4_lli.num_named_barrier, 0
	.set _ZL23rocblas_trmm_lTx_kernelILi32ELb1EdPKdKS1_KPdEv13rocblas_fill_17rocblas_diagonal_iiT2_lPT3_llS9_llPT4_lli.private_seg_size, 0
	.set _ZL23rocblas_trmm_lTx_kernelILi32ELb1EdPKdKS1_KPdEv13rocblas_fill_17rocblas_diagonal_iiT2_lPT3_llS9_llPT4_lli.uses_vcc, 1
	.set _ZL23rocblas_trmm_lTx_kernelILi32ELb1EdPKdKS1_KPdEv13rocblas_fill_17rocblas_diagonal_iiT2_lPT3_llS9_llPT4_lli.uses_flat_scratch, 0
	.set _ZL23rocblas_trmm_lTx_kernelILi32ELb1EdPKdKS1_KPdEv13rocblas_fill_17rocblas_diagonal_iiT2_lPT3_llS9_llPT4_lli.has_dyn_sized_stack, 0
	.set _ZL23rocblas_trmm_lTx_kernelILi32ELb1EdPKdKS1_KPdEv13rocblas_fill_17rocblas_diagonal_iiT2_lPT3_llS9_llPT4_lli.has_recursion, 0
	.set _ZL23rocblas_trmm_lTx_kernelILi32ELb1EdPKdKS1_KPdEv13rocblas_fill_17rocblas_diagonal_iiT2_lPT3_llS9_llPT4_lli.has_indirect_call, 0
	.section	.AMDGPU.csdata,"",@progbits
; Kernel info:
; codeLenInByte = 1380
; TotalNumSgprs: 36
; NumVgprs: 18
; ScratchSize: 0
; MemoryBound: 0
; FloatMode: 240
; IeeeMode: 1
; LDSByteSize: 16384 bytes/workgroup (compile time only)
; SGPRBlocks: 8
; VGPRBlocks: 7
; NumSGPRsForWavesPerEU: 65
; NumVGPRsForWavesPerEU: 29
; Occupancy: 8
; WaveLimiterHint : 1
; COMPUTE_PGM_RSRC2:SCRATCH_EN: 0
; COMPUTE_PGM_RSRC2:USER_SGPR: 6
; COMPUTE_PGM_RSRC2:TRAP_HANDLER: 0
; COMPUTE_PGM_RSRC2:TGID_X_EN: 1
; COMPUTE_PGM_RSRC2:TGID_Y_EN: 0
; COMPUTE_PGM_RSRC2:TGID_Z_EN: 1
; COMPUTE_PGM_RSRC2:TIDIG_COMP_CNT: 1
	.section	.text._ZL23rocblas_trmm_lTx_kernelILi32ELb1EddKPKdKPdEv13rocblas_fill_17rocblas_diagonal_iiT2_lPT3_llS9_llPT4_lli,"axG",@progbits,_ZL23rocblas_trmm_lTx_kernelILi32ELb1EddKPKdKPdEv13rocblas_fill_17rocblas_diagonal_iiT2_lPT3_llS9_llPT4_lli,comdat
	.globl	_ZL23rocblas_trmm_lTx_kernelILi32ELb1EddKPKdKPdEv13rocblas_fill_17rocblas_diagonal_iiT2_lPT3_llS9_llPT4_lli ; -- Begin function _ZL23rocblas_trmm_lTx_kernelILi32ELb1EddKPKdKPdEv13rocblas_fill_17rocblas_diagonal_iiT2_lPT3_llS9_llPT4_lli
	.p2align	8
	.type	_ZL23rocblas_trmm_lTx_kernelILi32ELb1EddKPKdKPdEv13rocblas_fill_17rocblas_diagonal_iiT2_lPT3_llS9_llPT4_lli,@function
_ZL23rocblas_trmm_lTx_kernelILi32ELb1EddKPKdKPdEv13rocblas_fill_17rocblas_diagonal_iiT2_lPT3_llS9_llPT4_lli: ; @_ZL23rocblas_trmm_lTx_kernelILi32ELb1EddKPKdKPdEv13rocblas_fill_17rocblas_diagonal_iiT2_lPT3_llS9_llPT4_lli
; %bb.0:
	s_load_dwordx2 s[2:3], s[4:5], 0x10
	s_waitcnt lgkmcnt(0)
	v_cmp_eq_f64_e64 s[8:9], s[2:3], 0
	s_and_b64 vcc, exec, s[8:9]
	s_cbranch_vccnz .LBB161_15
; %bb.1:
	s_load_dwordx16 s[8:23], s[4:5], 0x20
	s_load_dwordx4 s[24:27], s[4:5], 0x0
	s_mov_b32 s0, s7
	s_mov_b32 s1, 0
	s_lshl_b64 s[30:31], s[0:1], 3
	s_waitcnt lgkmcnt(0)
	s_add_u32 s8, s8, s30
	s_addc_u32 s9, s9, s31
	s_load_dwordx2 s[28:29], s[8:9], 0x0
	s_add_u32 s8, s14, s30
	s_addc_u32 s9, s15, s31
	s_load_dwordx2 s[14:15], s[8:9], 0x0
	;; [unrolled: 3-line block ×3, first 2 shown]
	s_mov_b32 s0, s1
	v_mov_b32_e32 v6, s1
	v_lshlrev_b32_e32 v3, 5, v1
	v_mov_b32_e32 v5, s0
	v_cmp_gt_i32_e64 s[0:1], s26, v1
	v_cmp_gt_i32_e32 vcc, s26, v0
	v_add_lshl_u32 v4, v3, v0, 3
	s_and_b64 s[0:1], s[0:1], vcc
	v_lshlrev_b32_e32 v2, 3, v0
	ds_write2st64_b64 v4, v[5:6], v[5:6] offset1:16
	s_waitcnt lgkmcnt(0)
	s_barrier
	s_and_saveexec_b64 s[20:21], s[0:1]
	s_cbranch_execz .LBB161_3
; %bb.2:
	v_mad_u64_u32 v[5:6], s[0:1], s10, v1, 0
	s_lshl_b64 s[0:1], s[12:13], 3
	s_add_u32 s0, s28, s0
	v_mad_u64_u32 v[6:7], s[10:11], s11, v1, v[6:7]
	s_addc_u32 s1, s29, s1
	v_mov_b32_e32 v7, s1
	v_lshlrev_b64 v[5:6], 3, v[5:6]
	v_add_co_u32_e64 v5, s[0:1], s0, v5
	v_addc_co_u32_e64 v6, s[0:1], v7, v6, s[0:1]
	v_add_co_u32_e64 v5, s[0:1], v5, v2
	v_addc_co_u32_e64 v6, s[0:1], 0, v6, s[0:1]
	flat_load_dwordx2 v[5:6], v[5:6]
	v_lshlrev_b32_e32 v7, 3, v1
	v_lshl_add_u32 v7, v0, 8, v7
	s_waitcnt vmcnt(0) lgkmcnt(0)
	ds_write_b64 v7, v[5:6]
.LBB161_3:
	s_or_b64 exec, exec, s[20:21]
	s_add_i32 s0, s27, -1
	s_ashr_i32 s1, s0, 31
	s_lshr_b32 s1, s1, 27
	s_add_i32 s0, s0, s1
	s_ashr_i32 s1, s0, 5
	s_andn2_b32 s0, s0, 31
	s_sub_i32 s0, s27, s0
	s_cmp_ge_i32 s6, s1
	s_cselect_b32 s0, s0, 32
	s_lshl_b32 s12, s6, 5
	v_cmp_gt_i32_e64 s[0:1], s0, v1
	s_ashr_i32 s13, s12, 31
	s_and_b64 s[0:1], vcc, s[0:1]
	s_and_saveexec_b64 s[6:7], s[0:1]
	s_cbranch_execz .LBB161_5
; %bb.4:
	s_lshl_b64 s[10:11], s[18:19], 3
	s_add_u32 s18, s14, s10
	s_addc_u32 s19, s15, s11
	s_mul_i32 s10, s16, s13
	s_mul_hi_u32 s11, s16, s12
	s_add_i32 s14, s11, s10
	v_mad_u64_u32 v[5:6], s[10:11], s16, v1, 0
	s_mul_i32 s10, s17, s12
	s_add_i32 s11, s14, s10
	v_mad_u64_u32 v[6:7], s[14:15], s17, v1, v[6:7]
	s_mul_i32 s10, s16, s12
	s_lshl_b64 s[10:11], s[10:11], 3
	s_add_u32 s10, s18, s10
	v_lshlrev_b64 v[5:6], 3, v[5:6]
	s_addc_u32 s11, s19, s11
	v_mov_b32_e32 v7, s11
	v_add_co_u32_e32 v5, vcc, s10, v5
	v_addc_co_u32_e32 v6, vcc, v7, v6, vcc
	v_add_co_u32_e32 v5, vcc, v5, v2
	v_addc_co_u32_e32 v6, vcc, 0, v6, vcc
	flat_load_dwordx2 v[5:6], v[5:6]
	v_add_u32_e32 v7, 0x2000, v4
	s_waitcnt vmcnt(0) lgkmcnt(0)
	ds_write_b64 v7, v[5:6]
.LBB161_5:
	s_or_b64 exec, exec, s[6:7]
	s_cmpk_eq_i32 s25, 0x84
	s_cselect_b64 s[6:7], -1, 0
	v_cmp_eq_u32_e32 vcc, v1, v0
	s_and_b64 s[10:11], vcc, s[6:7]
	s_and_saveexec_b64 s[6:7], s[10:11]
; %bb.6:
	v_mov_b32_e32 v5, 0
	v_mov_b32_e32 v6, 0x3ff00000
	ds_write_b64 v4, v[5:6]
; %bb.7:
	s_or_b64 exec, exec, s[6:7]
	s_cmpk_lg_i32 s24, 0x7a
	s_waitcnt lgkmcnt(0)
	s_barrier
	s_cbranch_scc0 .LBB161_9
; %bb.8:
	v_cmp_lt_u32_e32 vcc, v0, v1
	s_and_b64 s[6:7], vcc, exec
	s_cbranch_execz .LBB161_10
	s_branch .LBB161_11
.LBB161_9:
	s_mov_b64 s[6:7], 0
.LBB161_10:
	v_cmp_gt_u32_e32 vcc, v0, v1
	s_andn2_b64 s[6:7], s[6:7], exec
	s_and_b64 s[10:11], vcc, exec
	s_or_b64 s[6:7], s[6:7], s[10:11]
.LBB161_11:
	s_and_saveexec_b64 s[10:11], s[6:7]
; %bb.12:
	v_mov_b32_e32 v5, 0
	v_mov_b32_e32 v6, v5
	ds_write_b64 v4, v[5:6]
; %bb.13:
	s_or_b64 exec, exec, s[10:11]
	s_waitcnt lgkmcnt(0)
	s_barrier
	s_and_saveexec_b64 s[6:7], s[0:1]
	s_cbranch_execz .LBB161_15
; %bb.14:
	ds_read2_b64 v[4:7], v2 offset1:32
	v_lshlrev_b32_e32 v0, 3, v3
	ds_read_b128 v[8:11], v0 offset:8192
	ds_read_b128 v[12:15], v0 offset:8208
	v_add_u32_e32 v17, 0x800, v2
	s_load_dwordx2 s[0:1], s[4:5], 0x60
	s_mul_i32 s10, s22, s13
	s_waitcnt lgkmcnt(0)
	v_fma_f64 v[3:4], v[4:5], v[8:9], 0
	s_mul_hi_u32 s11, s22, s12
	s_lshl_b64 s[0:1], s[0:1], 3
	v_fma_f64 v[7:8], v[6:7], v[10:11], v[3:4]
	ds_read2_b64 v[3:6], v2 offset0:64 offset1:96
	s_waitcnt lgkmcnt(0)
	v_fma_f64 v[3:4], v[3:4], v[12:13], v[7:8]
	v_fma_f64 v[15:16], v[5:6], v[14:15], v[3:4]
	ds_read2_b64 v[3:6], v2 offset0:128 offset1:160
	ds_read_b128 v[7:10], v0 offset:8224
	ds_read_b128 v[11:14], v0 offset:8240
	s_waitcnt lgkmcnt(1)
	v_fma_f64 v[3:4], v[3:4], v[7:8], v[15:16]
	v_fma_f64 v[7:8], v[5:6], v[9:10], v[3:4]
	ds_read2_b64 v[3:6], v2 offset0:192 offset1:224
	s_waitcnt lgkmcnt(0)
	v_fma_f64 v[3:4], v[3:4], v[11:12], v[7:8]
	v_fma_f64 v[15:16], v[5:6], v[13:14], v[3:4]
	ds_read2_b64 v[3:6], v17 offset1:32
	ds_read_b128 v[7:10], v0 offset:8256
	ds_read_b128 v[11:14], v0 offset:8272
	s_waitcnt lgkmcnt(1)
	v_fma_f64 v[3:4], v[3:4], v[7:8], v[15:16]
	v_fma_f64 v[7:8], v[5:6], v[9:10], v[3:4]
	ds_read2_b64 v[3:6], v17 offset0:64 offset1:96
	s_waitcnt lgkmcnt(0)
	v_fma_f64 v[3:4], v[3:4], v[11:12], v[7:8]
	v_fma_f64 v[15:16], v[5:6], v[13:14], v[3:4]
	ds_read2_b64 v[3:6], v17 offset0:128 offset1:160
	ds_read_b128 v[7:10], v0 offset:8288
	ds_read_b128 v[11:14], v0 offset:8304
	s_waitcnt lgkmcnt(1)
	v_fma_f64 v[3:4], v[3:4], v[7:8], v[15:16]
	v_fma_f64 v[7:8], v[5:6], v[9:10], v[3:4]
	ds_read2_b64 v[3:6], v17 offset0:192 offset1:224
	v_add_u32_e32 v17, 0x1000, v2
	s_waitcnt lgkmcnt(0)
	v_fma_f64 v[3:4], v[3:4], v[11:12], v[7:8]
	v_fma_f64 v[15:16], v[5:6], v[13:14], v[3:4]
	ds_read2_b64 v[3:6], v17 offset1:32
	ds_read_b128 v[7:10], v0 offset:8320
	ds_read_b128 v[11:14], v0 offset:8336
	s_waitcnt lgkmcnt(1)
	v_fma_f64 v[3:4], v[3:4], v[7:8], v[15:16]
	v_fma_f64 v[7:8], v[5:6], v[9:10], v[3:4]
	ds_read2_b64 v[3:6], v17 offset0:64 offset1:96
	s_waitcnt lgkmcnt(0)
	v_fma_f64 v[3:4], v[3:4], v[11:12], v[7:8]
	v_fma_f64 v[15:16], v[5:6], v[13:14], v[3:4]
	ds_read2_b64 v[3:6], v17 offset0:128 offset1:160
	ds_read_b128 v[7:10], v0 offset:8352
	ds_read_b128 v[11:14], v0 offset:8368
	s_waitcnt lgkmcnt(1)
	v_fma_f64 v[3:4], v[3:4], v[7:8], v[15:16]
	v_fma_f64 v[7:8], v[5:6], v[9:10], v[3:4]
	ds_read2_b64 v[3:6], v17 offset0:192 offset1:224
	v_add_u32_e32 v17, 0x1800, v2
	s_waitcnt lgkmcnt(0)
	v_fma_f64 v[3:4], v[3:4], v[11:12], v[7:8]
	v_fma_f64 v[15:16], v[5:6], v[13:14], v[3:4]
	ds_read2_b64 v[3:6], v17 offset1:32
	ds_read_b128 v[7:10], v0 offset:8384
	ds_read_b128 v[11:14], v0 offset:8400
	s_waitcnt lgkmcnt(1)
	v_fma_f64 v[3:4], v[3:4], v[7:8], v[15:16]
	v_fma_f64 v[7:8], v[5:6], v[9:10], v[3:4]
	ds_read2_b64 v[3:6], v17 offset0:64 offset1:96
	s_waitcnt lgkmcnt(0)
	v_fma_f64 v[3:4], v[3:4], v[11:12], v[7:8]
	v_fma_f64 v[15:16], v[5:6], v[13:14], v[3:4]
	ds_read2_b64 v[3:6], v17 offset0:128 offset1:160
	ds_read_b128 v[7:10], v0 offset:8416
	ds_read_b128 v[11:14], v0 offset:8432
	s_waitcnt lgkmcnt(1)
	v_fma_f64 v[3:4], v[3:4], v[7:8], v[15:16]
	v_fma_f64 v[7:8], v[5:6], v[9:10], v[3:4]
	ds_read2_b64 v[3:6], v17 offset0:192 offset1:224
	v_mad_u64_u32 v[9:10], s[4:5], s22, v1, 0
	s_mul_i32 s5, s23, s12
	s_mul_i32 s4, s22, s12
	v_mov_b32_e32 v0, v10
	v_mad_u64_u32 v[0:1], s[6:7], s23, v1, v[0:1]
	s_waitcnt lgkmcnt(0)
	v_fma_f64 v[3:4], v[3:4], v[11:12], v[7:8]
	s_add_u32 s6, s8, s0
	s_addc_u32 s7, s9, s1
	s_add_i32 s0, s11, s10
	s_add_i32 s5, s0, s5
	s_lshl_b64 s[0:1], s[4:5], 3
	v_mov_b32_e32 v10, v0
	s_add_u32 s0, s6, s0
	v_fma_f64 v[3:4], v[5:6], v[13:14], v[3:4]
	v_lshlrev_b64 v[0:1], 3, v[9:10]
	s_addc_u32 s1, s7, s1
	v_mov_b32_e32 v5, s1
	v_add_co_u32_e32 v0, vcc, s0, v0
	v_addc_co_u32_e32 v1, vcc, v5, v1, vcc
	v_mul_f64 v[3:4], s[2:3], v[3:4]
	v_add_co_u32_e32 v0, vcc, v0, v2
	v_addc_co_u32_e32 v1, vcc, 0, v1, vcc
	flat_store_dwordx2 v[0:1], v[3:4]
.LBB161_15:
	s_endpgm
	.section	.rodata,"a",@progbits
	.p2align	6, 0x0
	.amdhsa_kernel _ZL23rocblas_trmm_lTx_kernelILi32ELb1EddKPKdKPdEv13rocblas_fill_17rocblas_diagonal_iiT2_lPT3_llS9_llPT4_lli
		.amdhsa_group_segment_fixed_size 16384
		.amdhsa_private_segment_fixed_size 0
		.amdhsa_kernarg_size 108
		.amdhsa_user_sgpr_count 6
		.amdhsa_user_sgpr_private_segment_buffer 1
		.amdhsa_user_sgpr_dispatch_ptr 0
		.amdhsa_user_sgpr_queue_ptr 0
		.amdhsa_user_sgpr_kernarg_segment_ptr 1
		.amdhsa_user_sgpr_dispatch_id 0
		.amdhsa_user_sgpr_flat_scratch_init 0
		.amdhsa_user_sgpr_private_segment_size 0
		.amdhsa_uses_dynamic_stack 0
		.amdhsa_system_sgpr_private_segment_wavefront_offset 0
		.amdhsa_system_sgpr_workgroup_id_x 1
		.amdhsa_system_sgpr_workgroup_id_y 0
		.amdhsa_system_sgpr_workgroup_id_z 1
		.amdhsa_system_sgpr_workgroup_info 0
		.amdhsa_system_vgpr_workitem_id 1
		.amdhsa_next_free_vgpr 29
		.amdhsa_next_free_sgpr 61
		.amdhsa_reserve_vcc 1
		.amdhsa_reserve_flat_scratch 0
		.amdhsa_float_round_mode_32 0
		.amdhsa_float_round_mode_16_64 0
		.amdhsa_float_denorm_mode_32 3
		.amdhsa_float_denorm_mode_16_64 3
		.amdhsa_dx10_clamp 1
		.amdhsa_ieee_mode 1
		.amdhsa_fp16_overflow 0
		.amdhsa_exception_fp_ieee_invalid_op 0
		.amdhsa_exception_fp_denorm_src 0
		.amdhsa_exception_fp_ieee_div_zero 0
		.amdhsa_exception_fp_ieee_overflow 0
		.amdhsa_exception_fp_ieee_underflow 0
		.amdhsa_exception_fp_ieee_inexact 0
		.amdhsa_exception_int_div_zero 0
	.end_amdhsa_kernel
	.section	.text._ZL23rocblas_trmm_lTx_kernelILi32ELb1EddKPKdKPdEv13rocblas_fill_17rocblas_diagonal_iiT2_lPT3_llS9_llPT4_lli,"axG",@progbits,_ZL23rocblas_trmm_lTx_kernelILi32ELb1EddKPKdKPdEv13rocblas_fill_17rocblas_diagonal_iiT2_lPT3_llS9_llPT4_lli,comdat
.Lfunc_end161:
	.size	_ZL23rocblas_trmm_lTx_kernelILi32ELb1EddKPKdKPdEv13rocblas_fill_17rocblas_diagonal_iiT2_lPT3_llS9_llPT4_lli, .Lfunc_end161-_ZL23rocblas_trmm_lTx_kernelILi32ELb1EddKPKdKPdEv13rocblas_fill_17rocblas_diagonal_iiT2_lPT3_llS9_llPT4_lli
                                        ; -- End function
	.set _ZL23rocblas_trmm_lTx_kernelILi32ELb1EddKPKdKPdEv13rocblas_fill_17rocblas_diagonal_iiT2_lPT3_llS9_llPT4_lli.num_vgpr, 18
	.set _ZL23rocblas_trmm_lTx_kernelILi32ELb1EddKPKdKPdEv13rocblas_fill_17rocblas_diagonal_iiT2_lPT3_llS9_llPT4_lli.num_agpr, 0
	.set _ZL23rocblas_trmm_lTx_kernelILi32ELb1EddKPKdKPdEv13rocblas_fill_17rocblas_diagonal_iiT2_lPT3_llS9_llPT4_lli.numbered_sgpr, 32
	.set _ZL23rocblas_trmm_lTx_kernelILi32ELb1EddKPKdKPdEv13rocblas_fill_17rocblas_diagonal_iiT2_lPT3_llS9_llPT4_lli.num_named_barrier, 0
	.set _ZL23rocblas_trmm_lTx_kernelILi32ELb1EddKPKdKPdEv13rocblas_fill_17rocblas_diagonal_iiT2_lPT3_llS9_llPT4_lli.private_seg_size, 0
	.set _ZL23rocblas_trmm_lTx_kernelILi32ELb1EddKPKdKPdEv13rocblas_fill_17rocblas_diagonal_iiT2_lPT3_llS9_llPT4_lli.uses_vcc, 1
	.set _ZL23rocblas_trmm_lTx_kernelILi32ELb1EddKPKdKPdEv13rocblas_fill_17rocblas_diagonal_iiT2_lPT3_llS9_llPT4_lli.uses_flat_scratch, 0
	.set _ZL23rocblas_trmm_lTx_kernelILi32ELb1EddKPKdKPdEv13rocblas_fill_17rocblas_diagonal_iiT2_lPT3_llS9_llPT4_lli.has_dyn_sized_stack, 0
	.set _ZL23rocblas_trmm_lTx_kernelILi32ELb1EddKPKdKPdEv13rocblas_fill_17rocblas_diagonal_iiT2_lPT3_llS9_llPT4_lli.has_recursion, 0
	.set _ZL23rocblas_trmm_lTx_kernelILi32ELb1EddKPKdKPdEv13rocblas_fill_17rocblas_diagonal_iiT2_lPT3_llS9_llPT4_lli.has_indirect_call, 0
	.section	.AMDGPU.csdata,"",@progbits
; Kernel info:
; codeLenInByte = 1340
; TotalNumSgprs: 36
; NumVgprs: 18
; ScratchSize: 0
; MemoryBound: 0
; FloatMode: 240
; IeeeMode: 1
; LDSByteSize: 16384 bytes/workgroup (compile time only)
; SGPRBlocks: 8
; VGPRBlocks: 7
; NumSGPRsForWavesPerEU: 65
; NumVGPRsForWavesPerEU: 29
; Occupancy: 8
; WaveLimiterHint : 1
; COMPUTE_PGM_RSRC2:SCRATCH_EN: 0
; COMPUTE_PGM_RSRC2:USER_SGPR: 6
; COMPUTE_PGM_RSRC2:TRAP_HANDLER: 0
; COMPUTE_PGM_RSRC2:TGID_X_EN: 1
; COMPUTE_PGM_RSRC2:TGID_Y_EN: 0
; COMPUTE_PGM_RSRC2:TGID_Z_EN: 1
; COMPUTE_PGM_RSRC2:TIDIG_COMP_CNT: 1
	.section	.text._ZL23rocblas_trmm_rNx_kernelILi32EdPKdKS1_KPdEv13rocblas_fill_17rocblas_diagonal_iiT1_lPT2_llS9_llPT3_lli,"axG",@progbits,_ZL23rocblas_trmm_rNx_kernelILi32EdPKdKS1_KPdEv13rocblas_fill_17rocblas_diagonal_iiT1_lPT2_llS9_llPT3_lli,comdat
	.globl	_ZL23rocblas_trmm_rNx_kernelILi32EdPKdKS1_KPdEv13rocblas_fill_17rocblas_diagonal_iiT1_lPT2_llS9_llPT3_lli ; -- Begin function _ZL23rocblas_trmm_rNx_kernelILi32EdPKdKS1_KPdEv13rocblas_fill_17rocblas_diagonal_iiT1_lPT2_llS9_llPT3_lli
	.p2align	8
	.type	_ZL23rocblas_trmm_rNx_kernelILi32EdPKdKS1_KPdEv13rocblas_fill_17rocblas_diagonal_iiT1_lPT2_llS9_llPT3_lli,@function
_ZL23rocblas_trmm_rNx_kernelILi32EdPKdKS1_KPdEv13rocblas_fill_17rocblas_diagonal_iiT1_lPT2_llS9_llPT3_lli: ; @_ZL23rocblas_trmm_rNx_kernelILi32EdPKdKS1_KPdEv13rocblas_fill_17rocblas_diagonal_iiT1_lPT2_llS9_llPT3_lli
; %bb.0:
	s_load_dwordx16 s[8:23], s[4:5], 0x10
	s_waitcnt lgkmcnt(0)
	s_mul_i32 s0, s11, s7
	s_mul_hi_u32 s1, s10, s7
	s_add_i32 s1, s1, s0
	s_mul_i32 s0, s10, s7
	s_lshl_b64 s[0:1], s[0:1], 3
	s_add_u32 s0, s8, s0
	s_addc_u32 s1, s9, s1
	s_load_dwordx2 s[24:25], s[0:1], 0x0
	s_waitcnt lgkmcnt(0)
	v_cmp_eq_f64_e64 s[0:1], s[24:25], 0
	s_and_b64 vcc, exec, s[0:1]
	s_cbranch_vccnz .LBB162_15
; %bb.1:
	s_load_dwordx4 s[8:11], s[4:5], 0x0
	s_load_dwordx4 s[0:3], s[4:5], 0x50
	s_mov_b32 s28, s7
	s_mov_b32 s29, 0
	s_lshl_b64 s[30:31], s[28:29], 3
	s_add_u32 s18, s18, s30
	s_addc_u32 s19, s19, s31
	s_waitcnt lgkmcnt(0)
	s_add_u32 s0, s0, s30
	s_addc_u32 s1, s1, s31
	s_load_dwordx2 s[26:27], s[18:19], 0x0
	s_mov_b32 s28, s29
	s_load_dwordx2 s[18:19], s[0:1], 0x0
	v_lshlrev_b32_e32 v3, 5, v1
	v_mov_b32_e32 v5, s28
	v_cmp_gt_i32_e32 vcc, s11, v1
	v_cmp_gt_i32_e64 s[0:1], s11, v0
	v_add_lshl_u32 v4, v3, v0, 3
	v_mov_b32_e32 v6, s29
	s_and_b64 s[0:1], vcc, s[0:1]
	v_lshlrev_b32_e32 v2, 3, v0
	ds_write2st64_b64 v4, v[5:6], v[5:6] offset1:16
	s_and_saveexec_b64 s[28:29], s[0:1]
	s_cbranch_execz .LBB162_3
; %bb.2:
	v_mad_u64_u32 v[5:6], s[0:1], s14, v1, 0
	s_add_u32 s0, s12, s30
	s_addc_u32 s1, s13, s31
	s_load_dwordx2 s[0:1], s[0:1], 0x0
	v_mad_u64_u32 v[6:7], s[12:13], s15, v1, v[6:7]
	s_lshl_b64 s[12:13], s[16:17], 3
	s_waitcnt lgkmcnt(0)
	s_add_u32 s0, s0, s12
	v_lshlrev_b64 v[5:6], 3, v[5:6]
	s_addc_u32 s1, s1, s13
	v_mov_b32_e32 v7, s1
	v_add_co_u32_e64 v5, s[0:1], s0, v5
	v_addc_co_u32_e64 v6, s[0:1], v7, v6, s[0:1]
	v_add_co_u32_e64 v5, s[0:1], v5, v2
	v_addc_co_u32_e64 v6, s[0:1], 0, v6, s[0:1]
	flat_load_dwordx2 v[5:6], v[5:6]
	s_waitcnt vmcnt(0) lgkmcnt(0)
	ds_write_b64 v4, v[5:6]
.LBB162_3:
	s_or_b64 exec, exec, s[28:29]
	s_add_i32 s0, s10, -1
	s_ashr_i32 s1, s0, 31
	s_lshr_b32 s1, s1, 27
	s_add_i32 s0, s0, s1
	s_ashr_i32 s1, s0, 5
	s_andn2_b32 s0, s0, 31
	s_sub_i32 s0, s10, s0
	s_cmp_ge_i32 s6, s1
	s_cselect_b32 s0, s0, 32
	s_lshl_b32 s6, s6, 5
	v_cmp_gt_i32_e64 s[0:1], s0, v0
	s_ashr_i32 s7, s6, 31
	s_and_b64 s[0:1], vcc, s[0:1]
	s_and_saveexec_b64 s[10:11], s[0:1]
	s_cbranch_execz .LBB162_5
; %bb.4:
	v_mad_u64_u32 v[5:6], s[12:13], s20, v1, 0
	s_lshl_b64 s[12:13], s[22:23], 3
	s_waitcnt lgkmcnt(0)
	s_add_u32 s14, s26, s12
	s_addc_u32 s15, s27, s13
	v_mad_u64_u32 v[6:7], s[12:13], s21, v1, v[6:7]
	s_lshl_b64 s[12:13], s[6:7], 3
	s_add_u32 s12, s14, s12
	v_lshlrev_b64 v[5:6], 3, v[5:6]
	s_addc_u32 s13, s15, s13
	v_mov_b32_e32 v7, s13
	v_add_co_u32_e32 v5, vcc, s12, v5
	v_addc_co_u32_e32 v6, vcc, v7, v6, vcc
	v_add_co_u32_e32 v5, vcc, v5, v2
	v_addc_co_u32_e32 v6, vcc, 0, v6, vcc
	flat_load_dwordx2 v[5:6], v[5:6]
	v_add_u32_e32 v7, 0x2000, v4
	s_waitcnt vmcnt(0) lgkmcnt(0)
	ds_write_b64 v7, v[5:6]
.LBB162_5:
	s_or_b64 exec, exec, s[10:11]
	s_cmpk_eq_i32 s9, 0x84
	s_cselect_b64 s[10:11], -1, 0
	v_cmp_eq_u32_e32 vcc, v1, v0
	s_and_b64 s[12:13], vcc, s[10:11]
	s_and_saveexec_b64 s[10:11], s[12:13]
; %bb.6:
	v_mov_b32_e32 v5, 0
	v_mov_b32_e32 v6, 0x3ff00000
	ds_write_b64 v4, v[5:6]
; %bb.7:
	s_or_b64 exec, exec, s[10:11]
	s_cmpk_lg_i32 s8, 0x79
	s_cbranch_scc0 .LBB162_9
; %bb.8:
	v_cmp_lt_u32_e32 vcc, v0, v1
	s_and_b64 s[8:9], vcc, exec
	s_cbranch_execz .LBB162_10
	s_branch .LBB162_11
.LBB162_9:
	s_mov_b64 s[8:9], 0
.LBB162_10:
	v_cmp_gt_u32_e32 vcc, v0, v1
	s_andn2_b64 s[8:9], s[8:9], exec
	s_and_b64 s[10:11], vcc, exec
	s_or_b64 s[8:9], s[8:9], s[10:11]
.LBB162_11:
	s_and_saveexec_b64 s[10:11], s[8:9]
; %bb.12:
	v_mov_b32_e32 v5, 0
	v_mov_b32_e32 v6, v5
	ds_write_b64 v4, v[5:6]
; %bb.13:
	s_or_b64 exec, exec, s[10:11]
	s_waitcnt lgkmcnt(0)
	s_barrier
	s_and_saveexec_b64 s[8:9], s[0:1]
	s_cbranch_execz .LBB162_15
; %bb.14:
	v_add_u32_e32 v17, 0x2000, v2
	ds_read2_b64 v[4:7], v17 offset1:32
	v_lshlrev_b32_e32 v0, 3, v3
	ds_read_b128 v[8:11], v0
	ds_read_b128 v[12:15], v0 offset:16
	s_load_dwordx2 s[0:1], s[4:5], 0x60
	s_waitcnt lgkmcnt(0)
	v_fma_f64 v[3:4], v[4:5], v[8:9], 0
	s_lshl_b64 s[0:1], s[0:1], 3
	v_fma_f64 v[7:8], v[6:7], v[10:11], v[3:4]
	ds_read2_b64 v[3:6], v17 offset0:64 offset1:96
	s_waitcnt lgkmcnt(0)
	v_fma_f64 v[3:4], v[3:4], v[12:13], v[7:8]
	v_fma_f64 v[15:16], v[5:6], v[14:15], v[3:4]
	ds_read2_b64 v[3:6], v17 offset0:128 offset1:160
	ds_read_b128 v[7:10], v0 offset:32
	ds_read_b128 v[11:14], v0 offset:48
	s_waitcnt lgkmcnt(1)
	v_fma_f64 v[3:4], v[3:4], v[7:8], v[15:16]
	v_fma_f64 v[7:8], v[5:6], v[9:10], v[3:4]
	ds_read2_b64 v[3:6], v17 offset0:192 offset1:224
	v_add_u32_e32 v17, 0x2800, v2
	s_waitcnt lgkmcnt(0)
	v_fma_f64 v[3:4], v[3:4], v[11:12], v[7:8]
	v_fma_f64 v[15:16], v[5:6], v[13:14], v[3:4]
	ds_read2_b64 v[3:6], v17 offset1:32
	ds_read_b128 v[7:10], v0 offset:64
	ds_read_b128 v[11:14], v0 offset:80
	s_waitcnt lgkmcnt(1)
	v_fma_f64 v[3:4], v[3:4], v[7:8], v[15:16]
	v_fma_f64 v[7:8], v[5:6], v[9:10], v[3:4]
	ds_read2_b64 v[3:6], v17 offset0:64 offset1:96
	s_waitcnt lgkmcnt(0)
	v_fma_f64 v[3:4], v[3:4], v[11:12], v[7:8]
	v_fma_f64 v[15:16], v[5:6], v[13:14], v[3:4]
	ds_read2_b64 v[3:6], v17 offset0:128 offset1:160
	ds_read_b128 v[7:10], v0 offset:96
	ds_read_b128 v[11:14], v0 offset:112
	s_waitcnt lgkmcnt(1)
	v_fma_f64 v[3:4], v[3:4], v[7:8], v[15:16]
	v_fma_f64 v[7:8], v[5:6], v[9:10], v[3:4]
	ds_read2_b64 v[3:6], v17 offset0:192 offset1:224
	v_add_u32_e32 v17, 0x3000, v2
	s_waitcnt lgkmcnt(0)
	v_fma_f64 v[3:4], v[3:4], v[11:12], v[7:8]
	v_fma_f64 v[15:16], v[5:6], v[13:14], v[3:4]
	ds_read2_b64 v[3:6], v17 offset1:32
	ds_read_b128 v[7:10], v0 offset:128
	ds_read_b128 v[11:14], v0 offset:144
	s_waitcnt lgkmcnt(1)
	v_fma_f64 v[3:4], v[3:4], v[7:8], v[15:16]
	;; [unrolled: 21-line block ×3, first 2 shown]
	v_fma_f64 v[7:8], v[5:6], v[9:10], v[3:4]
	ds_read2_b64 v[3:6], v17 offset0:64 offset1:96
	s_waitcnt lgkmcnt(0)
	v_fma_f64 v[3:4], v[3:4], v[11:12], v[7:8]
	v_fma_f64 v[15:16], v[5:6], v[13:14], v[3:4]
	ds_read2_b64 v[3:6], v17 offset0:128 offset1:160
	ds_read_b128 v[7:10], v0 offset:224
	ds_read_b128 v[11:14], v0 offset:240
	s_waitcnt lgkmcnt(1)
	v_fma_f64 v[3:4], v[3:4], v[7:8], v[15:16]
	v_fma_f64 v[7:8], v[5:6], v[9:10], v[3:4]
	ds_read2_b64 v[3:6], v17 offset0:192 offset1:224
	v_mad_u64_u32 v[9:10], s[4:5], s2, v1, 0
	v_mov_b32_e32 v0, v10
	v_mad_u64_u32 v[0:1], s[2:3], s3, v1, v[0:1]
	s_waitcnt lgkmcnt(0)
	v_fma_f64 v[3:4], v[3:4], v[11:12], v[7:8]
	s_add_u32 s2, s18, s0
	s_addc_u32 s3, s19, s1
	s_lshl_b64 s[0:1], s[6:7], 3
	v_mov_b32_e32 v10, v0
	s_add_u32 s0, s2, s0
	v_lshlrev_b64 v[0:1], 3, v[9:10]
	s_addc_u32 s1, s3, s1
	v_fma_f64 v[3:4], v[5:6], v[13:14], v[3:4]
	v_mov_b32_e32 v5, s1
	v_add_co_u32_e32 v0, vcc, s0, v0
	v_addc_co_u32_e32 v1, vcc, v5, v1, vcc
	v_add_co_u32_e32 v0, vcc, v0, v2
	v_mul_f64 v[3:4], s[24:25], v[3:4]
	v_addc_co_u32_e32 v1, vcc, 0, v1, vcc
	flat_store_dwordx2 v[0:1], v[3:4]
.LBB162_15:
	s_endpgm
	.section	.rodata,"a",@progbits
	.p2align	6, 0x0
	.amdhsa_kernel _ZL23rocblas_trmm_rNx_kernelILi32EdPKdKS1_KPdEv13rocblas_fill_17rocblas_diagonal_iiT1_lPT2_llS9_llPT3_lli
		.amdhsa_group_segment_fixed_size 16384
		.amdhsa_private_segment_fixed_size 0
		.amdhsa_kernarg_size 108
		.amdhsa_user_sgpr_count 6
		.amdhsa_user_sgpr_private_segment_buffer 1
		.amdhsa_user_sgpr_dispatch_ptr 0
		.amdhsa_user_sgpr_queue_ptr 0
		.amdhsa_user_sgpr_kernarg_segment_ptr 1
		.amdhsa_user_sgpr_dispatch_id 0
		.amdhsa_user_sgpr_flat_scratch_init 0
		.amdhsa_user_sgpr_private_segment_size 0
		.amdhsa_uses_dynamic_stack 0
		.amdhsa_system_sgpr_private_segment_wavefront_offset 0
		.amdhsa_system_sgpr_workgroup_id_x 1
		.amdhsa_system_sgpr_workgroup_id_y 0
		.amdhsa_system_sgpr_workgroup_id_z 1
		.amdhsa_system_sgpr_workgroup_info 0
		.amdhsa_system_vgpr_workitem_id 1
		.amdhsa_next_free_vgpr 29
		.amdhsa_next_free_sgpr 61
		.amdhsa_reserve_vcc 1
		.amdhsa_reserve_flat_scratch 0
		.amdhsa_float_round_mode_32 0
		.amdhsa_float_round_mode_16_64 0
		.amdhsa_float_denorm_mode_32 3
		.amdhsa_float_denorm_mode_16_64 3
		.amdhsa_dx10_clamp 1
		.amdhsa_ieee_mode 1
		.amdhsa_fp16_overflow 0
		.amdhsa_exception_fp_ieee_invalid_op 0
		.amdhsa_exception_fp_denorm_src 0
		.amdhsa_exception_fp_ieee_div_zero 0
		.amdhsa_exception_fp_ieee_overflow 0
		.amdhsa_exception_fp_ieee_underflow 0
		.amdhsa_exception_fp_ieee_inexact 0
		.amdhsa_exception_int_div_zero 0
	.end_amdhsa_kernel
	.section	.text._ZL23rocblas_trmm_rNx_kernelILi32EdPKdKS1_KPdEv13rocblas_fill_17rocblas_diagonal_iiT1_lPT2_llS9_llPT3_lli,"axG",@progbits,_ZL23rocblas_trmm_rNx_kernelILi32EdPKdKS1_KPdEv13rocblas_fill_17rocblas_diagonal_iiT1_lPT2_llS9_llPT3_lli,comdat
.Lfunc_end162:
	.size	_ZL23rocblas_trmm_rNx_kernelILi32EdPKdKS1_KPdEv13rocblas_fill_17rocblas_diagonal_iiT1_lPT2_llS9_llPT3_lli, .Lfunc_end162-_ZL23rocblas_trmm_rNx_kernelILi32EdPKdKS1_KPdEv13rocblas_fill_17rocblas_diagonal_iiT1_lPT2_llS9_llPT3_lli
                                        ; -- End function
	.set _ZL23rocblas_trmm_rNx_kernelILi32EdPKdKS1_KPdEv13rocblas_fill_17rocblas_diagonal_iiT1_lPT2_llS9_llPT3_lli.num_vgpr, 18
	.set _ZL23rocblas_trmm_rNx_kernelILi32EdPKdKS1_KPdEv13rocblas_fill_17rocblas_diagonal_iiT1_lPT2_llS9_llPT3_lli.num_agpr, 0
	.set _ZL23rocblas_trmm_rNx_kernelILi32EdPKdKS1_KPdEv13rocblas_fill_17rocblas_diagonal_iiT1_lPT2_llS9_llPT3_lli.numbered_sgpr, 32
	.set _ZL23rocblas_trmm_rNx_kernelILi32EdPKdKS1_KPdEv13rocblas_fill_17rocblas_diagonal_iiT1_lPT2_llS9_llPT3_lli.num_named_barrier, 0
	.set _ZL23rocblas_trmm_rNx_kernelILi32EdPKdKS1_KPdEv13rocblas_fill_17rocblas_diagonal_iiT1_lPT2_llS9_llPT3_lli.private_seg_size, 0
	.set _ZL23rocblas_trmm_rNx_kernelILi32EdPKdKS1_KPdEv13rocblas_fill_17rocblas_diagonal_iiT1_lPT2_llS9_llPT3_lli.uses_vcc, 1
	.set _ZL23rocblas_trmm_rNx_kernelILi32EdPKdKS1_KPdEv13rocblas_fill_17rocblas_diagonal_iiT1_lPT2_llS9_llPT3_lli.uses_flat_scratch, 0
	.set _ZL23rocblas_trmm_rNx_kernelILi32EdPKdKS1_KPdEv13rocblas_fill_17rocblas_diagonal_iiT1_lPT2_llS9_llPT3_lli.has_dyn_sized_stack, 0
	.set _ZL23rocblas_trmm_rNx_kernelILi32EdPKdKS1_KPdEv13rocblas_fill_17rocblas_diagonal_iiT1_lPT2_llS9_llPT3_lli.has_recursion, 0
	.set _ZL23rocblas_trmm_rNx_kernelILi32EdPKdKS1_KPdEv13rocblas_fill_17rocblas_diagonal_iiT1_lPT2_llS9_llPT3_lli.has_indirect_call, 0
	.section	.AMDGPU.csdata,"",@progbits
; Kernel info:
; codeLenInByte = 1320
; TotalNumSgprs: 36
; NumVgprs: 18
; ScratchSize: 0
; MemoryBound: 0
; FloatMode: 240
; IeeeMode: 1
; LDSByteSize: 16384 bytes/workgroup (compile time only)
; SGPRBlocks: 8
; VGPRBlocks: 7
; NumSGPRsForWavesPerEU: 65
; NumVGPRsForWavesPerEU: 29
; Occupancy: 8
; WaveLimiterHint : 1
; COMPUTE_PGM_RSRC2:SCRATCH_EN: 0
; COMPUTE_PGM_RSRC2:USER_SGPR: 6
; COMPUTE_PGM_RSRC2:TRAP_HANDLER: 0
; COMPUTE_PGM_RSRC2:TGID_X_EN: 1
; COMPUTE_PGM_RSRC2:TGID_Y_EN: 0
; COMPUTE_PGM_RSRC2:TGID_Z_EN: 1
; COMPUTE_PGM_RSRC2:TIDIG_COMP_CNT: 1
	.section	.text._ZL23rocblas_trmm_rNx_kernelILi32EddKPKdKPdEv13rocblas_fill_17rocblas_diagonal_iiT1_lPT2_llS9_llPT3_lli,"axG",@progbits,_ZL23rocblas_trmm_rNx_kernelILi32EddKPKdKPdEv13rocblas_fill_17rocblas_diagonal_iiT1_lPT2_llS9_llPT3_lli,comdat
	.globl	_ZL23rocblas_trmm_rNx_kernelILi32EddKPKdKPdEv13rocblas_fill_17rocblas_diagonal_iiT1_lPT2_llS9_llPT3_lli ; -- Begin function _ZL23rocblas_trmm_rNx_kernelILi32EddKPKdKPdEv13rocblas_fill_17rocblas_diagonal_iiT1_lPT2_llS9_llPT3_lli
	.p2align	8
	.type	_ZL23rocblas_trmm_rNx_kernelILi32EddKPKdKPdEv13rocblas_fill_17rocblas_diagonal_iiT1_lPT2_llS9_llPT3_lli,@function
_ZL23rocblas_trmm_rNx_kernelILi32EddKPKdKPdEv13rocblas_fill_17rocblas_diagonal_iiT1_lPT2_llS9_llPT3_lli: ; @_ZL23rocblas_trmm_rNx_kernelILi32EddKPKdKPdEv13rocblas_fill_17rocblas_diagonal_iiT1_lPT2_llS9_llPT3_lli
; %bb.0:
	s_load_dwordx2 s[2:3], s[4:5], 0x10
	s_waitcnt lgkmcnt(0)
	v_cmp_eq_f64_e64 s[8:9], s[2:3], 0
	s_and_b64 vcc, exec, s[8:9]
	s_cbranch_vccnz .LBB163_15
; %bb.1:
	s_load_dwordx16 s[8:23], s[4:5], 0x20
	s_load_dwordx4 s[24:27], s[4:5], 0x0
	s_mov_b32 s0, s7
	s_mov_b32 s1, 0
	s_lshl_b64 s[30:31], s[0:1], 3
	s_waitcnt lgkmcnt(0)
	s_add_u32 s14, s14, s30
	s_addc_u32 s15, s15, s31
	s_load_dwordx2 s[28:29], s[14:15], 0x0
	s_add_u32 s14, s20, s30
	s_addc_u32 s15, s21, s31
	s_load_dwordx2 s[14:15], s[14:15], 0x0
	s_mov_b32 s0, s1
	v_mov_b32_e32 v6, s1
	v_lshlrev_b32_e32 v3, 5, v1
	v_mov_b32_e32 v5, s0
	v_cmp_gt_i32_e32 vcc, s27, v1
	v_cmp_gt_i32_e64 s[0:1], s27, v0
	v_add_lshl_u32 v4, v3, v0, 3
	s_and_b64 s[0:1], vcc, s[0:1]
	v_lshlrev_b32_e32 v2, 3, v0
	ds_write2st64_b64 v4, v[5:6], v[5:6] offset1:16
	s_and_saveexec_b64 s[20:21], s[0:1]
	s_cbranch_execz .LBB163_3
; %bb.2:
	v_mad_u64_u32 v[5:6], s[0:1], s10, v1, 0
	s_add_u32 s0, s8, s30
	s_addc_u32 s1, s9, s31
	s_load_dwordx2 s[0:1], s[0:1], 0x0
	v_mad_u64_u32 v[6:7], s[8:9], s11, v1, v[6:7]
	s_lshl_b64 s[8:9], s[12:13], 3
	s_waitcnt lgkmcnt(0)
	s_add_u32 s0, s0, s8
	v_lshlrev_b64 v[5:6], 3, v[5:6]
	s_addc_u32 s1, s1, s9
	v_mov_b32_e32 v7, s1
	v_add_co_u32_e64 v5, s[0:1], s0, v5
	v_addc_co_u32_e64 v6, s[0:1], v7, v6, s[0:1]
	v_add_co_u32_e64 v5, s[0:1], v5, v2
	v_addc_co_u32_e64 v6, s[0:1], 0, v6, s[0:1]
	flat_load_dwordx2 v[5:6], v[5:6]
	s_waitcnt vmcnt(0) lgkmcnt(0)
	ds_write_b64 v4, v[5:6]
.LBB163_3:
	s_or_b64 exec, exec, s[20:21]
	s_add_i32 s0, s26, -1
	s_ashr_i32 s1, s0, 31
	s_lshr_b32 s1, s1, 27
	s_add_i32 s0, s0, s1
	s_ashr_i32 s1, s0, 5
	s_andn2_b32 s0, s0, 31
	s_sub_i32 s0, s26, s0
	s_cmp_ge_i32 s6, s1
	s_cselect_b32 s0, s0, 32
	s_lshl_b32 s6, s6, 5
	v_cmp_gt_i32_e64 s[0:1], s0, v0
	s_ashr_i32 s7, s6, 31
	s_and_b64 s[0:1], vcc, s[0:1]
	s_and_saveexec_b64 s[8:9], s[0:1]
	s_cbranch_execz .LBB163_5
; %bb.4:
	v_mad_u64_u32 v[5:6], s[10:11], s16, v1, 0
	s_lshl_b64 s[10:11], s[18:19], 3
	s_waitcnt lgkmcnt(0)
	s_add_u32 s12, s28, s10
	s_addc_u32 s13, s29, s11
	v_mad_u64_u32 v[6:7], s[10:11], s17, v1, v[6:7]
	s_lshl_b64 s[10:11], s[6:7], 3
	s_add_u32 s10, s12, s10
	v_lshlrev_b64 v[5:6], 3, v[5:6]
	s_addc_u32 s11, s13, s11
	v_mov_b32_e32 v7, s11
	v_add_co_u32_e32 v5, vcc, s10, v5
	v_addc_co_u32_e32 v6, vcc, v7, v6, vcc
	v_add_co_u32_e32 v5, vcc, v5, v2
	v_addc_co_u32_e32 v6, vcc, 0, v6, vcc
	flat_load_dwordx2 v[5:6], v[5:6]
	v_add_u32_e32 v7, 0x2000, v4
	s_waitcnt vmcnt(0) lgkmcnt(0)
	ds_write_b64 v7, v[5:6]
.LBB163_5:
	s_or_b64 exec, exec, s[8:9]
	s_cmpk_eq_i32 s25, 0x84
	s_cselect_b64 s[8:9], -1, 0
	v_cmp_eq_u32_e32 vcc, v1, v0
	s_and_b64 s[10:11], vcc, s[8:9]
	s_and_saveexec_b64 s[8:9], s[10:11]
; %bb.6:
	v_mov_b32_e32 v5, 0
	v_mov_b32_e32 v6, 0x3ff00000
	ds_write_b64 v4, v[5:6]
; %bb.7:
	s_or_b64 exec, exec, s[8:9]
	s_cmpk_lg_i32 s24, 0x79
	s_cbranch_scc0 .LBB163_9
; %bb.8:
	v_cmp_lt_u32_e32 vcc, v0, v1
	s_and_b64 s[8:9], vcc, exec
	s_cbranch_execz .LBB163_10
	s_branch .LBB163_11
.LBB163_9:
	s_mov_b64 s[8:9], 0
.LBB163_10:
	v_cmp_gt_u32_e32 vcc, v0, v1
	s_andn2_b64 s[8:9], s[8:9], exec
	s_and_b64 s[10:11], vcc, exec
	s_or_b64 s[8:9], s[8:9], s[10:11]
.LBB163_11:
	s_and_saveexec_b64 s[10:11], s[8:9]
; %bb.12:
	v_mov_b32_e32 v5, 0
	v_mov_b32_e32 v6, v5
	ds_write_b64 v4, v[5:6]
; %bb.13:
	s_or_b64 exec, exec, s[10:11]
	s_waitcnt lgkmcnt(0)
	s_barrier
	s_and_saveexec_b64 s[8:9], s[0:1]
	s_cbranch_execz .LBB163_15
; %bb.14:
	v_add_u32_e32 v17, 0x2000, v2
	ds_read2_b64 v[4:7], v17 offset1:32
	v_lshlrev_b32_e32 v0, 3, v3
	ds_read_b128 v[8:11], v0
	ds_read_b128 v[12:15], v0 offset:16
	s_load_dwordx2 s[0:1], s[4:5], 0x60
	s_waitcnt lgkmcnt(0)
	v_fma_f64 v[3:4], v[4:5], v[8:9], 0
	s_lshl_b64 s[0:1], s[0:1], 3
	v_fma_f64 v[7:8], v[6:7], v[10:11], v[3:4]
	ds_read2_b64 v[3:6], v17 offset0:64 offset1:96
	s_waitcnt lgkmcnt(0)
	v_fma_f64 v[3:4], v[3:4], v[12:13], v[7:8]
	v_fma_f64 v[15:16], v[5:6], v[14:15], v[3:4]
	ds_read2_b64 v[3:6], v17 offset0:128 offset1:160
	ds_read_b128 v[7:10], v0 offset:32
	ds_read_b128 v[11:14], v0 offset:48
	s_waitcnt lgkmcnt(1)
	v_fma_f64 v[3:4], v[3:4], v[7:8], v[15:16]
	v_fma_f64 v[7:8], v[5:6], v[9:10], v[3:4]
	ds_read2_b64 v[3:6], v17 offset0:192 offset1:224
	v_add_u32_e32 v17, 0x2800, v2
	s_waitcnt lgkmcnt(0)
	v_fma_f64 v[3:4], v[3:4], v[11:12], v[7:8]
	v_fma_f64 v[15:16], v[5:6], v[13:14], v[3:4]
	ds_read2_b64 v[3:6], v17 offset1:32
	ds_read_b128 v[7:10], v0 offset:64
	ds_read_b128 v[11:14], v0 offset:80
	s_waitcnt lgkmcnt(1)
	v_fma_f64 v[3:4], v[3:4], v[7:8], v[15:16]
	v_fma_f64 v[7:8], v[5:6], v[9:10], v[3:4]
	ds_read2_b64 v[3:6], v17 offset0:64 offset1:96
	s_waitcnt lgkmcnt(0)
	v_fma_f64 v[3:4], v[3:4], v[11:12], v[7:8]
	v_fma_f64 v[15:16], v[5:6], v[13:14], v[3:4]
	ds_read2_b64 v[3:6], v17 offset0:128 offset1:160
	ds_read_b128 v[7:10], v0 offset:96
	ds_read_b128 v[11:14], v0 offset:112
	s_waitcnt lgkmcnt(1)
	v_fma_f64 v[3:4], v[3:4], v[7:8], v[15:16]
	v_fma_f64 v[7:8], v[5:6], v[9:10], v[3:4]
	ds_read2_b64 v[3:6], v17 offset0:192 offset1:224
	v_add_u32_e32 v17, 0x3000, v2
	s_waitcnt lgkmcnt(0)
	v_fma_f64 v[3:4], v[3:4], v[11:12], v[7:8]
	v_fma_f64 v[15:16], v[5:6], v[13:14], v[3:4]
	ds_read2_b64 v[3:6], v17 offset1:32
	ds_read_b128 v[7:10], v0 offset:128
	ds_read_b128 v[11:14], v0 offset:144
	s_waitcnt lgkmcnt(1)
	v_fma_f64 v[3:4], v[3:4], v[7:8], v[15:16]
	;; [unrolled: 21-line block ×3, first 2 shown]
	v_fma_f64 v[7:8], v[5:6], v[9:10], v[3:4]
	ds_read2_b64 v[3:6], v17 offset0:64 offset1:96
	s_waitcnt lgkmcnt(0)
	v_fma_f64 v[3:4], v[3:4], v[11:12], v[7:8]
	v_fma_f64 v[15:16], v[5:6], v[13:14], v[3:4]
	ds_read2_b64 v[3:6], v17 offset0:128 offset1:160
	ds_read_b128 v[7:10], v0 offset:224
	ds_read_b128 v[11:14], v0 offset:240
	s_waitcnt lgkmcnt(1)
	v_fma_f64 v[3:4], v[3:4], v[7:8], v[15:16]
	v_fma_f64 v[7:8], v[5:6], v[9:10], v[3:4]
	ds_read2_b64 v[3:6], v17 offset0:192 offset1:224
	v_mad_u64_u32 v[9:10], s[4:5], s22, v1, 0
	v_mov_b32_e32 v0, v10
	v_mad_u64_u32 v[0:1], s[4:5], s23, v1, v[0:1]
	s_waitcnt lgkmcnt(0)
	v_fma_f64 v[3:4], v[3:4], v[11:12], v[7:8]
	s_add_u32 s4, s14, s0
	s_addc_u32 s5, s15, s1
	s_lshl_b64 s[0:1], s[6:7], 3
	v_mov_b32_e32 v10, v0
	s_add_u32 s0, s4, s0
	v_lshlrev_b64 v[0:1], 3, v[9:10]
	s_addc_u32 s1, s5, s1
	v_fma_f64 v[3:4], v[5:6], v[13:14], v[3:4]
	v_mov_b32_e32 v5, s1
	v_add_co_u32_e32 v0, vcc, s0, v0
	v_addc_co_u32_e32 v1, vcc, v5, v1, vcc
	v_add_co_u32_e32 v0, vcc, v0, v2
	v_mul_f64 v[3:4], s[2:3], v[3:4]
	v_addc_co_u32_e32 v1, vcc, 0, v1, vcc
	flat_store_dwordx2 v[0:1], v[3:4]
.LBB163_15:
	s_endpgm
	.section	.rodata,"a",@progbits
	.p2align	6, 0x0
	.amdhsa_kernel _ZL23rocblas_trmm_rNx_kernelILi32EddKPKdKPdEv13rocblas_fill_17rocblas_diagonal_iiT1_lPT2_llS9_llPT3_lli
		.amdhsa_group_segment_fixed_size 16384
		.amdhsa_private_segment_fixed_size 0
		.amdhsa_kernarg_size 108
		.amdhsa_user_sgpr_count 6
		.amdhsa_user_sgpr_private_segment_buffer 1
		.amdhsa_user_sgpr_dispatch_ptr 0
		.amdhsa_user_sgpr_queue_ptr 0
		.amdhsa_user_sgpr_kernarg_segment_ptr 1
		.amdhsa_user_sgpr_dispatch_id 0
		.amdhsa_user_sgpr_flat_scratch_init 0
		.amdhsa_user_sgpr_private_segment_size 0
		.amdhsa_uses_dynamic_stack 0
		.amdhsa_system_sgpr_private_segment_wavefront_offset 0
		.amdhsa_system_sgpr_workgroup_id_x 1
		.amdhsa_system_sgpr_workgroup_id_y 0
		.amdhsa_system_sgpr_workgroup_id_z 1
		.amdhsa_system_sgpr_workgroup_info 0
		.amdhsa_system_vgpr_workitem_id 1
		.amdhsa_next_free_vgpr 29
		.amdhsa_next_free_sgpr 61
		.amdhsa_reserve_vcc 1
		.amdhsa_reserve_flat_scratch 0
		.amdhsa_float_round_mode_32 0
		.amdhsa_float_round_mode_16_64 0
		.amdhsa_float_denorm_mode_32 3
		.amdhsa_float_denorm_mode_16_64 3
		.amdhsa_dx10_clamp 1
		.amdhsa_ieee_mode 1
		.amdhsa_fp16_overflow 0
		.amdhsa_exception_fp_ieee_invalid_op 0
		.amdhsa_exception_fp_denorm_src 0
		.amdhsa_exception_fp_ieee_div_zero 0
		.amdhsa_exception_fp_ieee_overflow 0
		.amdhsa_exception_fp_ieee_underflow 0
		.amdhsa_exception_fp_ieee_inexact 0
		.amdhsa_exception_int_div_zero 0
	.end_amdhsa_kernel
	.section	.text._ZL23rocblas_trmm_rNx_kernelILi32EddKPKdKPdEv13rocblas_fill_17rocblas_diagonal_iiT1_lPT2_llS9_llPT3_lli,"axG",@progbits,_ZL23rocblas_trmm_rNx_kernelILi32EddKPKdKPdEv13rocblas_fill_17rocblas_diagonal_iiT1_lPT2_llS9_llPT3_lli,comdat
.Lfunc_end163:
	.size	_ZL23rocblas_trmm_rNx_kernelILi32EddKPKdKPdEv13rocblas_fill_17rocblas_diagonal_iiT1_lPT2_llS9_llPT3_lli, .Lfunc_end163-_ZL23rocblas_trmm_rNx_kernelILi32EddKPKdKPdEv13rocblas_fill_17rocblas_diagonal_iiT1_lPT2_llS9_llPT3_lli
                                        ; -- End function
	.set _ZL23rocblas_trmm_rNx_kernelILi32EddKPKdKPdEv13rocblas_fill_17rocblas_diagonal_iiT1_lPT2_llS9_llPT3_lli.num_vgpr, 18
	.set _ZL23rocblas_trmm_rNx_kernelILi32EddKPKdKPdEv13rocblas_fill_17rocblas_diagonal_iiT1_lPT2_llS9_llPT3_lli.num_agpr, 0
	.set _ZL23rocblas_trmm_rNx_kernelILi32EddKPKdKPdEv13rocblas_fill_17rocblas_diagonal_iiT1_lPT2_llS9_llPT3_lli.numbered_sgpr, 32
	.set _ZL23rocblas_trmm_rNx_kernelILi32EddKPKdKPdEv13rocblas_fill_17rocblas_diagonal_iiT1_lPT2_llS9_llPT3_lli.num_named_barrier, 0
	.set _ZL23rocblas_trmm_rNx_kernelILi32EddKPKdKPdEv13rocblas_fill_17rocblas_diagonal_iiT1_lPT2_llS9_llPT3_lli.private_seg_size, 0
	.set _ZL23rocblas_trmm_rNx_kernelILi32EddKPKdKPdEv13rocblas_fill_17rocblas_diagonal_iiT1_lPT2_llS9_llPT3_lli.uses_vcc, 1
	.set _ZL23rocblas_trmm_rNx_kernelILi32EddKPKdKPdEv13rocblas_fill_17rocblas_diagonal_iiT1_lPT2_llS9_llPT3_lli.uses_flat_scratch, 0
	.set _ZL23rocblas_trmm_rNx_kernelILi32EddKPKdKPdEv13rocblas_fill_17rocblas_diagonal_iiT1_lPT2_llS9_llPT3_lli.has_dyn_sized_stack, 0
	.set _ZL23rocblas_trmm_rNx_kernelILi32EddKPKdKPdEv13rocblas_fill_17rocblas_diagonal_iiT1_lPT2_llS9_llPT3_lli.has_recursion, 0
	.set _ZL23rocblas_trmm_rNx_kernelILi32EddKPKdKPdEv13rocblas_fill_17rocblas_diagonal_iiT1_lPT2_llS9_llPT3_lli.has_indirect_call, 0
	.section	.AMDGPU.csdata,"",@progbits
; Kernel info:
; codeLenInByte = 1280
; TotalNumSgprs: 36
; NumVgprs: 18
; ScratchSize: 0
; MemoryBound: 0
; FloatMode: 240
; IeeeMode: 1
; LDSByteSize: 16384 bytes/workgroup (compile time only)
; SGPRBlocks: 8
; VGPRBlocks: 7
; NumSGPRsForWavesPerEU: 65
; NumVGPRsForWavesPerEU: 29
; Occupancy: 8
; WaveLimiterHint : 1
; COMPUTE_PGM_RSRC2:SCRATCH_EN: 0
; COMPUTE_PGM_RSRC2:USER_SGPR: 6
; COMPUTE_PGM_RSRC2:TRAP_HANDLER: 0
; COMPUTE_PGM_RSRC2:TGID_X_EN: 1
; COMPUTE_PGM_RSRC2:TGID_Y_EN: 0
; COMPUTE_PGM_RSRC2:TGID_Z_EN: 1
; COMPUTE_PGM_RSRC2:TIDIG_COMP_CNT: 1
	.section	.text._ZL23rocblas_trmm_rTx_kernelILi32ELb0EdPKdKS1_KPdEv13rocblas_fill_17rocblas_diagonal_iiT2_lPT3_llS9_llPT4_lli,"axG",@progbits,_ZL23rocblas_trmm_rTx_kernelILi32ELb0EdPKdKS1_KPdEv13rocblas_fill_17rocblas_diagonal_iiT2_lPT3_llS9_llPT4_lli,comdat
	.globl	_ZL23rocblas_trmm_rTx_kernelILi32ELb0EdPKdKS1_KPdEv13rocblas_fill_17rocblas_diagonal_iiT2_lPT3_llS9_llPT4_lli ; -- Begin function _ZL23rocblas_trmm_rTx_kernelILi32ELb0EdPKdKS1_KPdEv13rocblas_fill_17rocblas_diagonal_iiT2_lPT3_llS9_llPT4_lli
	.p2align	8
	.type	_ZL23rocblas_trmm_rTx_kernelILi32ELb0EdPKdKS1_KPdEv13rocblas_fill_17rocblas_diagonal_iiT2_lPT3_llS9_llPT4_lli,@function
_ZL23rocblas_trmm_rTx_kernelILi32ELb0EdPKdKS1_KPdEv13rocblas_fill_17rocblas_diagonal_iiT2_lPT3_llS9_llPT4_lli: ; @_ZL23rocblas_trmm_rTx_kernelILi32ELb0EdPKdKS1_KPdEv13rocblas_fill_17rocblas_diagonal_iiT2_lPT3_llS9_llPT4_lli
; %bb.0:
	s_load_dwordx16 s[8:23], s[4:5], 0x10
	s_waitcnt lgkmcnt(0)
	s_mul_i32 s0, s11, s7
	s_mul_hi_u32 s1, s10, s7
	s_add_i32 s1, s1, s0
	s_mul_i32 s0, s10, s7
	s_lshl_b64 s[0:1], s[0:1], 3
	s_add_u32 s0, s8, s0
	s_addc_u32 s1, s9, s1
	s_load_dwordx2 s[24:25], s[0:1], 0x0
	s_waitcnt lgkmcnt(0)
	v_cmp_eq_f64_e64 s[0:1], s[24:25], 0
	s_and_b64 vcc, exec, s[0:1]
	s_cbranch_vccnz .LBB164_15
; %bb.1:
	s_load_dwordx4 s[8:11], s[4:5], 0x0
	s_load_dwordx4 s[0:3], s[4:5], 0x50
	s_mov_b32 s28, s7
	s_mov_b32 s29, 0
	s_lshl_b64 s[30:31], s[28:29], 3
	s_add_u32 s18, s18, s30
	s_addc_u32 s19, s19, s31
	s_waitcnt lgkmcnt(0)
	s_add_u32 s0, s0, s30
	s_addc_u32 s1, s1, s31
	s_load_dwordx2 s[26:27], s[18:19], 0x0
	s_mov_b32 s28, s29
	s_load_dwordx2 s[18:19], s[0:1], 0x0
	v_lshlrev_b32_e32 v2, 5, v1
	v_mov_b32_e32 v4, s28
	v_cmp_gt_i32_e32 vcc, s11, v1
	v_cmp_gt_i32_e64 s[0:1], s11, v0
	v_add_lshl_u32 v3, v2, v0, 3
	v_mov_b32_e32 v5, s29
	s_and_b64 s[0:1], vcc, s[0:1]
	v_lshlrev_b32_e32 v2, 3, v0
	ds_write2st64_b64 v3, v[4:5], v[4:5] offset1:16
	s_and_saveexec_b64 s[28:29], s[0:1]
	s_cbranch_execz .LBB164_3
; %bb.2:
	v_mad_u64_u32 v[4:5], s[0:1], s14, v1, 0
	s_add_u32 s0, s12, s30
	s_addc_u32 s1, s13, s31
	s_load_dwordx2 s[0:1], s[0:1], 0x0
	v_mad_u64_u32 v[5:6], s[12:13], s15, v1, v[5:6]
	s_lshl_b64 s[12:13], s[16:17], 3
	s_waitcnt lgkmcnt(0)
	s_add_u32 s0, s0, s12
	v_lshlrev_b64 v[4:5], 3, v[4:5]
	s_addc_u32 s1, s1, s13
	v_mov_b32_e32 v6, s1
	v_add_co_u32_e64 v4, s[0:1], s0, v4
	v_addc_co_u32_e64 v5, s[0:1], v6, v5, s[0:1]
	v_add_co_u32_e64 v4, s[0:1], v4, v2
	v_addc_co_u32_e64 v5, s[0:1], 0, v5, s[0:1]
	flat_load_dwordx2 v[4:5], v[4:5]
	s_waitcnt vmcnt(0) lgkmcnt(0)
	ds_write_b64 v3, v[4:5]
.LBB164_3:
	s_or_b64 exec, exec, s[28:29]
	s_add_i32 s0, s10, -1
	s_ashr_i32 s1, s0, 31
	s_lshr_b32 s1, s1, 27
	s_add_i32 s0, s0, s1
	s_ashr_i32 s1, s0, 5
	s_andn2_b32 s0, s0, 31
	s_sub_i32 s0, s10, s0
	s_cmp_ge_i32 s6, s1
	s_cselect_b32 s0, s0, 32
	s_lshl_b32 s6, s6, 5
	v_cmp_gt_i32_e64 s[0:1], s0, v0
	s_ashr_i32 s7, s6, 31
	s_and_b64 s[0:1], vcc, s[0:1]
	s_and_saveexec_b64 s[10:11], s[0:1]
	s_cbranch_execz .LBB164_5
; %bb.4:
	v_mad_u64_u32 v[4:5], s[12:13], s20, v1, 0
	s_lshl_b64 s[12:13], s[22:23], 3
	s_waitcnt lgkmcnt(0)
	s_add_u32 s14, s26, s12
	s_addc_u32 s15, s27, s13
	v_mad_u64_u32 v[5:6], s[12:13], s21, v1, v[5:6]
	s_lshl_b64 s[12:13], s[6:7], 3
	s_add_u32 s12, s14, s12
	v_lshlrev_b64 v[4:5], 3, v[4:5]
	s_addc_u32 s13, s15, s13
	v_mov_b32_e32 v6, s13
	v_add_co_u32_e32 v4, vcc, s12, v4
	v_addc_co_u32_e32 v5, vcc, v6, v5, vcc
	v_add_co_u32_e32 v4, vcc, v4, v2
	v_addc_co_u32_e32 v5, vcc, 0, v5, vcc
	flat_load_dwordx2 v[4:5], v[4:5]
	v_add_u32_e32 v6, 0x2000, v3
	s_waitcnt vmcnt(0) lgkmcnt(0)
	ds_write_b64 v6, v[4:5]
.LBB164_5:
	s_or_b64 exec, exec, s[10:11]
	s_cmpk_eq_i32 s9, 0x84
	s_cselect_b64 s[10:11], -1, 0
	v_cmp_eq_u32_e32 vcc, v1, v0
	s_and_b64 s[12:13], vcc, s[10:11]
	s_and_saveexec_b64 s[10:11], s[12:13]
; %bb.6:
	v_mov_b32_e32 v4, 0
	v_mov_b32_e32 v5, 0x3ff00000
	ds_write_b64 v3, v[4:5]
; %bb.7:
	s_or_b64 exec, exec, s[10:11]
	s_cmpk_lg_i32 s8, 0x79
	s_cbranch_scc0 .LBB164_9
; %bb.8:
	v_cmp_lt_u32_e32 vcc, v0, v1
	s_and_b64 s[8:9], vcc, exec
	s_cbranch_execz .LBB164_10
	s_branch .LBB164_11
.LBB164_9:
	s_mov_b64 s[8:9], 0
.LBB164_10:
	v_cmp_gt_u32_e32 vcc, v0, v1
	s_andn2_b64 s[8:9], s[8:9], exec
	s_and_b64 s[10:11], vcc, exec
	s_or_b64 s[8:9], s[8:9], s[10:11]
.LBB164_11:
	s_and_saveexec_b64 s[10:11], s[8:9]
; %bb.12:
	v_mov_b32_e32 v4, 0
	v_mov_b32_e32 v5, v4
	ds_write_b64 v3, v[4:5]
; %bb.13:
	s_or_b64 exec, exec, s[10:11]
	s_waitcnt lgkmcnt(0)
	s_barrier
	s_and_saveexec_b64 s[8:9], s[0:1]
	s_cbranch_execz .LBB164_15
; %bb.14:
	v_add_u32_e32 v0, 0x2000, v2
	v_lshlrev_b32_e32 v13, 3, v1
	ds_read2_b64 v[3:6], v0 offset1:32
	ds_read2_b64 v[7:10], v13 offset1:32
	v_add_u32_e32 v14, 0x800, v13
	s_load_dwordx2 s[0:1], s[4:5], 0x60
	s_waitcnt lgkmcnt(0)
	v_fma_f64 v[3:4], v[3:4], v[7:8], 0
	s_lshl_b64 s[0:1], s[0:1], 3
	v_fma_f64 v[11:12], v[5:6], v[9:10], v[3:4]
	ds_read2_b64 v[3:6], v0 offset0:64 offset1:96
	ds_read2_b64 v[7:10], v13 offset0:64 offset1:96
	s_waitcnt lgkmcnt(0)
	v_fma_f64 v[3:4], v[3:4], v[7:8], v[11:12]
	v_fma_f64 v[11:12], v[5:6], v[9:10], v[3:4]
	ds_read2_b64 v[3:6], v0 offset0:128 offset1:160
	ds_read2_b64 v[7:10], v13 offset0:128 offset1:160
	s_waitcnt lgkmcnt(0)
	v_fma_f64 v[3:4], v[3:4], v[7:8], v[11:12]
	v_fma_f64 v[11:12], v[5:6], v[9:10], v[3:4]
	ds_read2_b64 v[3:6], v0 offset0:192 offset1:224
	ds_read2_b64 v[7:10], v13 offset0:192 offset1:224
	v_add_u32_e32 v0, 0x2800, v2
	s_waitcnt lgkmcnt(0)
	v_fma_f64 v[3:4], v[3:4], v[7:8], v[11:12]
	v_fma_f64 v[11:12], v[5:6], v[9:10], v[3:4]
	ds_read2_b64 v[3:6], v0 offset1:32
	ds_read2_b64 v[7:10], v14 offset1:32
	s_waitcnt lgkmcnt(0)
	v_fma_f64 v[3:4], v[3:4], v[7:8], v[11:12]
	v_fma_f64 v[11:12], v[5:6], v[9:10], v[3:4]
	ds_read2_b64 v[3:6], v0 offset0:64 offset1:96
	ds_read2_b64 v[7:10], v14 offset0:64 offset1:96
	s_waitcnt lgkmcnt(0)
	v_fma_f64 v[3:4], v[3:4], v[7:8], v[11:12]
	v_fma_f64 v[11:12], v[5:6], v[9:10], v[3:4]
	ds_read2_b64 v[3:6], v0 offset0:128 offset1:160
	ds_read2_b64 v[7:10], v14 offset0:128 offset1:160
	;; [unrolled: 5-line block ×3, first 2 shown]
	v_add_u32_e32 v0, 0x3000, v2
	v_add_u32_e32 v14, 0x1000, v13
	v_add_u32_e32 v13, 0x1800, v13
	s_waitcnt lgkmcnt(0)
	v_fma_f64 v[3:4], v[3:4], v[7:8], v[11:12]
	v_fma_f64 v[11:12], v[5:6], v[9:10], v[3:4]
	ds_read2_b64 v[3:6], v0 offset1:32
	ds_read2_b64 v[7:10], v14 offset1:32
	s_waitcnt lgkmcnt(0)
	v_fma_f64 v[3:4], v[3:4], v[7:8], v[11:12]
	v_fma_f64 v[11:12], v[5:6], v[9:10], v[3:4]
	ds_read2_b64 v[3:6], v0 offset0:64 offset1:96
	ds_read2_b64 v[7:10], v14 offset0:64 offset1:96
	s_waitcnt lgkmcnt(0)
	v_fma_f64 v[3:4], v[3:4], v[7:8], v[11:12]
	v_fma_f64 v[11:12], v[5:6], v[9:10], v[3:4]
	ds_read2_b64 v[3:6], v0 offset0:128 offset1:160
	ds_read2_b64 v[7:10], v14 offset0:128 offset1:160
	s_waitcnt lgkmcnt(0)
	v_fma_f64 v[3:4], v[3:4], v[7:8], v[11:12]
	v_fma_f64 v[11:12], v[5:6], v[9:10], v[3:4]
	ds_read2_b64 v[3:6], v0 offset0:192 offset1:224
	ds_read2_b64 v[7:10], v14 offset0:192 offset1:224
	v_add_u32_e32 v0, 0x3800, v2
	s_waitcnt lgkmcnt(0)
	v_fma_f64 v[3:4], v[3:4], v[7:8], v[11:12]
	v_fma_f64 v[11:12], v[5:6], v[9:10], v[3:4]
	ds_read2_b64 v[3:6], v0 offset1:32
	ds_read2_b64 v[7:10], v13 offset1:32
	s_waitcnt lgkmcnt(0)
	v_fma_f64 v[3:4], v[3:4], v[7:8], v[11:12]
	v_fma_f64 v[11:12], v[5:6], v[9:10], v[3:4]
	ds_read2_b64 v[3:6], v0 offset0:64 offset1:96
	ds_read2_b64 v[7:10], v13 offset0:64 offset1:96
	s_waitcnt lgkmcnt(0)
	v_fma_f64 v[3:4], v[3:4], v[7:8], v[11:12]
	v_fma_f64 v[11:12], v[5:6], v[9:10], v[3:4]
	ds_read2_b64 v[3:6], v0 offset0:128 offset1:160
	ds_read2_b64 v[7:10], v13 offset0:128 offset1:160
	;; [unrolled: 5-line block ×3, first 2 shown]
	v_mad_u64_u32 v[13:14], s[4:5], s2, v1, 0
	v_mov_b32_e32 v0, v14
	v_mad_u64_u32 v[0:1], s[2:3], s3, v1, v[0:1]
	s_waitcnt lgkmcnt(0)
	v_fma_f64 v[3:4], v[3:4], v[7:8], v[11:12]
	s_add_u32 s2, s18, s0
	s_addc_u32 s3, s19, s1
	s_lshl_b64 s[0:1], s[6:7], 3
	v_mov_b32_e32 v14, v0
	s_add_u32 s0, s2, s0
	v_lshlrev_b64 v[0:1], 3, v[13:14]
	s_addc_u32 s1, s3, s1
	v_fma_f64 v[3:4], v[5:6], v[9:10], v[3:4]
	v_mov_b32_e32 v5, s1
	v_add_co_u32_e32 v0, vcc, s0, v0
	v_addc_co_u32_e32 v1, vcc, v5, v1, vcc
	v_add_co_u32_e32 v0, vcc, v0, v2
	v_mul_f64 v[3:4], s[24:25], v[3:4]
	v_addc_co_u32_e32 v1, vcc, 0, v1, vcc
	flat_store_dwordx2 v[0:1], v[3:4]
.LBB164_15:
	s_endpgm
	.section	.rodata,"a",@progbits
	.p2align	6, 0x0
	.amdhsa_kernel _ZL23rocblas_trmm_rTx_kernelILi32ELb0EdPKdKS1_KPdEv13rocblas_fill_17rocblas_diagonal_iiT2_lPT3_llS9_llPT4_lli
		.amdhsa_group_segment_fixed_size 16384
		.amdhsa_private_segment_fixed_size 0
		.amdhsa_kernarg_size 108
		.amdhsa_user_sgpr_count 6
		.amdhsa_user_sgpr_private_segment_buffer 1
		.amdhsa_user_sgpr_dispatch_ptr 0
		.amdhsa_user_sgpr_queue_ptr 0
		.amdhsa_user_sgpr_kernarg_segment_ptr 1
		.amdhsa_user_sgpr_dispatch_id 0
		.amdhsa_user_sgpr_flat_scratch_init 0
		.amdhsa_user_sgpr_private_segment_size 0
		.amdhsa_uses_dynamic_stack 0
		.amdhsa_system_sgpr_private_segment_wavefront_offset 0
		.amdhsa_system_sgpr_workgroup_id_x 1
		.amdhsa_system_sgpr_workgroup_id_y 0
		.amdhsa_system_sgpr_workgroup_id_z 1
		.amdhsa_system_sgpr_workgroup_info 0
		.amdhsa_system_vgpr_workitem_id 1
		.amdhsa_next_free_vgpr 29
		.amdhsa_next_free_sgpr 61
		.amdhsa_reserve_vcc 1
		.amdhsa_reserve_flat_scratch 0
		.amdhsa_float_round_mode_32 0
		.amdhsa_float_round_mode_16_64 0
		.amdhsa_float_denorm_mode_32 3
		.amdhsa_float_denorm_mode_16_64 3
		.amdhsa_dx10_clamp 1
		.amdhsa_ieee_mode 1
		.amdhsa_fp16_overflow 0
		.amdhsa_exception_fp_ieee_invalid_op 0
		.amdhsa_exception_fp_denorm_src 0
		.amdhsa_exception_fp_ieee_div_zero 0
		.amdhsa_exception_fp_ieee_overflow 0
		.amdhsa_exception_fp_ieee_underflow 0
		.amdhsa_exception_fp_ieee_inexact 0
		.amdhsa_exception_int_div_zero 0
	.end_amdhsa_kernel
	.section	.text._ZL23rocblas_trmm_rTx_kernelILi32ELb0EdPKdKS1_KPdEv13rocblas_fill_17rocblas_diagonal_iiT2_lPT3_llS9_llPT4_lli,"axG",@progbits,_ZL23rocblas_trmm_rTx_kernelILi32ELb0EdPKdKS1_KPdEv13rocblas_fill_17rocblas_diagonal_iiT2_lPT3_llS9_llPT4_lli,comdat
.Lfunc_end164:
	.size	_ZL23rocblas_trmm_rTx_kernelILi32ELb0EdPKdKS1_KPdEv13rocblas_fill_17rocblas_diagonal_iiT2_lPT3_llS9_llPT4_lli, .Lfunc_end164-_ZL23rocblas_trmm_rTx_kernelILi32ELb0EdPKdKS1_KPdEv13rocblas_fill_17rocblas_diagonal_iiT2_lPT3_llS9_llPT4_lli
                                        ; -- End function
	.set _ZL23rocblas_trmm_rTx_kernelILi32ELb0EdPKdKS1_KPdEv13rocblas_fill_17rocblas_diagonal_iiT2_lPT3_llS9_llPT4_lli.num_vgpr, 15
	.set _ZL23rocblas_trmm_rTx_kernelILi32ELb0EdPKdKS1_KPdEv13rocblas_fill_17rocblas_diagonal_iiT2_lPT3_llS9_llPT4_lli.num_agpr, 0
	.set _ZL23rocblas_trmm_rTx_kernelILi32ELb0EdPKdKS1_KPdEv13rocblas_fill_17rocblas_diagonal_iiT2_lPT3_llS9_llPT4_lli.numbered_sgpr, 32
	.set _ZL23rocblas_trmm_rTx_kernelILi32ELb0EdPKdKS1_KPdEv13rocblas_fill_17rocblas_diagonal_iiT2_lPT3_llS9_llPT4_lli.num_named_barrier, 0
	.set _ZL23rocblas_trmm_rTx_kernelILi32ELb0EdPKdKS1_KPdEv13rocblas_fill_17rocblas_diagonal_iiT2_lPT3_llS9_llPT4_lli.private_seg_size, 0
	.set _ZL23rocblas_trmm_rTx_kernelILi32ELb0EdPKdKS1_KPdEv13rocblas_fill_17rocblas_diagonal_iiT2_lPT3_llS9_llPT4_lli.uses_vcc, 1
	.set _ZL23rocblas_trmm_rTx_kernelILi32ELb0EdPKdKS1_KPdEv13rocblas_fill_17rocblas_diagonal_iiT2_lPT3_llS9_llPT4_lli.uses_flat_scratch, 0
	.set _ZL23rocblas_trmm_rTx_kernelILi32ELb0EdPKdKS1_KPdEv13rocblas_fill_17rocblas_diagonal_iiT2_lPT3_llS9_llPT4_lli.has_dyn_sized_stack, 0
	.set _ZL23rocblas_trmm_rTx_kernelILi32ELb0EdPKdKS1_KPdEv13rocblas_fill_17rocblas_diagonal_iiT2_lPT3_llS9_llPT4_lli.has_recursion, 0
	.set _ZL23rocblas_trmm_rTx_kernelILi32ELb0EdPKdKS1_KPdEv13rocblas_fill_17rocblas_diagonal_iiT2_lPT3_llS9_llPT4_lli.has_indirect_call, 0
	.section	.AMDGPU.csdata,"",@progbits
; Kernel info:
; codeLenInByte = 1344
; TotalNumSgprs: 36
; NumVgprs: 15
; ScratchSize: 0
; MemoryBound: 1
; FloatMode: 240
; IeeeMode: 1
; LDSByteSize: 16384 bytes/workgroup (compile time only)
; SGPRBlocks: 8
; VGPRBlocks: 7
; NumSGPRsForWavesPerEU: 65
; NumVGPRsForWavesPerEU: 29
; Occupancy: 8
; WaveLimiterHint : 1
; COMPUTE_PGM_RSRC2:SCRATCH_EN: 0
; COMPUTE_PGM_RSRC2:USER_SGPR: 6
; COMPUTE_PGM_RSRC2:TRAP_HANDLER: 0
; COMPUTE_PGM_RSRC2:TGID_X_EN: 1
; COMPUTE_PGM_RSRC2:TGID_Y_EN: 0
; COMPUTE_PGM_RSRC2:TGID_Z_EN: 1
; COMPUTE_PGM_RSRC2:TIDIG_COMP_CNT: 1
	.section	.text._ZL23rocblas_trmm_rTx_kernelILi32ELb0EddKPKdKPdEv13rocblas_fill_17rocblas_diagonal_iiT2_lPT3_llS9_llPT4_lli,"axG",@progbits,_ZL23rocblas_trmm_rTx_kernelILi32ELb0EddKPKdKPdEv13rocblas_fill_17rocblas_diagonal_iiT2_lPT3_llS9_llPT4_lli,comdat
	.globl	_ZL23rocblas_trmm_rTx_kernelILi32ELb0EddKPKdKPdEv13rocblas_fill_17rocblas_diagonal_iiT2_lPT3_llS9_llPT4_lli ; -- Begin function _ZL23rocblas_trmm_rTx_kernelILi32ELb0EddKPKdKPdEv13rocblas_fill_17rocblas_diagonal_iiT2_lPT3_llS9_llPT4_lli
	.p2align	8
	.type	_ZL23rocblas_trmm_rTx_kernelILi32ELb0EddKPKdKPdEv13rocblas_fill_17rocblas_diagonal_iiT2_lPT3_llS9_llPT4_lli,@function
_ZL23rocblas_trmm_rTx_kernelILi32ELb0EddKPKdKPdEv13rocblas_fill_17rocblas_diagonal_iiT2_lPT3_llS9_llPT4_lli: ; @_ZL23rocblas_trmm_rTx_kernelILi32ELb0EddKPKdKPdEv13rocblas_fill_17rocblas_diagonal_iiT2_lPT3_llS9_llPT4_lli
; %bb.0:
	s_load_dwordx2 s[2:3], s[4:5], 0x10
	s_waitcnt lgkmcnt(0)
	v_cmp_eq_f64_e64 s[8:9], s[2:3], 0
	s_and_b64 vcc, exec, s[8:9]
	s_cbranch_vccnz .LBB165_15
; %bb.1:
	s_load_dwordx16 s[8:23], s[4:5], 0x20
	s_load_dwordx4 s[24:27], s[4:5], 0x0
	s_mov_b32 s0, s7
	s_mov_b32 s1, 0
	s_lshl_b64 s[30:31], s[0:1], 3
	s_waitcnt lgkmcnt(0)
	s_add_u32 s14, s14, s30
	s_addc_u32 s15, s15, s31
	s_load_dwordx2 s[28:29], s[14:15], 0x0
	s_add_u32 s14, s20, s30
	s_addc_u32 s15, s21, s31
	s_load_dwordx2 s[14:15], s[14:15], 0x0
	s_mov_b32 s0, s1
	v_mov_b32_e32 v5, s1
	v_lshlrev_b32_e32 v2, 5, v1
	v_mov_b32_e32 v4, s0
	v_cmp_gt_i32_e32 vcc, s27, v1
	v_cmp_gt_i32_e64 s[0:1], s27, v0
	v_add_lshl_u32 v3, v2, v0, 3
	s_and_b64 s[0:1], vcc, s[0:1]
	v_lshlrev_b32_e32 v2, 3, v0
	ds_write2st64_b64 v3, v[4:5], v[4:5] offset1:16
	s_and_saveexec_b64 s[20:21], s[0:1]
	s_cbranch_execz .LBB165_3
; %bb.2:
	v_mad_u64_u32 v[4:5], s[0:1], s10, v1, 0
	s_add_u32 s0, s8, s30
	s_addc_u32 s1, s9, s31
	s_load_dwordx2 s[0:1], s[0:1], 0x0
	v_mad_u64_u32 v[5:6], s[8:9], s11, v1, v[5:6]
	s_lshl_b64 s[8:9], s[12:13], 3
	s_waitcnt lgkmcnt(0)
	s_add_u32 s0, s0, s8
	v_lshlrev_b64 v[4:5], 3, v[4:5]
	s_addc_u32 s1, s1, s9
	v_mov_b32_e32 v6, s1
	v_add_co_u32_e64 v4, s[0:1], s0, v4
	v_addc_co_u32_e64 v5, s[0:1], v6, v5, s[0:1]
	v_add_co_u32_e64 v4, s[0:1], v4, v2
	v_addc_co_u32_e64 v5, s[0:1], 0, v5, s[0:1]
	flat_load_dwordx2 v[4:5], v[4:5]
	s_waitcnt vmcnt(0) lgkmcnt(0)
	ds_write_b64 v3, v[4:5]
.LBB165_3:
	s_or_b64 exec, exec, s[20:21]
	s_add_i32 s0, s26, -1
	s_ashr_i32 s1, s0, 31
	s_lshr_b32 s1, s1, 27
	s_add_i32 s0, s0, s1
	s_ashr_i32 s1, s0, 5
	s_andn2_b32 s0, s0, 31
	s_sub_i32 s0, s26, s0
	s_cmp_ge_i32 s6, s1
	s_cselect_b32 s0, s0, 32
	s_lshl_b32 s6, s6, 5
	v_cmp_gt_i32_e64 s[0:1], s0, v0
	s_ashr_i32 s7, s6, 31
	s_and_b64 s[0:1], vcc, s[0:1]
	s_and_saveexec_b64 s[8:9], s[0:1]
	s_cbranch_execz .LBB165_5
; %bb.4:
	v_mad_u64_u32 v[4:5], s[10:11], s16, v1, 0
	s_lshl_b64 s[10:11], s[18:19], 3
	s_waitcnt lgkmcnt(0)
	s_add_u32 s12, s28, s10
	s_addc_u32 s13, s29, s11
	v_mad_u64_u32 v[5:6], s[10:11], s17, v1, v[5:6]
	s_lshl_b64 s[10:11], s[6:7], 3
	s_add_u32 s10, s12, s10
	v_lshlrev_b64 v[4:5], 3, v[4:5]
	s_addc_u32 s11, s13, s11
	v_mov_b32_e32 v6, s11
	v_add_co_u32_e32 v4, vcc, s10, v4
	v_addc_co_u32_e32 v5, vcc, v6, v5, vcc
	v_add_co_u32_e32 v4, vcc, v4, v2
	v_addc_co_u32_e32 v5, vcc, 0, v5, vcc
	flat_load_dwordx2 v[4:5], v[4:5]
	v_add_u32_e32 v6, 0x2000, v3
	s_waitcnt vmcnt(0) lgkmcnt(0)
	ds_write_b64 v6, v[4:5]
.LBB165_5:
	s_or_b64 exec, exec, s[8:9]
	s_cmpk_eq_i32 s25, 0x84
	s_cselect_b64 s[8:9], -1, 0
	v_cmp_eq_u32_e32 vcc, v1, v0
	s_and_b64 s[10:11], vcc, s[8:9]
	s_and_saveexec_b64 s[8:9], s[10:11]
; %bb.6:
	v_mov_b32_e32 v4, 0
	v_mov_b32_e32 v5, 0x3ff00000
	ds_write_b64 v3, v[4:5]
; %bb.7:
	s_or_b64 exec, exec, s[8:9]
	s_cmpk_lg_i32 s24, 0x79
	s_cbranch_scc0 .LBB165_9
; %bb.8:
	v_cmp_lt_u32_e32 vcc, v0, v1
	s_and_b64 s[8:9], vcc, exec
	s_cbranch_execz .LBB165_10
	s_branch .LBB165_11
.LBB165_9:
	s_mov_b64 s[8:9], 0
.LBB165_10:
	v_cmp_gt_u32_e32 vcc, v0, v1
	s_andn2_b64 s[8:9], s[8:9], exec
	s_and_b64 s[10:11], vcc, exec
	s_or_b64 s[8:9], s[8:9], s[10:11]
.LBB165_11:
	s_and_saveexec_b64 s[10:11], s[8:9]
; %bb.12:
	v_mov_b32_e32 v4, 0
	v_mov_b32_e32 v5, v4
	ds_write_b64 v3, v[4:5]
; %bb.13:
	s_or_b64 exec, exec, s[10:11]
	s_waitcnt lgkmcnt(0)
	s_barrier
	s_and_saveexec_b64 s[8:9], s[0:1]
	s_cbranch_execz .LBB165_15
; %bb.14:
	v_add_u32_e32 v0, 0x2000, v2
	v_lshlrev_b32_e32 v13, 3, v1
	ds_read2_b64 v[3:6], v0 offset1:32
	ds_read2_b64 v[7:10], v13 offset1:32
	v_add_u32_e32 v14, 0x800, v13
	s_load_dwordx2 s[0:1], s[4:5], 0x60
	s_waitcnt lgkmcnt(0)
	v_fma_f64 v[3:4], v[3:4], v[7:8], 0
	s_lshl_b64 s[0:1], s[0:1], 3
	v_fma_f64 v[11:12], v[5:6], v[9:10], v[3:4]
	ds_read2_b64 v[3:6], v0 offset0:64 offset1:96
	ds_read2_b64 v[7:10], v13 offset0:64 offset1:96
	s_waitcnt lgkmcnt(0)
	v_fma_f64 v[3:4], v[3:4], v[7:8], v[11:12]
	v_fma_f64 v[11:12], v[5:6], v[9:10], v[3:4]
	ds_read2_b64 v[3:6], v0 offset0:128 offset1:160
	ds_read2_b64 v[7:10], v13 offset0:128 offset1:160
	s_waitcnt lgkmcnt(0)
	v_fma_f64 v[3:4], v[3:4], v[7:8], v[11:12]
	v_fma_f64 v[11:12], v[5:6], v[9:10], v[3:4]
	ds_read2_b64 v[3:6], v0 offset0:192 offset1:224
	ds_read2_b64 v[7:10], v13 offset0:192 offset1:224
	v_add_u32_e32 v0, 0x2800, v2
	s_waitcnt lgkmcnt(0)
	v_fma_f64 v[3:4], v[3:4], v[7:8], v[11:12]
	v_fma_f64 v[11:12], v[5:6], v[9:10], v[3:4]
	ds_read2_b64 v[3:6], v0 offset1:32
	ds_read2_b64 v[7:10], v14 offset1:32
	s_waitcnt lgkmcnt(0)
	v_fma_f64 v[3:4], v[3:4], v[7:8], v[11:12]
	v_fma_f64 v[11:12], v[5:6], v[9:10], v[3:4]
	ds_read2_b64 v[3:6], v0 offset0:64 offset1:96
	ds_read2_b64 v[7:10], v14 offset0:64 offset1:96
	s_waitcnt lgkmcnt(0)
	v_fma_f64 v[3:4], v[3:4], v[7:8], v[11:12]
	v_fma_f64 v[11:12], v[5:6], v[9:10], v[3:4]
	ds_read2_b64 v[3:6], v0 offset0:128 offset1:160
	ds_read2_b64 v[7:10], v14 offset0:128 offset1:160
	;; [unrolled: 5-line block ×3, first 2 shown]
	v_add_u32_e32 v0, 0x3000, v2
	v_add_u32_e32 v14, 0x1000, v13
	v_add_u32_e32 v13, 0x1800, v13
	s_waitcnt lgkmcnt(0)
	v_fma_f64 v[3:4], v[3:4], v[7:8], v[11:12]
	v_fma_f64 v[11:12], v[5:6], v[9:10], v[3:4]
	ds_read2_b64 v[3:6], v0 offset1:32
	ds_read2_b64 v[7:10], v14 offset1:32
	s_waitcnt lgkmcnt(0)
	v_fma_f64 v[3:4], v[3:4], v[7:8], v[11:12]
	v_fma_f64 v[11:12], v[5:6], v[9:10], v[3:4]
	ds_read2_b64 v[3:6], v0 offset0:64 offset1:96
	ds_read2_b64 v[7:10], v14 offset0:64 offset1:96
	s_waitcnt lgkmcnt(0)
	v_fma_f64 v[3:4], v[3:4], v[7:8], v[11:12]
	v_fma_f64 v[11:12], v[5:6], v[9:10], v[3:4]
	ds_read2_b64 v[3:6], v0 offset0:128 offset1:160
	ds_read2_b64 v[7:10], v14 offset0:128 offset1:160
	;; [unrolled: 5-line block ×3, first 2 shown]
	v_add_u32_e32 v0, 0x3800, v2
	s_waitcnt lgkmcnt(0)
	v_fma_f64 v[3:4], v[3:4], v[7:8], v[11:12]
	v_fma_f64 v[11:12], v[5:6], v[9:10], v[3:4]
	ds_read2_b64 v[3:6], v0 offset1:32
	ds_read2_b64 v[7:10], v13 offset1:32
	s_waitcnt lgkmcnt(0)
	v_fma_f64 v[3:4], v[3:4], v[7:8], v[11:12]
	v_fma_f64 v[11:12], v[5:6], v[9:10], v[3:4]
	ds_read2_b64 v[3:6], v0 offset0:64 offset1:96
	ds_read2_b64 v[7:10], v13 offset0:64 offset1:96
	s_waitcnt lgkmcnt(0)
	v_fma_f64 v[3:4], v[3:4], v[7:8], v[11:12]
	v_fma_f64 v[11:12], v[5:6], v[9:10], v[3:4]
	ds_read2_b64 v[3:6], v0 offset0:128 offset1:160
	ds_read2_b64 v[7:10], v13 offset0:128 offset1:160
	;; [unrolled: 5-line block ×3, first 2 shown]
	v_mad_u64_u32 v[13:14], s[4:5], s22, v1, 0
	v_mov_b32_e32 v0, v14
	v_mad_u64_u32 v[0:1], s[4:5], s23, v1, v[0:1]
	s_waitcnt lgkmcnt(0)
	v_fma_f64 v[3:4], v[3:4], v[7:8], v[11:12]
	s_add_u32 s4, s14, s0
	s_addc_u32 s5, s15, s1
	s_lshl_b64 s[0:1], s[6:7], 3
	v_mov_b32_e32 v14, v0
	s_add_u32 s0, s4, s0
	v_lshlrev_b64 v[0:1], 3, v[13:14]
	s_addc_u32 s1, s5, s1
	v_fma_f64 v[3:4], v[5:6], v[9:10], v[3:4]
	v_mov_b32_e32 v5, s1
	v_add_co_u32_e32 v0, vcc, s0, v0
	v_addc_co_u32_e32 v1, vcc, v5, v1, vcc
	v_add_co_u32_e32 v0, vcc, v0, v2
	v_mul_f64 v[3:4], s[2:3], v[3:4]
	v_addc_co_u32_e32 v1, vcc, 0, v1, vcc
	flat_store_dwordx2 v[0:1], v[3:4]
.LBB165_15:
	s_endpgm
	.section	.rodata,"a",@progbits
	.p2align	6, 0x0
	.amdhsa_kernel _ZL23rocblas_trmm_rTx_kernelILi32ELb0EddKPKdKPdEv13rocblas_fill_17rocblas_diagonal_iiT2_lPT3_llS9_llPT4_lli
		.amdhsa_group_segment_fixed_size 16384
		.amdhsa_private_segment_fixed_size 0
		.amdhsa_kernarg_size 108
		.amdhsa_user_sgpr_count 6
		.amdhsa_user_sgpr_private_segment_buffer 1
		.amdhsa_user_sgpr_dispatch_ptr 0
		.amdhsa_user_sgpr_queue_ptr 0
		.amdhsa_user_sgpr_kernarg_segment_ptr 1
		.amdhsa_user_sgpr_dispatch_id 0
		.amdhsa_user_sgpr_flat_scratch_init 0
		.amdhsa_user_sgpr_private_segment_size 0
		.amdhsa_uses_dynamic_stack 0
		.amdhsa_system_sgpr_private_segment_wavefront_offset 0
		.amdhsa_system_sgpr_workgroup_id_x 1
		.amdhsa_system_sgpr_workgroup_id_y 0
		.amdhsa_system_sgpr_workgroup_id_z 1
		.amdhsa_system_sgpr_workgroup_info 0
		.amdhsa_system_vgpr_workitem_id 1
		.amdhsa_next_free_vgpr 29
		.amdhsa_next_free_sgpr 61
		.amdhsa_reserve_vcc 1
		.amdhsa_reserve_flat_scratch 0
		.amdhsa_float_round_mode_32 0
		.amdhsa_float_round_mode_16_64 0
		.amdhsa_float_denorm_mode_32 3
		.amdhsa_float_denorm_mode_16_64 3
		.amdhsa_dx10_clamp 1
		.amdhsa_ieee_mode 1
		.amdhsa_fp16_overflow 0
		.amdhsa_exception_fp_ieee_invalid_op 0
		.amdhsa_exception_fp_denorm_src 0
		.amdhsa_exception_fp_ieee_div_zero 0
		.amdhsa_exception_fp_ieee_overflow 0
		.amdhsa_exception_fp_ieee_underflow 0
		.amdhsa_exception_fp_ieee_inexact 0
		.amdhsa_exception_int_div_zero 0
	.end_amdhsa_kernel
	.section	.text._ZL23rocblas_trmm_rTx_kernelILi32ELb0EddKPKdKPdEv13rocblas_fill_17rocblas_diagonal_iiT2_lPT3_llS9_llPT4_lli,"axG",@progbits,_ZL23rocblas_trmm_rTx_kernelILi32ELb0EddKPKdKPdEv13rocblas_fill_17rocblas_diagonal_iiT2_lPT3_llS9_llPT4_lli,comdat
.Lfunc_end165:
	.size	_ZL23rocblas_trmm_rTx_kernelILi32ELb0EddKPKdKPdEv13rocblas_fill_17rocblas_diagonal_iiT2_lPT3_llS9_llPT4_lli, .Lfunc_end165-_ZL23rocblas_trmm_rTx_kernelILi32ELb0EddKPKdKPdEv13rocblas_fill_17rocblas_diagonal_iiT2_lPT3_llS9_llPT4_lli
                                        ; -- End function
	.set _ZL23rocblas_trmm_rTx_kernelILi32ELb0EddKPKdKPdEv13rocblas_fill_17rocblas_diagonal_iiT2_lPT3_llS9_llPT4_lli.num_vgpr, 15
	.set _ZL23rocblas_trmm_rTx_kernelILi32ELb0EddKPKdKPdEv13rocblas_fill_17rocblas_diagonal_iiT2_lPT3_llS9_llPT4_lli.num_agpr, 0
	.set _ZL23rocblas_trmm_rTx_kernelILi32ELb0EddKPKdKPdEv13rocblas_fill_17rocblas_diagonal_iiT2_lPT3_llS9_llPT4_lli.numbered_sgpr, 32
	.set _ZL23rocblas_trmm_rTx_kernelILi32ELb0EddKPKdKPdEv13rocblas_fill_17rocblas_diagonal_iiT2_lPT3_llS9_llPT4_lli.num_named_barrier, 0
	.set _ZL23rocblas_trmm_rTx_kernelILi32ELb0EddKPKdKPdEv13rocblas_fill_17rocblas_diagonal_iiT2_lPT3_llS9_llPT4_lli.private_seg_size, 0
	.set _ZL23rocblas_trmm_rTx_kernelILi32ELb0EddKPKdKPdEv13rocblas_fill_17rocblas_diagonal_iiT2_lPT3_llS9_llPT4_lli.uses_vcc, 1
	.set _ZL23rocblas_trmm_rTx_kernelILi32ELb0EddKPKdKPdEv13rocblas_fill_17rocblas_diagonal_iiT2_lPT3_llS9_llPT4_lli.uses_flat_scratch, 0
	.set _ZL23rocblas_trmm_rTx_kernelILi32ELb0EddKPKdKPdEv13rocblas_fill_17rocblas_diagonal_iiT2_lPT3_llS9_llPT4_lli.has_dyn_sized_stack, 0
	.set _ZL23rocblas_trmm_rTx_kernelILi32ELb0EddKPKdKPdEv13rocblas_fill_17rocblas_diagonal_iiT2_lPT3_llS9_llPT4_lli.has_recursion, 0
	.set _ZL23rocblas_trmm_rTx_kernelILi32ELb0EddKPKdKPdEv13rocblas_fill_17rocblas_diagonal_iiT2_lPT3_llS9_llPT4_lli.has_indirect_call, 0
	.section	.AMDGPU.csdata,"",@progbits
; Kernel info:
; codeLenInByte = 1304
; TotalNumSgprs: 36
; NumVgprs: 15
; ScratchSize: 0
; MemoryBound: 1
; FloatMode: 240
; IeeeMode: 1
; LDSByteSize: 16384 bytes/workgroup (compile time only)
; SGPRBlocks: 8
; VGPRBlocks: 7
; NumSGPRsForWavesPerEU: 65
; NumVGPRsForWavesPerEU: 29
; Occupancy: 8
; WaveLimiterHint : 1
; COMPUTE_PGM_RSRC2:SCRATCH_EN: 0
; COMPUTE_PGM_RSRC2:USER_SGPR: 6
; COMPUTE_PGM_RSRC2:TRAP_HANDLER: 0
; COMPUTE_PGM_RSRC2:TGID_X_EN: 1
; COMPUTE_PGM_RSRC2:TGID_Y_EN: 0
; COMPUTE_PGM_RSRC2:TGID_Z_EN: 1
; COMPUTE_PGM_RSRC2:TIDIG_COMP_CNT: 1
	.section	.text._ZL23rocblas_trmm_rTx_kernelILi32ELb1EdPKdKS1_KPdEv13rocblas_fill_17rocblas_diagonal_iiT2_lPT3_llS9_llPT4_lli,"axG",@progbits,_ZL23rocblas_trmm_rTx_kernelILi32ELb1EdPKdKS1_KPdEv13rocblas_fill_17rocblas_diagonal_iiT2_lPT3_llS9_llPT4_lli,comdat
	.globl	_ZL23rocblas_trmm_rTx_kernelILi32ELb1EdPKdKS1_KPdEv13rocblas_fill_17rocblas_diagonal_iiT2_lPT3_llS9_llPT4_lli ; -- Begin function _ZL23rocblas_trmm_rTx_kernelILi32ELb1EdPKdKS1_KPdEv13rocblas_fill_17rocblas_diagonal_iiT2_lPT3_llS9_llPT4_lli
	.p2align	8
	.type	_ZL23rocblas_trmm_rTx_kernelILi32ELb1EdPKdKS1_KPdEv13rocblas_fill_17rocblas_diagonal_iiT2_lPT3_llS9_llPT4_lli,@function
_ZL23rocblas_trmm_rTx_kernelILi32ELb1EdPKdKS1_KPdEv13rocblas_fill_17rocblas_diagonal_iiT2_lPT3_llS9_llPT4_lli: ; @_ZL23rocblas_trmm_rTx_kernelILi32ELb1EdPKdKS1_KPdEv13rocblas_fill_17rocblas_diagonal_iiT2_lPT3_llS9_llPT4_lli
; %bb.0:
	s_load_dwordx16 s[8:23], s[4:5], 0x10
	s_waitcnt lgkmcnt(0)
	s_mul_i32 s0, s11, s7
	s_mul_hi_u32 s1, s10, s7
	s_add_i32 s1, s1, s0
	s_mul_i32 s0, s10, s7
	s_lshl_b64 s[0:1], s[0:1], 3
	s_add_u32 s0, s8, s0
	s_addc_u32 s1, s9, s1
	s_load_dwordx2 s[24:25], s[0:1], 0x0
	s_waitcnt lgkmcnt(0)
	v_cmp_eq_f64_e64 s[0:1], s[24:25], 0
	s_and_b64 vcc, exec, s[0:1]
	s_cbranch_vccnz .LBB166_15
; %bb.1:
	s_load_dwordx4 s[8:11], s[4:5], 0x0
	s_load_dwordx4 s[0:3], s[4:5], 0x50
	s_mov_b32 s28, s7
	s_mov_b32 s29, 0
	s_lshl_b64 s[30:31], s[28:29], 3
	s_add_u32 s18, s18, s30
	s_addc_u32 s19, s19, s31
	s_waitcnt lgkmcnt(0)
	s_add_u32 s0, s0, s30
	s_addc_u32 s1, s1, s31
	s_load_dwordx2 s[26:27], s[18:19], 0x0
	s_mov_b32 s28, s29
	s_load_dwordx2 s[18:19], s[0:1], 0x0
	v_lshlrev_b32_e32 v2, 5, v1
	v_mov_b32_e32 v4, s28
	v_cmp_gt_i32_e32 vcc, s11, v1
	v_cmp_gt_i32_e64 s[0:1], s11, v0
	v_add_lshl_u32 v3, v2, v0, 3
	v_mov_b32_e32 v5, s29
	s_and_b64 s[0:1], vcc, s[0:1]
	v_lshlrev_b32_e32 v2, 3, v0
	ds_write2st64_b64 v3, v[4:5], v[4:5] offset1:16
	s_and_saveexec_b64 s[28:29], s[0:1]
	s_cbranch_execz .LBB166_3
; %bb.2:
	v_mad_u64_u32 v[4:5], s[0:1], s14, v1, 0
	s_add_u32 s0, s12, s30
	s_addc_u32 s1, s13, s31
	s_load_dwordx2 s[0:1], s[0:1], 0x0
	v_mad_u64_u32 v[5:6], s[12:13], s15, v1, v[5:6]
	s_lshl_b64 s[12:13], s[16:17], 3
	s_waitcnt lgkmcnt(0)
	s_add_u32 s0, s0, s12
	v_lshlrev_b64 v[4:5], 3, v[4:5]
	s_addc_u32 s1, s1, s13
	v_mov_b32_e32 v6, s1
	v_add_co_u32_e64 v4, s[0:1], s0, v4
	v_addc_co_u32_e64 v5, s[0:1], v6, v5, s[0:1]
	v_add_co_u32_e64 v4, s[0:1], v4, v2
	v_addc_co_u32_e64 v5, s[0:1], 0, v5, s[0:1]
	flat_load_dwordx2 v[4:5], v[4:5]
	s_waitcnt vmcnt(0) lgkmcnt(0)
	ds_write_b64 v3, v[4:5]
.LBB166_3:
	s_or_b64 exec, exec, s[28:29]
	s_add_i32 s0, s10, -1
	s_ashr_i32 s1, s0, 31
	s_lshr_b32 s1, s1, 27
	s_add_i32 s0, s0, s1
	s_ashr_i32 s1, s0, 5
	s_andn2_b32 s0, s0, 31
	s_sub_i32 s0, s10, s0
	s_cmp_ge_i32 s6, s1
	s_cselect_b32 s0, s0, 32
	s_lshl_b32 s6, s6, 5
	v_cmp_gt_i32_e64 s[0:1], s0, v0
	s_ashr_i32 s7, s6, 31
	s_and_b64 s[0:1], vcc, s[0:1]
	s_and_saveexec_b64 s[10:11], s[0:1]
	s_cbranch_execz .LBB166_5
; %bb.4:
	v_mad_u64_u32 v[4:5], s[12:13], s20, v1, 0
	s_lshl_b64 s[12:13], s[22:23], 3
	s_waitcnt lgkmcnt(0)
	s_add_u32 s14, s26, s12
	s_addc_u32 s15, s27, s13
	v_mad_u64_u32 v[5:6], s[12:13], s21, v1, v[5:6]
	s_lshl_b64 s[12:13], s[6:7], 3
	s_add_u32 s12, s14, s12
	v_lshlrev_b64 v[4:5], 3, v[4:5]
	s_addc_u32 s13, s15, s13
	v_mov_b32_e32 v6, s13
	v_add_co_u32_e32 v4, vcc, s12, v4
	v_addc_co_u32_e32 v5, vcc, v6, v5, vcc
	v_add_co_u32_e32 v4, vcc, v4, v2
	v_addc_co_u32_e32 v5, vcc, 0, v5, vcc
	flat_load_dwordx2 v[4:5], v[4:5]
	v_add_u32_e32 v6, 0x2000, v3
	s_waitcnt vmcnt(0) lgkmcnt(0)
	ds_write_b64 v6, v[4:5]
.LBB166_5:
	s_or_b64 exec, exec, s[10:11]
	s_cmpk_eq_i32 s9, 0x84
	s_cselect_b64 s[10:11], -1, 0
	v_cmp_eq_u32_e32 vcc, v1, v0
	s_and_b64 s[12:13], vcc, s[10:11]
	s_and_saveexec_b64 s[10:11], s[12:13]
; %bb.6:
	v_mov_b32_e32 v4, 0
	v_mov_b32_e32 v5, 0x3ff00000
	ds_write_b64 v3, v[4:5]
; %bb.7:
	s_or_b64 exec, exec, s[10:11]
	s_cmpk_lg_i32 s8, 0x79
	s_cbranch_scc0 .LBB166_9
; %bb.8:
	v_cmp_lt_u32_e32 vcc, v0, v1
	s_and_b64 s[8:9], vcc, exec
	s_cbranch_execz .LBB166_10
	s_branch .LBB166_11
.LBB166_9:
	s_mov_b64 s[8:9], 0
.LBB166_10:
	v_cmp_gt_u32_e32 vcc, v0, v1
	s_andn2_b64 s[8:9], s[8:9], exec
	s_and_b64 s[10:11], vcc, exec
	s_or_b64 s[8:9], s[8:9], s[10:11]
.LBB166_11:
	s_and_saveexec_b64 s[10:11], s[8:9]
; %bb.12:
	v_mov_b32_e32 v4, 0
	v_mov_b32_e32 v5, v4
	ds_write_b64 v3, v[4:5]
; %bb.13:
	s_or_b64 exec, exec, s[10:11]
	s_waitcnt lgkmcnt(0)
	s_barrier
	s_and_saveexec_b64 s[8:9], s[0:1]
	s_cbranch_execz .LBB166_15
; %bb.14:
	v_add_u32_e32 v0, 0x2000, v2
	v_lshlrev_b32_e32 v13, 3, v1
	ds_read2_b64 v[3:6], v0 offset1:32
	ds_read2_b64 v[7:10], v13 offset1:32
	v_add_u32_e32 v14, 0x800, v13
	s_load_dwordx2 s[0:1], s[4:5], 0x60
	s_waitcnt lgkmcnt(0)
	v_fma_f64 v[3:4], v[3:4], v[7:8], 0
	s_lshl_b64 s[0:1], s[0:1], 3
	v_fma_f64 v[11:12], v[5:6], v[9:10], v[3:4]
	ds_read2_b64 v[3:6], v0 offset0:64 offset1:96
	ds_read2_b64 v[7:10], v13 offset0:64 offset1:96
	s_waitcnt lgkmcnt(0)
	v_fma_f64 v[3:4], v[3:4], v[7:8], v[11:12]
	v_fma_f64 v[11:12], v[5:6], v[9:10], v[3:4]
	ds_read2_b64 v[3:6], v0 offset0:128 offset1:160
	ds_read2_b64 v[7:10], v13 offset0:128 offset1:160
	s_waitcnt lgkmcnt(0)
	v_fma_f64 v[3:4], v[3:4], v[7:8], v[11:12]
	v_fma_f64 v[11:12], v[5:6], v[9:10], v[3:4]
	ds_read2_b64 v[3:6], v0 offset0:192 offset1:224
	ds_read2_b64 v[7:10], v13 offset0:192 offset1:224
	v_add_u32_e32 v0, 0x2800, v2
	s_waitcnt lgkmcnt(0)
	v_fma_f64 v[3:4], v[3:4], v[7:8], v[11:12]
	v_fma_f64 v[11:12], v[5:6], v[9:10], v[3:4]
	ds_read2_b64 v[3:6], v0 offset1:32
	ds_read2_b64 v[7:10], v14 offset1:32
	s_waitcnt lgkmcnt(0)
	v_fma_f64 v[3:4], v[3:4], v[7:8], v[11:12]
	v_fma_f64 v[11:12], v[5:6], v[9:10], v[3:4]
	ds_read2_b64 v[3:6], v0 offset0:64 offset1:96
	ds_read2_b64 v[7:10], v14 offset0:64 offset1:96
	s_waitcnt lgkmcnt(0)
	v_fma_f64 v[3:4], v[3:4], v[7:8], v[11:12]
	v_fma_f64 v[11:12], v[5:6], v[9:10], v[3:4]
	ds_read2_b64 v[3:6], v0 offset0:128 offset1:160
	ds_read2_b64 v[7:10], v14 offset0:128 offset1:160
	;; [unrolled: 5-line block ×3, first 2 shown]
	v_add_u32_e32 v0, 0x3000, v2
	v_add_u32_e32 v14, 0x1000, v13
	;; [unrolled: 1-line block ×3, first 2 shown]
	s_waitcnt lgkmcnt(0)
	v_fma_f64 v[3:4], v[3:4], v[7:8], v[11:12]
	v_fma_f64 v[11:12], v[5:6], v[9:10], v[3:4]
	ds_read2_b64 v[3:6], v0 offset1:32
	ds_read2_b64 v[7:10], v14 offset1:32
	s_waitcnt lgkmcnt(0)
	v_fma_f64 v[3:4], v[3:4], v[7:8], v[11:12]
	v_fma_f64 v[11:12], v[5:6], v[9:10], v[3:4]
	ds_read2_b64 v[3:6], v0 offset0:64 offset1:96
	ds_read2_b64 v[7:10], v14 offset0:64 offset1:96
	s_waitcnt lgkmcnt(0)
	v_fma_f64 v[3:4], v[3:4], v[7:8], v[11:12]
	v_fma_f64 v[11:12], v[5:6], v[9:10], v[3:4]
	ds_read2_b64 v[3:6], v0 offset0:128 offset1:160
	ds_read2_b64 v[7:10], v14 offset0:128 offset1:160
	;; [unrolled: 5-line block ×3, first 2 shown]
	v_add_u32_e32 v0, 0x3800, v2
	s_waitcnt lgkmcnt(0)
	v_fma_f64 v[3:4], v[3:4], v[7:8], v[11:12]
	v_fma_f64 v[11:12], v[5:6], v[9:10], v[3:4]
	ds_read2_b64 v[3:6], v0 offset1:32
	ds_read2_b64 v[7:10], v13 offset1:32
	s_waitcnt lgkmcnt(0)
	v_fma_f64 v[3:4], v[3:4], v[7:8], v[11:12]
	v_fma_f64 v[11:12], v[5:6], v[9:10], v[3:4]
	ds_read2_b64 v[3:6], v0 offset0:64 offset1:96
	ds_read2_b64 v[7:10], v13 offset0:64 offset1:96
	s_waitcnt lgkmcnt(0)
	v_fma_f64 v[3:4], v[3:4], v[7:8], v[11:12]
	v_fma_f64 v[11:12], v[5:6], v[9:10], v[3:4]
	ds_read2_b64 v[3:6], v0 offset0:128 offset1:160
	ds_read2_b64 v[7:10], v13 offset0:128 offset1:160
	;; [unrolled: 5-line block ×3, first 2 shown]
	v_mad_u64_u32 v[13:14], s[4:5], s2, v1, 0
	v_mov_b32_e32 v0, v14
	v_mad_u64_u32 v[0:1], s[2:3], s3, v1, v[0:1]
	s_waitcnt lgkmcnt(0)
	v_fma_f64 v[3:4], v[3:4], v[7:8], v[11:12]
	s_add_u32 s2, s18, s0
	s_addc_u32 s3, s19, s1
	s_lshl_b64 s[0:1], s[6:7], 3
	v_mov_b32_e32 v14, v0
	s_add_u32 s0, s2, s0
	v_lshlrev_b64 v[0:1], 3, v[13:14]
	s_addc_u32 s1, s3, s1
	v_fma_f64 v[3:4], v[5:6], v[9:10], v[3:4]
	v_mov_b32_e32 v5, s1
	v_add_co_u32_e32 v0, vcc, s0, v0
	v_addc_co_u32_e32 v1, vcc, v5, v1, vcc
	v_add_co_u32_e32 v0, vcc, v0, v2
	v_mul_f64 v[3:4], s[24:25], v[3:4]
	v_addc_co_u32_e32 v1, vcc, 0, v1, vcc
	flat_store_dwordx2 v[0:1], v[3:4]
.LBB166_15:
	s_endpgm
	.section	.rodata,"a",@progbits
	.p2align	6, 0x0
	.amdhsa_kernel _ZL23rocblas_trmm_rTx_kernelILi32ELb1EdPKdKS1_KPdEv13rocblas_fill_17rocblas_diagonal_iiT2_lPT3_llS9_llPT4_lli
		.amdhsa_group_segment_fixed_size 16384
		.amdhsa_private_segment_fixed_size 0
		.amdhsa_kernarg_size 108
		.amdhsa_user_sgpr_count 6
		.amdhsa_user_sgpr_private_segment_buffer 1
		.amdhsa_user_sgpr_dispatch_ptr 0
		.amdhsa_user_sgpr_queue_ptr 0
		.amdhsa_user_sgpr_kernarg_segment_ptr 1
		.amdhsa_user_sgpr_dispatch_id 0
		.amdhsa_user_sgpr_flat_scratch_init 0
		.amdhsa_user_sgpr_private_segment_size 0
		.amdhsa_uses_dynamic_stack 0
		.amdhsa_system_sgpr_private_segment_wavefront_offset 0
		.amdhsa_system_sgpr_workgroup_id_x 1
		.amdhsa_system_sgpr_workgroup_id_y 0
		.amdhsa_system_sgpr_workgroup_id_z 1
		.amdhsa_system_sgpr_workgroup_info 0
		.amdhsa_system_vgpr_workitem_id 1
		.amdhsa_next_free_vgpr 29
		.amdhsa_next_free_sgpr 61
		.amdhsa_reserve_vcc 1
		.amdhsa_reserve_flat_scratch 0
		.amdhsa_float_round_mode_32 0
		.amdhsa_float_round_mode_16_64 0
		.amdhsa_float_denorm_mode_32 3
		.amdhsa_float_denorm_mode_16_64 3
		.amdhsa_dx10_clamp 1
		.amdhsa_ieee_mode 1
		.amdhsa_fp16_overflow 0
		.amdhsa_exception_fp_ieee_invalid_op 0
		.amdhsa_exception_fp_denorm_src 0
		.amdhsa_exception_fp_ieee_div_zero 0
		.amdhsa_exception_fp_ieee_overflow 0
		.amdhsa_exception_fp_ieee_underflow 0
		.amdhsa_exception_fp_ieee_inexact 0
		.amdhsa_exception_int_div_zero 0
	.end_amdhsa_kernel
	.section	.text._ZL23rocblas_trmm_rTx_kernelILi32ELb1EdPKdKS1_KPdEv13rocblas_fill_17rocblas_diagonal_iiT2_lPT3_llS9_llPT4_lli,"axG",@progbits,_ZL23rocblas_trmm_rTx_kernelILi32ELb1EdPKdKS1_KPdEv13rocblas_fill_17rocblas_diagonal_iiT2_lPT3_llS9_llPT4_lli,comdat
.Lfunc_end166:
	.size	_ZL23rocblas_trmm_rTx_kernelILi32ELb1EdPKdKS1_KPdEv13rocblas_fill_17rocblas_diagonal_iiT2_lPT3_llS9_llPT4_lli, .Lfunc_end166-_ZL23rocblas_trmm_rTx_kernelILi32ELb1EdPKdKS1_KPdEv13rocblas_fill_17rocblas_diagonal_iiT2_lPT3_llS9_llPT4_lli
                                        ; -- End function
	.set _ZL23rocblas_trmm_rTx_kernelILi32ELb1EdPKdKS1_KPdEv13rocblas_fill_17rocblas_diagonal_iiT2_lPT3_llS9_llPT4_lli.num_vgpr, 15
	.set _ZL23rocblas_trmm_rTx_kernelILi32ELb1EdPKdKS1_KPdEv13rocblas_fill_17rocblas_diagonal_iiT2_lPT3_llS9_llPT4_lli.num_agpr, 0
	.set _ZL23rocblas_trmm_rTx_kernelILi32ELb1EdPKdKS1_KPdEv13rocblas_fill_17rocblas_diagonal_iiT2_lPT3_llS9_llPT4_lli.numbered_sgpr, 32
	.set _ZL23rocblas_trmm_rTx_kernelILi32ELb1EdPKdKS1_KPdEv13rocblas_fill_17rocblas_diagonal_iiT2_lPT3_llS9_llPT4_lli.num_named_barrier, 0
	.set _ZL23rocblas_trmm_rTx_kernelILi32ELb1EdPKdKS1_KPdEv13rocblas_fill_17rocblas_diagonal_iiT2_lPT3_llS9_llPT4_lli.private_seg_size, 0
	.set _ZL23rocblas_trmm_rTx_kernelILi32ELb1EdPKdKS1_KPdEv13rocblas_fill_17rocblas_diagonal_iiT2_lPT3_llS9_llPT4_lli.uses_vcc, 1
	.set _ZL23rocblas_trmm_rTx_kernelILi32ELb1EdPKdKS1_KPdEv13rocblas_fill_17rocblas_diagonal_iiT2_lPT3_llS9_llPT4_lli.uses_flat_scratch, 0
	.set _ZL23rocblas_trmm_rTx_kernelILi32ELb1EdPKdKS1_KPdEv13rocblas_fill_17rocblas_diagonal_iiT2_lPT3_llS9_llPT4_lli.has_dyn_sized_stack, 0
	.set _ZL23rocblas_trmm_rTx_kernelILi32ELb1EdPKdKS1_KPdEv13rocblas_fill_17rocblas_diagonal_iiT2_lPT3_llS9_llPT4_lli.has_recursion, 0
	.set _ZL23rocblas_trmm_rTx_kernelILi32ELb1EdPKdKS1_KPdEv13rocblas_fill_17rocblas_diagonal_iiT2_lPT3_llS9_llPT4_lli.has_indirect_call, 0
	.section	.AMDGPU.csdata,"",@progbits
; Kernel info:
; codeLenInByte = 1344
; TotalNumSgprs: 36
; NumVgprs: 15
; ScratchSize: 0
; MemoryBound: 1
; FloatMode: 240
; IeeeMode: 1
; LDSByteSize: 16384 bytes/workgroup (compile time only)
; SGPRBlocks: 8
; VGPRBlocks: 7
; NumSGPRsForWavesPerEU: 65
; NumVGPRsForWavesPerEU: 29
; Occupancy: 8
; WaveLimiterHint : 1
; COMPUTE_PGM_RSRC2:SCRATCH_EN: 0
; COMPUTE_PGM_RSRC2:USER_SGPR: 6
; COMPUTE_PGM_RSRC2:TRAP_HANDLER: 0
; COMPUTE_PGM_RSRC2:TGID_X_EN: 1
; COMPUTE_PGM_RSRC2:TGID_Y_EN: 0
; COMPUTE_PGM_RSRC2:TGID_Z_EN: 1
; COMPUTE_PGM_RSRC2:TIDIG_COMP_CNT: 1
	.section	.text._ZL23rocblas_trmm_rTx_kernelILi32ELb1EddKPKdKPdEv13rocblas_fill_17rocblas_diagonal_iiT2_lPT3_llS9_llPT4_lli,"axG",@progbits,_ZL23rocblas_trmm_rTx_kernelILi32ELb1EddKPKdKPdEv13rocblas_fill_17rocblas_diagonal_iiT2_lPT3_llS9_llPT4_lli,comdat
	.globl	_ZL23rocblas_trmm_rTx_kernelILi32ELb1EddKPKdKPdEv13rocblas_fill_17rocblas_diagonal_iiT2_lPT3_llS9_llPT4_lli ; -- Begin function _ZL23rocblas_trmm_rTx_kernelILi32ELb1EddKPKdKPdEv13rocblas_fill_17rocblas_diagonal_iiT2_lPT3_llS9_llPT4_lli
	.p2align	8
	.type	_ZL23rocblas_trmm_rTx_kernelILi32ELb1EddKPKdKPdEv13rocblas_fill_17rocblas_diagonal_iiT2_lPT3_llS9_llPT4_lli,@function
_ZL23rocblas_trmm_rTx_kernelILi32ELb1EddKPKdKPdEv13rocblas_fill_17rocblas_diagonal_iiT2_lPT3_llS9_llPT4_lli: ; @_ZL23rocblas_trmm_rTx_kernelILi32ELb1EddKPKdKPdEv13rocblas_fill_17rocblas_diagonal_iiT2_lPT3_llS9_llPT4_lli
; %bb.0:
	s_load_dwordx2 s[2:3], s[4:5], 0x10
	s_waitcnt lgkmcnt(0)
	v_cmp_eq_f64_e64 s[8:9], s[2:3], 0
	s_and_b64 vcc, exec, s[8:9]
	s_cbranch_vccnz .LBB167_15
; %bb.1:
	s_load_dwordx16 s[8:23], s[4:5], 0x20
	s_load_dwordx4 s[24:27], s[4:5], 0x0
	s_mov_b32 s0, s7
	s_mov_b32 s1, 0
	s_lshl_b64 s[30:31], s[0:1], 3
	s_waitcnt lgkmcnt(0)
	s_add_u32 s14, s14, s30
	s_addc_u32 s15, s15, s31
	s_load_dwordx2 s[28:29], s[14:15], 0x0
	s_add_u32 s14, s20, s30
	s_addc_u32 s15, s21, s31
	s_load_dwordx2 s[14:15], s[14:15], 0x0
	s_mov_b32 s0, s1
	v_mov_b32_e32 v5, s1
	v_lshlrev_b32_e32 v2, 5, v1
	v_mov_b32_e32 v4, s0
	v_cmp_gt_i32_e32 vcc, s27, v1
	v_cmp_gt_i32_e64 s[0:1], s27, v0
	v_add_lshl_u32 v3, v2, v0, 3
	s_and_b64 s[0:1], vcc, s[0:1]
	v_lshlrev_b32_e32 v2, 3, v0
	ds_write2st64_b64 v3, v[4:5], v[4:5] offset1:16
	s_and_saveexec_b64 s[20:21], s[0:1]
	s_cbranch_execz .LBB167_3
; %bb.2:
	v_mad_u64_u32 v[4:5], s[0:1], s10, v1, 0
	s_add_u32 s0, s8, s30
	s_addc_u32 s1, s9, s31
	s_load_dwordx2 s[0:1], s[0:1], 0x0
	v_mad_u64_u32 v[5:6], s[8:9], s11, v1, v[5:6]
	s_lshl_b64 s[8:9], s[12:13], 3
	s_waitcnt lgkmcnt(0)
	s_add_u32 s0, s0, s8
	v_lshlrev_b64 v[4:5], 3, v[4:5]
	s_addc_u32 s1, s1, s9
	v_mov_b32_e32 v6, s1
	v_add_co_u32_e64 v4, s[0:1], s0, v4
	v_addc_co_u32_e64 v5, s[0:1], v6, v5, s[0:1]
	v_add_co_u32_e64 v4, s[0:1], v4, v2
	v_addc_co_u32_e64 v5, s[0:1], 0, v5, s[0:1]
	flat_load_dwordx2 v[4:5], v[4:5]
	s_waitcnt vmcnt(0) lgkmcnt(0)
	ds_write_b64 v3, v[4:5]
.LBB167_3:
	s_or_b64 exec, exec, s[20:21]
	s_add_i32 s0, s26, -1
	s_ashr_i32 s1, s0, 31
	s_lshr_b32 s1, s1, 27
	s_add_i32 s0, s0, s1
	s_ashr_i32 s1, s0, 5
	s_andn2_b32 s0, s0, 31
	s_sub_i32 s0, s26, s0
	s_cmp_ge_i32 s6, s1
	s_cselect_b32 s0, s0, 32
	s_lshl_b32 s6, s6, 5
	v_cmp_gt_i32_e64 s[0:1], s0, v0
	s_ashr_i32 s7, s6, 31
	s_and_b64 s[0:1], vcc, s[0:1]
	s_and_saveexec_b64 s[8:9], s[0:1]
	s_cbranch_execz .LBB167_5
; %bb.4:
	v_mad_u64_u32 v[4:5], s[10:11], s16, v1, 0
	s_lshl_b64 s[10:11], s[18:19], 3
	s_waitcnt lgkmcnt(0)
	s_add_u32 s12, s28, s10
	s_addc_u32 s13, s29, s11
	v_mad_u64_u32 v[5:6], s[10:11], s17, v1, v[5:6]
	s_lshl_b64 s[10:11], s[6:7], 3
	s_add_u32 s10, s12, s10
	v_lshlrev_b64 v[4:5], 3, v[4:5]
	s_addc_u32 s11, s13, s11
	v_mov_b32_e32 v6, s11
	v_add_co_u32_e32 v4, vcc, s10, v4
	v_addc_co_u32_e32 v5, vcc, v6, v5, vcc
	v_add_co_u32_e32 v4, vcc, v4, v2
	v_addc_co_u32_e32 v5, vcc, 0, v5, vcc
	flat_load_dwordx2 v[4:5], v[4:5]
	v_add_u32_e32 v6, 0x2000, v3
	s_waitcnt vmcnt(0) lgkmcnt(0)
	ds_write_b64 v6, v[4:5]
.LBB167_5:
	s_or_b64 exec, exec, s[8:9]
	s_cmpk_eq_i32 s25, 0x84
	s_cselect_b64 s[8:9], -1, 0
	v_cmp_eq_u32_e32 vcc, v1, v0
	s_and_b64 s[10:11], vcc, s[8:9]
	s_and_saveexec_b64 s[8:9], s[10:11]
; %bb.6:
	v_mov_b32_e32 v4, 0
	v_mov_b32_e32 v5, 0x3ff00000
	ds_write_b64 v3, v[4:5]
; %bb.7:
	s_or_b64 exec, exec, s[8:9]
	s_cmpk_lg_i32 s24, 0x79
	s_cbranch_scc0 .LBB167_9
; %bb.8:
	v_cmp_lt_u32_e32 vcc, v0, v1
	s_and_b64 s[8:9], vcc, exec
	s_cbranch_execz .LBB167_10
	s_branch .LBB167_11
.LBB167_9:
	s_mov_b64 s[8:9], 0
.LBB167_10:
	v_cmp_gt_u32_e32 vcc, v0, v1
	s_andn2_b64 s[8:9], s[8:9], exec
	s_and_b64 s[10:11], vcc, exec
	s_or_b64 s[8:9], s[8:9], s[10:11]
.LBB167_11:
	s_and_saveexec_b64 s[10:11], s[8:9]
; %bb.12:
	v_mov_b32_e32 v4, 0
	v_mov_b32_e32 v5, v4
	ds_write_b64 v3, v[4:5]
; %bb.13:
	s_or_b64 exec, exec, s[10:11]
	s_waitcnt lgkmcnt(0)
	s_barrier
	s_and_saveexec_b64 s[8:9], s[0:1]
	s_cbranch_execz .LBB167_15
; %bb.14:
	v_add_u32_e32 v0, 0x2000, v2
	v_lshlrev_b32_e32 v13, 3, v1
	ds_read2_b64 v[3:6], v0 offset1:32
	ds_read2_b64 v[7:10], v13 offset1:32
	v_add_u32_e32 v14, 0x800, v13
	s_load_dwordx2 s[0:1], s[4:5], 0x60
	s_waitcnt lgkmcnt(0)
	v_fma_f64 v[3:4], v[3:4], v[7:8], 0
	s_lshl_b64 s[0:1], s[0:1], 3
	v_fma_f64 v[11:12], v[5:6], v[9:10], v[3:4]
	ds_read2_b64 v[3:6], v0 offset0:64 offset1:96
	ds_read2_b64 v[7:10], v13 offset0:64 offset1:96
	s_waitcnt lgkmcnt(0)
	v_fma_f64 v[3:4], v[3:4], v[7:8], v[11:12]
	v_fma_f64 v[11:12], v[5:6], v[9:10], v[3:4]
	ds_read2_b64 v[3:6], v0 offset0:128 offset1:160
	ds_read2_b64 v[7:10], v13 offset0:128 offset1:160
	s_waitcnt lgkmcnt(0)
	v_fma_f64 v[3:4], v[3:4], v[7:8], v[11:12]
	v_fma_f64 v[11:12], v[5:6], v[9:10], v[3:4]
	ds_read2_b64 v[3:6], v0 offset0:192 offset1:224
	ds_read2_b64 v[7:10], v13 offset0:192 offset1:224
	v_add_u32_e32 v0, 0x2800, v2
	s_waitcnt lgkmcnt(0)
	v_fma_f64 v[3:4], v[3:4], v[7:8], v[11:12]
	v_fma_f64 v[11:12], v[5:6], v[9:10], v[3:4]
	ds_read2_b64 v[3:6], v0 offset1:32
	ds_read2_b64 v[7:10], v14 offset1:32
	s_waitcnt lgkmcnt(0)
	v_fma_f64 v[3:4], v[3:4], v[7:8], v[11:12]
	v_fma_f64 v[11:12], v[5:6], v[9:10], v[3:4]
	ds_read2_b64 v[3:6], v0 offset0:64 offset1:96
	ds_read2_b64 v[7:10], v14 offset0:64 offset1:96
	s_waitcnt lgkmcnt(0)
	v_fma_f64 v[3:4], v[3:4], v[7:8], v[11:12]
	v_fma_f64 v[11:12], v[5:6], v[9:10], v[3:4]
	ds_read2_b64 v[3:6], v0 offset0:128 offset1:160
	ds_read2_b64 v[7:10], v14 offset0:128 offset1:160
	;; [unrolled: 5-line block ×3, first 2 shown]
	v_add_u32_e32 v0, 0x3000, v2
	v_add_u32_e32 v14, 0x1000, v13
	;; [unrolled: 1-line block ×3, first 2 shown]
	s_waitcnt lgkmcnt(0)
	v_fma_f64 v[3:4], v[3:4], v[7:8], v[11:12]
	v_fma_f64 v[11:12], v[5:6], v[9:10], v[3:4]
	ds_read2_b64 v[3:6], v0 offset1:32
	ds_read2_b64 v[7:10], v14 offset1:32
	s_waitcnt lgkmcnt(0)
	v_fma_f64 v[3:4], v[3:4], v[7:8], v[11:12]
	v_fma_f64 v[11:12], v[5:6], v[9:10], v[3:4]
	ds_read2_b64 v[3:6], v0 offset0:64 offset1:96
	ds_read2_b64 v[7:10], v14 offset0:64 offset1:96
	s_waitcnt lgkmcnt(0)
	v_fma_f64 v[3:4], v[3:4], v[7:8], v[11:12]
	v_fma_f64 v[11:12], v[5:6], v[9:10], v[3:4]
	ds_read2_b64 v[3:6], v0 offset0:128 offset1:160
	ds_read2_b64 v[7:10], v14 offset0:128 offset1:160
	;; [unrolled: 5-line block ×3, first 2 shown]
	v_add_u32_e32 v0, 0x3800, v2
	s_waitcnt lgkmcnt(0)
	v_fma_f64 v[3:4], v[3:4], v[7:8], v[11:12]
	v_fma_f64 v[11:12], v[5:6], v[9:10], v[3:4]
	ds_read2_b64 v[3:6], v0 offset1:32
	ds_read2_b64 v[7:10], v13 offset1:32
	s_waitcnt lgkmcnt(0)
	v_fma_f64 v[3:4], v[3:4], v[7:8], v[11:12]
	v_fma_f64 v[11:12], v[5:6], v[9:10], v[3:4]
	ds_read2_b64 v[3:6], v0 offset0:64 offset1:96
	ds_read2_b64 v[7:10], v13 offset0:64 offset1:96
	s_waitcnt lgkmcnt(0)
	v_fma_f64 v[3:4], v[3:4], v[7:8], v[11:12]
	v_fma_f64 v[11:12], v[5:6], v[9:10], v[3:4]
	ds_read2_b64 v[3:6], v0 offset0:128 offset1:160
	ds_read2_b64 v[7:10], v13 offset0:128 offset1:160
	;; [unrolled: 5-line block ×3, first 2 shown]
	v_mad_u64_u32 v[13:14], s[4:5], s22, v1, 0
	v_mov_b32_e32 v0, v14
	v_mad_u64_u32 v[0:1], s[4:5], s23, v1, v[0:1]
	s_waitcnt lgkmcnt(0)
	v_fma_f64 v[3:4], v[3:4], v[7:8], v[11:12]
	s_add_u32 s4, s14, s0
	s_addc_u32 s5, s15, s1
	s_lshl_b64 s[0:1], s[6:7], 3
	v_mov_b32_e32 v14, v0
	s_add_u32 s0, s4, s0
	v_lshlrev_b64 v[0:1], 3, v[13:14]
	s_addc_u32 s1, s5, s1
	v_fma_f64 v[3:4], v[5:6], v[9:10], v[3:4]
	v_mov_b32_e32 v5, s1
	v_add_co_u32_e32 v0, vcc, s0, v0
	v_addc_co_u32_e32 v1, vcc, v5, v1, vcc
	v_add_co_u32_e32 v0, vcc, v0, v2
	v_mul_f64 v[3:4], s[2:3], v[3:4]
	v_addc_co_u32_e32 v1, vcc, 0, v1, vcc
	flat_store_dwordx2 v[0:1], v[3:4]
.LBB167_15:
	s_endpgm
	.section	.rodata,"a",@progbits
	.p2align	6, 0x0
	.amdhsa_kernel _ZL23rocblas_trmm_rTx_kernelILi32ELb1EddKPKdKPdEv13rocblas_fill_17rocblas_diagonal_iiT2_lPT3_llS9_llPT4_lli
		.amdhsa_group_segment_fixed_size 16384
		.amdhsa_private_segment_fixed_size 0
		.amdhsa_kernarg_size 108
		.amdhsa_user_sgpr_count 6
		.amdhsa_user_sgpr_private_segment_buffer 1
		.amdhsa_user_sgpr_dispatch_ptr 0
		.amdhsa_user_sgpr_queue_ptr 0
		.amdhsa_user_sgpr_kernarg_segment_ptr 1
		.amdhsa_user_sgpr_dispatch_id 0
		.amdhsa_user_sgpr_flat_scratch_init 0
		.amdhsa_user_sgpr_private_segment_size 0
		.amdhsa_uses_dynamic_stack 0
		.amdhsa_system_sgpr_private_segment_wavefront_offset 0
		.amdhsa_system_sgpr_workgroup_id_x 1
		.amdhsa_system_sgpr_workgroup_id_y 0
		.amdhsa_system_sgpr_workgroup_id_z 1
		.amdhsa_system_sgpr_workgroup_info 0
		.amdhsa_system_vgpr_workitem_id 1
		.amdhsa_next_free_vgpr 29
		.amdhsa_next_free_sgpr 61
		.amdhsa_reserve_vcc 1
		.amdhsa_reserve_flat_scratch 0
		.amdhsa_float_round_mode_32 0
		.amdhsa_float_round_mode_16_64 0
		.amdhsa_float_denorm_mode_32 3
		.amdhsa_float_denorm_mode_16_64 3
		.amdhsa_dx10_clamp 1
		.amdhsa_ieee_mode 1
		.amdhsa_fp16_overflow 0
		.amdhsa_exception_fp_ieee_invalid_op 0
		.amdhsa_exception_fp_denorm_src 0
		.amdhsa_exception_fp_ieee_div_zero 0
		.amdhsa_exception_fp_ieee_overflow 0
		.amdhsa_exception_fp_ieee_underflow 0
		.amdhsa_exception_fp_ieee_inexact 0
		.amdhsa_exception_int_div_zero 0
	.end_amdhsa_kernel
	.section	.text._ZL23rocblas_trmm_rTx_kernelILi32ELb1EddKPKdKPdEv13rocblas_fill_17rocblas_diagonal_iiT2_lPT3_llS9_llPT4_lli,"axG",@progbits,_ZL23rocblas_trmm_rTx_kernelILi32ELb1EddKPKdKPdEv13rocblas_fill_17rocblas_diagonal_iiT2_lPT3_llS9_llPT4_lli,comdat
.Lfunc_end167:
	.size	_ZL23rocblas_trmm_rTx_kernelILi32ELb1EddKPKdKPdEv13rocblas_fill_17rocblas_diagonal_iiT2_lPT3_llS9_llPT4_lli, .Lfunc_end167-_ZL23rocblas_trmm_rTx_kernelILi32ELb1EddKPKdKPdEv13rocblas_fill_17rocblas_diagonal_iiT2_lPT3_llS9_llPT4_lli
                                        ; -- End function
	.set _ZL23rocblas_trmm_rTx_kernelILi32ELb1EddKPKdKPdEv13rocblas_fill_17rocblas_diagonal_iiT2_lPT3_llS9_llPT4_lli.num_vgpr, 15
	.set _ZL23rocblas_trmm_rTx_kernelILi32ELb1EddKPKdKPdEv13rocblas_fill_17rocblas_diagonal_iiT2_lPT3_llS9_llPT4_lli.num_agpr, 0
	.set _ZL23rocblas_trmm_rTx_kernelILi32ELb1EddKPKdKPdEv13rocblas_fill_17rocblas_diagonal_iiT2_lPT3_llS9_llPT4_lli.numbered_sgpr, 32
	.set _ZL23rocblas_trmm_rTx_kernelILi32ELb1EddKPKdKPdEv13rocblas_fill_17rocblas_diagonal_iiT2_lPT3_llS9_llPT4_lli.num_named_barrier, 0
	.set _ZL23rocblas_trmm_rTx_kernelILi32ELb1EddKPKdKPdEv13rocblas_fill_17rocblas_diagonal_iiT2_lPT3_llS9_llPT4_lli.private_seg_size, 0
	.set _ZL23rocblas_trmm_rTx_kernelILi32ELb1EddKPKdKPdEv13rocblas_fill_17rocblas_diagonal_iiT2_lPT3_llS9_llPT4_lli.uses_vcc, 1
	.set _ZL23rocblas_trmm_rTx_kernelILi32ELb1EddKPKdKPdEv13rocblas_fill_17rocblas_diagonal_iiT2_lPT3_llS9_llPT4_lli.uses_flat_scratch, 0
	.set _ZL23rocblas_trmm_rTx_kernelILi32ELb1EddKPKdKPdEv13rocblas_fill_17rocblas_diagonal_iiT2_lPT3_llS9_llPT4_lli.has_dyn_sized_stack, 0
	.set _ZL23rocblas_trmm_rTx_kernelILi32ELb1EddKPKdKPdEv13rocblas_fill_17rocblas_diagonal_iiT2_lPT3_llS9_llPT4_lli.has_recursion, 0
	.set _ZL23rocblas_trmm_rTx_kernelILi32ELb1EddKPKdKPdEv13rocblas_fill_17rocblas_diagonal_iiT2_lPT3_llS9_llPT4_lli.has_indirect_call, 0
	.section	.AMDGPU.csdata,"",@progbits
; Kernel info:
; codeLenInByte = 1304
; TotalNumSgprs: 36
; NumVgprs: 15
; ScratchSize: 0
; MemoryBound: 1
; FloatMode: 240
; IeeeMode: 1
; LDSByteSize: 16384 bytes/workgroup (compile time only)
; SGPRBlocks: 8
; VGPRBlocks: 7
; NumSGPRsForWavesPerEU: 65
; NumVGPRsForWavesPerEU: 29
; Occupancy: 8
; WaveLimiterHint : 1
; COMPUTE_PGM_RSRC2:SCRATCH_EN: 0
; COMPUTE_PGM_RSRC2:USER_SGPR: 6
; COMPUTE_PGM_RSRC2:TRAP_HANDLER: 0
; COMPUTE_PGM_RSRC2:TGID_X_EN: 1
; COMPUTE_PGM_RSRC2:TGID_Y_EN: 0
; COMPUTE_PGM_RSRC2:TGID_Z_EN: 1
; COMPUTE_PGM_RSRC2:TIDIG_COMP_CNT: 1
	.section	.text._ZL23rocblas_trmm_lNx_kernelILi16E19rocblas_complex_numIfEPKS1_KS3_KPS1_Ev13rocblas_fill_17rocblas_diagonal_iiT1_lPT2_llSB_llPT3_lli,"axG",@progbits,_ZL23rocblas_trmm_lNx_kernelILi16E19rocblas_complex_numIfEPKS1_KS3_KPS1_Ev13rocblas_fill_17rocblas_diagonal_iiT1_lPT2_llSB_llPT3_lli,comdat
	.globl	_ZL23rocblas_trmm_lNx_kernelILi16E19rocblas_complex_numIfEPKS1_KS3_KPS1_Ev13rocblas_fill_17rocblas_diagonal_iiT1_lPT2_llSB_llPT3_lli ; -- Begin function _ZL23rocblas_trmm_lNx_kernelILi16E19rocblas_complex_numIfEPKS1_KS3_KPS1_Ev13rocblas_fill_17rocblas_diagonal_iiT1_lPT2_llSB_llPT3_lli
	.p2align	8
	.type	_ZL23rocblas_trmm_lNx_kernelILi16E19rocblas_complex_numIfEPKS1_KS3_KPS1_Ev13rocblas_fill_17rocblas_diagonal_iiT1_lPT2_llSB_llPT3_lli,@function
_ZL23rocblas_trmm_lNx_kernelILi16E19rocblas_complex_numIfEPKS1_KS3_KPS1_Ev13rocblas_fill_17rocblas_diagonal_iiT1_lPT2_llSB_llPT3_lli: ; @_ZL23rocblas_trmm_lNx_kernelILi16E19rocblas_complex_numIfEPKS1_KS3_KPS1_Ev13rocblas_fill_17rocblas_diagonal_iiT1_lPT2_llSB_llPT3_lli
; %bb.0:
	s_load_dwordx16 s[8:23], s[4:5], 0x10
	s_mov_b32 s29, 0
	s_waitcnt lgkmcnt(0)
	s_mul_i32 s0, s11, s7
	s_mul_hi_u32 s1, s10, s7
	s_add_i32 s1, s1, s0
	s_mul_i32 s0, s10, s7
	s_lshl_b64 s[0:1], s[0:1], 3
	s_add_u32 s0, s8, s0
	s_addc_u32 s1, s9, s1
	s_load_dwordx2 s[24:25], s[0:1], 0x0
	s_waitcnt lgkmcnt(0)
	v_cmp_neq_f32_e64 s[0:1], s24, 0
	v_cmp_neq_f32_e64 s[2:3], s25, 0
	s_or_b64 s[0:1], s[0:1], s[2:3]
	s_andn2_b64 vcc, exec, s[0:1]
	s_cbranch_vccnz .LBB168_15
; %bb.1:
	s_load_dwordx4 s[8:11], s[4:5], 0x0
	s_load_dwordx4 s[0:3], s[4:5], 0x50
	s_mov_b32 s28, s7
	s_lshl_b64 s[30:31], s[28:29], 3
	s_add_u32 s18, s18, s30
	s_addc_u32 s19, s19, s31
	s_waitcnt lgkmcnt(0)
	s_add_u32 s0, s0, s30
	s_addc_u32 s1, s1, s31
	s_load_dwordx2 s[26:27], s[18:19], 0x0
	s_mov_b32 s28, s29
	s_load_dwordx2 s[18:19], s[0:1], 0x0
	v_lshlrev_b32_e32 v3, 4, v1
	v_mov_b32_e32 v5, s28
	v_cmp_gt_i32_e64 s[0:1], s10, v1
	v_cmp_gt_i32_e32 vcc, s10, v0
	v_add_lshl_u32 v4, v3, v0, 3
	v_mov_b32_e32 v6, s29
	s_and_b64 s[0:1], s[0:1], vcc
	v_lshlrev_b32_e32 v2, 3, v0
	ds_write2st64_b64 v4, v[5:6], v[5:6] offset1:4
	s_and_saveexec_b64 s[28:29], s[0:1]
	s_cbranch_execz .LBB168_3
; %bb.2:
	v_mad_u64_u32 v[5:6], s[0:1], s14, v1, 0
	s_add_u32 s0, s12, s30
	s_addc_u32 s1, s13, s31
	s_load_dwordx2 s[0:1], s[0:1], 0x0
	v_mad_u64_u32 v[6:7], s[12:13], s15, v1, v[6:7]
	s_lshl_b64 s[12:13], s[16:17], 3
	s_waitcnt lgkmcnt(0)
	s_add_u32 s0, s0, s12
	v_lshlrev_b64 v[5:6], 3, v[5:6]
	s_addc_u32 s1, s1, s13
	v_mov_b32_e32 v7, s1
	v_add_co_u32_e64 v5, s[0:1], s0, v5
	v_addc_co_u32_e64 v6, s[0:1], v7, v6, s[0:1]
	v_add_co_u32_e64 v5, s[0:1], v5, v2
	v_addc_co_u32_e64 v6, s[0:1], 0, v6, s[0:1]
	flat_load_dwordx2 v[5:6], v[5:6]
	s_waitcnt vmcnt(0) lgkmcnt(0)
	ds_write_b64 v4, v[5:6]
.LBB168_3:
	s_or_b64 exec, exec, s[28:29]
	s_add_i32 s0, s11, -1
	s_ashr_i32 s1, s0, 31
	s_lshr_b32 s1, s1, 28
	s_add_i32 s0, s0, s1
	s_ashr_i32 s1, s0, 4
	s_and_b32 s0, s0, -16
	s_sub_i32 s0, s11, s0
	s_cmp_ge_i32 s6, s1
	s_cselect_b32 s0, s0, 16
	s_lshl_b32 s10, s6, 4
	v_cmp_gt_i32_e64 s[0:1], s0, v1
	s_ashr_i32 s11, s10, 31
	s_and_b64 s[0:1], vcc, s[0:1]
	s_and_saveexec_b64 s[6:7], s[0:1]
	s_cbranch_execz .LBB168_5
; %bb.4:
	s_lshl_b64 s[12:13], s[22:23], 3
	s_waitcnt lgkmcnt(0)
	s_add_u32 s16, s26, s12
	s_addc_u32 s17, s27, s13
	s_mul_i32 s12, s20, s11
	s_mul_hi_u32 s13, s20, s10
	s_add_i32 s14, s13, s12
	v_mad_u64_u32 v[5:6], s[12:13], s20, v1, 0
	s_mul_i32 s12, s21, s10
	s_add_i32 s13, s14, s12
	v_mad_u64_u32 v[6:7], s[14:15], s21, v1, v[6:7]
	s_mul_i32 s12, s20, s10
	s_lshl_b64 s[12:13], s[12:13], 3
	s_add_u32 s12, s16, s12
	v_lshlrev_b64 v[5:6], 3, v[5:6]
	s_addc_u32 s13, s17, s13
	v_mov_b32_e32 v7, s13
	v_add_co_u32_e32 v5, vcc, s12, v5
	v_addc_co_u32_e32 v6, vcc, v7, v6, vcc
	v_add_co_u32_e32 v5, vcc, v5, v2
	v_addc_co_u32_e32 v6, vcc, 0, v6, vcc
	flat_load_dwordx2 v[5:6], v[5:6]
	v_add_u32_e32 v7, 0x800, v4
	s_waitcnt vmcnt(0) lgkmcnt(0)
	ds_write_b64 v7, v[5:6]
.LBB168_5:
	s_or_b64 exec, exec, s[6:7]
	s_cmpk_eq_i32 s9, 0x84
	s_cselect_b64 s[6:7], -1, 0
	v_cmp_eq_u32_e32 vcc, v1, v0
	s_and_b64 s[12:13], vcc, s[6:7]
	s_and_saveexec_b64 s[6:7], s[12:13]
; %bb.6:
	v_mov_b32_e32 v5, 1.0
	v_mov_b32_e32 v6, 0
	ds_write_b64 v4, v[5:6]
; %bb.7:
	s_or_b64 exec, exec, s[6:7]
	s_cmpk_lg_i32 s8, 0x79
	s_cbranch_scc0 .LBB168_9
; %bb.8:
	v_cmp_lt_u32_e32 vcc, v0, v1
	s_and_b64 s[6:7], vcc, exec
	s_cbranch_execz .LBB168_10
	s_branch .LBB168_11
.LBB168_9:
	s_mov_b64 s[6:7], 0
.LBB168_10:
	v_cmp_gt_u32_e32 vcc, v0, v1
	s_andn2_b64 s[6:7], s[6:7], exec
	s_and_b64 s[8:9], vcc, exec
	s_or_b64 s[6:7], s[6:7], s[8:9]
.LBB168_11:
	s_and_saveexec_b64 s[8:9], s[6:7]
; %bb.12:
	v_mov_b32_e32 v5, 0
	v_mov_b32_e32 v6, v5
	ds_write_b64 v4, v[5:6]
; %bb.13:
	s_or_b64 exec, exec, s[8:9]
	s_waitcnt lgkmcnt(0)
	s_barrier
	s_and_saveexec_b64 s[6:7], s[0:1]
	s_cbranch_execz .LBB168_15
; %bb.14:
	v_lshlrev_b32_e32 v0, 3, v3
	ds_read2_b64 v[3:6], v2 offset1:16
	ds_read_b128 v[7:10], v0 offset:2048
	ds_read_b128 v[11:14], v0 offset:2064
	ds_read2_b64 v[15:18], v2 offset0:32 offset1:48
	s_load_dwordx2 s[0:1], s[4:5], 0x60
	s_waitcnt lgkmcnt(0)
	v_mul_f32_e32 v19, v7, v4
	v_mul_f32_e32 v4, v8, v4
	;; [unrolled: 1-line block ×3, first 2 shown]
	v_fmac_f32_e32 v19, v8, v3
	v_fma_f32 v21, v7, v3, -v4
	v_mul_f32_e32 v3, v10, v6
	v_fmac_f32_e32 v20, v10, v5
	v_fma_f32 v22, v9, v5, -v3
	ds_read2_b64 v[3:6], v2 offset0:64 offset1:80
	ds_read_b128 v[7:10], v0 offset:2080
	v_mul_f32_e32 v23, v11, v16
	v_fmac_f32_e32 v23, v12, v15
	v_mul_f32_e32 v12, v12, v16
	v_mul_f32_e32 v24, v13, v18
	v_fma_f32 v25, v11, v15, -v12
	v_mul_f32_e32 v11, v14, v18
	v_fmac_f32_e32 v24, v14, v17
	v_fma_f32 v26, v13, v17, -v11
	ds_read_b128 v[11:14], v0 offset:2096
	ds_read2_b64 v[15:18], v2 offset0:96 offset1:112
	s_waitcnt lgkmcnt(2)
	v_mul_f32_e32 v27, v7, v4
	v_mul_f32_e32 v4, v8, v4
	v_fmac_f32_e32 v27, v8, v3
	v_mul_f32_e32 v28, v9, v6
	v_fma_f32 v29, v7, v3, -v4
	v_mul_f32_e32 v3, v10, v6
	v_fmac_f32_e32 v28, v10, v5
	v_fma_f32 v30, v9, v5, -v3
	ds_read2_b64 v[3:6], v2 offset0:128 offset1:144
	ds_read_b128 v[7:10], v0 offset:2112
	s_waitcnt lgkmcnt(2)
	v_mul_f32_e32 v31, v11, v16
	v_fmac_f32_e32 v31, v12, v15
	v_mul_f32_e32 v12, v12, v16
	v_mul_f32_e32 v32, v13, v18
	v_fma_f32 v15, v11, v15, -v12
	v_mul_f32_e32 v11, v14, v18
	v_fmac_f32_e32 v32, v14, v17
	v_fma_f32 v16, v13, v17, -v11
	s_waitcnt lgkmcnt(0)
	v_mul_f32_e32 v17, v7, v4
	v_mul_f32_e32 v4, v8, v4
	v_fmac_f32_e32 v17, v8, v3
	v_mul_f32_e32 v18, v9, v6
	v_fma_f32 v33, v7, v3, -v4
	v_mul_f32_e32 v3, v10, v6
	ds_read_b128 v[11:14], v0 offset:2128
	v_fmac_f32_e32 v18, v10, v5
	v_fma_f32 v34, v9, v5, -v3
	ds_read2_b64 v[3:6], v2 offset0:160 offset1:176
	s_lshl_b64 s[0:1], s[0:1], 3
	s_add_u32 s4, s18, s0
	s_addc_u32 s5, s19, s1
	s_mul_i32 s0, s2, s11
	s_waitcnt lgkmcnt(0)
	v_mul_f32_e32 v35, v11, v4
	v_mul_f32_e32 v4, v12, v4
	v_fmac_f32_e32 v35, v12, v3
	v_mul_f32_e32 v36, v13, v6
	v_fma_f32 v37, v11, v3, -v4
	v_mul_f32_e32 v3, v14, v6
	v_fmac_f32_e32 v36, v14, v5
	v_fma_f32 v38, v13, v5, -v3
	ds_read2_b64 v[3:6], v2 offset0:192 offset1:208
	ds_read_b128 v[7:10], v0 offset:2144
	ds_read_b128 v[11:14], v0 offset:2160
	s_mul_hi_u32 s1, s2, s10
	s_add_i32 s0, s1, s0
	s_mul_i32 s1, s3, s10
	s_waitcnt lgkmcnt(1)
	v_mul_f32_e32 v0, v7, v4
	v_mul_f32_e32 v4, v8, v4
	v_fmac_f32_e32 v0, v8, v3
	v_fma_f32 v7, v7, v3, -v4
	v_mul_f32_e32 v3, v10, v6
	v_fma_f32 v8, v9, v5, -v3
	v_add_f32_e32 v3, 0, v19
	v_add_f32_e32 v3, v3, v20
	;; [unrolled: 1-line block ×8, first 2 shown]
	v_mul_f32_e32 v39, v9, v6
	v_add_f32_e32 v3, v3, v17
	v_fmac_f32_e32 v39, v10, v5
	v_add_f32_e32 v9, v3, v18
	ds_read2_b64 v[3:6], v2 offset0:224 offset1:240
	v_add_f32_e32 v9, v9, v35
	v_add_f32_e32 v9, v9, v36
	;; [unrolled: 1-line block ×4, first 2 shown]
	s_waitcnt lgkmcnt(0)
	v_mul_f32_e32 v9, v11, v4
	v_fmac_f32_e32 v9, v12, v3
	v_add_f32_e32 v0, v0, v9
	v_mul_f32_e32 v9, v13, v6
	v_fmac_f32_e32 v9, v14, v5
	v_add_f32_e32 v9, v0, v9
	v_add_f32_e32 v0, 0, v21
	;; [unrolled: 1-line block ×12, first 2 shown]
	s_add_i32 s1, s0, s1
	s_mul_i32 s0, s2, s10
	v_add_f32_e32 v0, v0, v38
	s_lshl_b64 s[0:1], s[0:1], 3
	v_add_f32_e32 v0, v0, v7
	v_mul_f32_e32 v4, v12, v4
	s_add_u32 s4, s4, s0
	v_add_f32_e32 v0, v0, v8
	v_fma_f32 v3, v11, v3, -v4
	s_addc_u32 s5, s5, s1
	v_add_f32_e32 v0, v0, v3
	v_mad_u64_u32 v[3:4], s[0:1], s2, v1, 0
	v_mul_f32_e32 v6, v14, v6
	v_fma_f32 v5, v13, v5, -v6
	v_add_f32_e32 v5, v0, v5
	v_mov_b32_e32 v0, v4
	v_mad_u64_u32 v[0:1], s[0:1], s3, v1, v[0:1]
	v_mul_f32_e32 v6, s24, v9
	v_mul_f32_e32 v1, s25, v9
	v_mov_b32_e32 v4, v0
	v_fmac_f32_e32 v6, s25, v5
	v_fma_f32 v5, s24, v5, -v1
	v_lshlrev_b64 v[0:1], 3, v[3:4]
	v_mov_b32_e32 v3, s5
	v_add_co_u32_e32 v0, vcc, s4, v0
	v_addc_co_u32_e32 v1, vcc, v3, v1, vcc
	v_add_co_u32_e32 v0, vcc, v0, v2
	v_addc_co_u32_e32 v1, vcc, 0, v1, vcc
	flat_store_dwordx2 v[0:1], v[5:6]
.LBB168_15:
	s_endpgm
	.section	.rodata,"a",@progbits
	.p2align	6, 0x0
	.amdhsa_kernel _ZL23rocblas_trmm_lNx_kernelILi16E19rocblas_complex_numIfEPKS1_KS3_KPS1_Ev13rocblas_fill_17rocblas_diagonal_iiT1_lPT2_llSB_llPT3_lli
		.amdhsa_group_segment_fixed_size 4096
		.amdhsa_private_segment_fixed_size 0
		.amdhsa_kernarg_size 108
		.amdhsa_user_sgpr_count 6
		.amdhsa_user_sgpr_private_segment_buffer 1
		.amdhsa_user_sgpr_dispatch_ptr 0
		.amdhsa_user_sgpr_queue_ptr 0
		.amdhsa_user_sgpr_kernarg_segment_ptr 1
		.amdhsa_user_sgpr_dispatch_id 0
		.amdhsa_user_sgpr_flat_scratch_init 0
		.amdhsa_user_sgpr_private_segment_size 0
		.amdhsa_uses_dynamic_stack 0
		.amdhsa_system_sgpr_private_segment_wavefront_offset 0
		.amdhsa_system_sgpr_workgroup_id_x 1
		.amdhsa_system_sgpr_workgroup_id_y 0
		.amdhsa_system_sgpr_workgroup_id_z 1
		.amdhsa_system_sgpr_workgroup_info 0
		.amdhsa_system_vgpr_workitem_id 1
		.amdhsa_next_free_vgpr 40
		.amdhsa_next_free_sgpr 32
		.amdhsa_reserve_vcc 1
		.amdhsa_reserve_flat_scratch 0
		.amdhsa_float_round_mode_32 0
		.amdhsa_float_round_mode_16_64 0
		.amdhsa_float_denorm_mode_32 3
		.amdhsa_float_denorm_mode_16_64 3
		.amdhsa_dx10_clamp 1
		.amdhsa_ieee_mode 1
		.amdhsa_fp16_overflow 0
		.amdhsa_exception_fp_ieee_invalid_op 0
		.amdhsa_exception_fp_denorm_src 0
		.amdhsa_exception_fp_ieee_div_zero 0
		.amdhsa_exception_fp_ieee_overflow 0
		.amdhsa_exception_fp_ieee_underflow 0
		.amdhsa_exception_fp_ieee_inexact 0
		.amdhsa_exception_int_div_zero 0
	.end_amdhsa_kernel
	.section	.text._ZL23rocblas_trmm_lNx_kernelILi16E19rocblas_complex_numIfEPKS1_KS3_KPS1_Ev13rocblas_fill_17rocblas_diagonal_iiT1_lPT2_llSB_llPT3_lli,"axG",@progbits,_ZL23rocblas_trmm_lNx_kernelILi16E19rocblas_complex_numIfEPKS1_KS3_KPS1_Ev13rocblas_fill_17rocblas_diagonal_iiT1_lPT2_llSB_llPT3_lli,comdat
.Lfunc_end168:
	.size	_ZL23rocblas_trmm_lNx_kernelILi16E19rocblas_complex_numIfEPKS1_KS3_KPS1_Ev13rocblas_fill_17rocblas_diagonal_iiT1_lPT2_llSB_llPT3_lli, .Lfunc_end168-_ZL23rocblas_trmm_lNx_kernelILi16E19rocblas_complex_numIfEPKS1_KS3_KPS1_Ev13rocblas_fill_17rocblas_diagonal_iiT1_lPT2_llSB_llPT3_lli
                                        ; -- End function
	.set _ZL23rocblas_trmm_lNx_kernelILi16E19rocblas_complex_numIfEPKS1_KS3_KPS1_Ev13rocblas_fill_17rocblas_diagonal_iiT1_lPT2_llSB_llPT3_lli.num_vgpr, 40
	.set _ZL23rocblas_trmm_lNx_kernelILi16E19rocblas_complex_numIfEPKS1_KS3_KPS1_Ev13rocblas_fill_17rocblas_diagonal_iiT1_lPT2_llSB_llPT3_lli.num_agpr, 0
	.set _ZL23rocblas_trmm_lNx_kernelILi16E19rocblas_complex_numIfEPKS1_KS3_KPS1_Ev13rocblas_fill_17rocblas_diagonal_iiT1_lPT2_llSB_llPT3_lli.numbered_sgpr, 32
	.set _ZL23rocblas_trmm_lNx_kernelILi16E19rocblas_complex_numIfEPKS1_KS3_KPS1_Ev13rocblas_fill_17rocblas_diagonal_iiT1_lPT2_llSB_llPT3_lli.num_named_barrier, 0
	.set _ZL23rocblas_trmm_lNx_kernelILi16E19rocblas_complex_numIfEPKS1_KS3_KPS1_Ev13rocblas_fill_17rocblas_diagonal_iiT1_lPT2_llSB_llPT3_lli.private_seg_size, 0
	.set _ZL23rocblas_trmm_lNx_kernelILi16E19rocblas_complex_numIfEPKS1_KS3_KPS1_Ev13rocblas_fill_17rocblas_diagonal_iiT1_lPT2_llSB_llPT3_lli.uses_vcc, 1
	.set _ZL23rocblas_trmm_lNx_kernelILi16E19rocblas_complex_numIfEPKS1_KS3_KPS1_Ev13rocblas_fill_17rocblas_diagonal_iiT1_lPT2_llSB_llPT3_lli.uses_flat_scratch, 0
	.set _ZL23rocblas_trmm_lNx_kernelILi16E19rocblas_complex_numIfEPKS1_KS3_KPS1_Ev13rocblas_fill_17rocblas_diagonal_iiT1_lPT2_llSB_llPT3_lli.has_dyn_sized_stack, 0
	.set _ZL23rocblas_trmm_lNx_kernelILi16E19rocblas_complex_numIfEPKS1_KS3_KPS1_Ev13rocblas_fill_17rocblas_diagonal_iiT1_lPT2_llSB_llPT3_lli.has_recursion, 0
	.set _ZL23rocblas_trmm_lNx_kernelILi16E19rocblas_complex_numIfEPKS1_KS3_KPS1_Ev13rocblas_fill_17rocblas_diagonal_iiT1_lPT2_llSB_llPT3_lli.has_indirect_call, 0
	.section	.AMDGPU.csdata,"",@progbits
; Kernel info:
; codeLenInByte = 1384
; TotalNumSgprs: 36
; NumVgprs: 40
; ScratchSize: 0
; MemoryBound: 0
; FloatMode: 240
; IeeeMode: 1
; LDSByteSize: 4096 bytes/workgroup (compile time only)
; SGPRBlocks: 4
; VGPRBlocks: 9
; NumSGPRsForWavesPerEU: 36
; NumVGPRsForWavesPerEU: 40
; Occupancy: 6
; WaveLimiterHint : 1
; COMPUTE_PGM_RSRC2:SCRATCH_EN: 0
; COMPUTE_PGM_RSRC2:USER_SGPR: 6
; COMPUTE_PGM_RSRC2:TRAP_HANDLER: 0
; COMPUTE_PGM_RSRC2:TGID_X_EN: 1
; COMPUTE_PGM_RSRC2:TGID_Y_EN: 0
; COMPUTE_PGM_RSRC2:TGID_Z_EN: 1
; COMPUTE_PGM_RSRC2:TIDIG_COMP_CNT: 1
	.section	.text._ZL23rocblas_trmm_lNx_kernelILi16E19rocblas_complex_numIfES1_KPKS1_KPS1_Ev13rocblas_fill_17rocblas_diagonal_iiT1_lPT2_llSB_llPT3_lli,"axG",@progbits,_ZL23rocblas_trmm_lNx_kernelILi16E19rocblas_complex_numIfES1_KPKS1_KPS1_Ev13rocblas_fill_17rocblas_diagonal_iiT1_lPT2_llSB_llPT3_lli,comdat
	.globl	_ZL23rocblas_trmm_lNx_kernelILi16E19rocblas_complex_numIfES1_KPKS1_KPS1_Ev13rocblas_fill_17rocblas_diagonal_iiT1_lPT2_llSB_llPT3_lli ; -- Begin function _ZL23rocblas_trmm_lNx_kernelILi16E19rocblas_complex_numIfES1_KPKS1_KPS1_Ev13rocblas_fill_17rocblas_diagonal_iiT1_lPT2_llSB_llPT3_lli
	.p2align	8
	.type	_ZL23rocblas_trmm_lNx_kernelILi16E19rocblas_complex_numIfES1_KPKS1_KPS1_Ev13rocblas_fill_17rocblas_diagonal_iiT1_lPT2_llSB_llPT3_lli,@function
_ZL23rocblas_trmm_lNx_kernelILi16E19rocblas_complex_numIfES1_KPKS1_KPS1_Ev13rocblas_fill_17rocblas_diagonal_iiT1_lPT2_llSB_llPT3_lli: ; @_ZL23rocblas_trmm_lNx_kernelILi16E19rocblas_complex_numIfES1_KPKS1_KPS1_Ev13rocblas_fill_17rocblas_diagonal_iiT1_lPT2_llSB_llPT3_lli
; %bb.0:
	s_load_dwordx2 s[2:3], s[4:5], 0x10
	s_mov_b32 s1, 0
	s_waitcnt lgkmcnt(0)
	v_cmp_neq_f32_e64 s[8:9], s2, 0
	v_cmp_neq_f32_e64 s[10:11], s3, 0
	s_or_b64 s[8:9], s[8:9], s[10:11]
	s_andn2_b64 vcc, exec, s[8:9]
	s_cbranch_vccnz .LBB169_15
; %bb.1:
	s_load_dwordx16 s[8:23], s[4:5], 0x20
	s_load_dwordx4 s[24:27], s[4:5], 0x0
	s_mov_b32 s0, s7
	s_lshl_b64 s[30:31], s[0:1], 3
	s_mov_b32 s0, s1
	s_waitcnt lgkmcnt(0)
	s_add_u32 s14, s14, s30
	s_addc_u32 s15, s15, s31
	s_load_dwordx2 s[28:29], s[14:15], 0x0
	s_add_u32 s14, s20, s30
	s_addc_u32 s15, s21, s31
	s_load_dwordx2 s[14:15], s[14:15], 0x0
	v_mov_b32_e32 v6, s1
	v_lshlrev_b32_e32 v3, 4, v1
	v_mov_b32_e32 v5, s0
	v_cmp_gt_i32_e64 s[0:1], s26, v1
	v_cmp_gt_i32_e32 vcc, s26, v0
	v_add_lshl_u32 v4, v3, v0, 3
	s_and_b64 s[0:1], s[0:1], vcc
	v_lshlrev_b32_e32 v2, 3, v0
	ds_write2st64_b64 v4, v[5:6], v[5:6] offset1:4
	s_and_saveexec_b64 s[20:21], s[0:1]
	s_cbranch_execz .LBB169_3
; %bb.2:
	v_mad_u64_u32 v[5:6], s[0:1], s10, v1, 0
	s_add_u32 s0, s8, s30
	s_addc_u32 s1, s9, s31
	s_load_dwordx2 s[0:1], s[0:1], 0x0
	v_mad_u64_u32 v[6:7], s[8:9], s11, v1, v[6:7]
	s_lshl_b64 s[8:9], s[12:13], 3
	s_waitcnt lgkmcnt(0)
	s_add_u32 s0, s0, s8
	v_lshlrev_b64 v[5:6], 3, v[5:6]
	s_addc_u32 s1, s1, s9
	v_mov_b32_e32 v7, s1
	v_add_co_u32_e64 v5, s[0:1], s0, v5
	v_addc_co_u32_e64 v6, s[0:1], v7, v6, s[0:1]
	v_add_co_u32_e64 v5, s[0:1], v5, v2
	v_addc_co_u32_e64 v6, s[0:1], 0, v6, s[0:1]
	flat_load_dwordx2 v[5:6], v[5:6]
	s_waitcnt vmcnt(0) lgkmcnt(0)
	ds_write_b64 v4, v[5:6]
.LBB169_3:
	s_or_b64 exec, exec, s[20:21]
	s_add_i32 s0, s27, -1
	s_ashr_i32 s1, s0, 31
	s_lshr_b32 s1, s1, 28
	s_add_i32 s0, s0, s1
	s_ashr_i32 s1, s0, 4
	s_and_b32 s0, s0, -16
	s_sub_i32 s0, s27, s0
	s_cmp_ge_i32 s6, s1
	s_cselect_b32 s0, s0, 16
	s_lshl_b32 s10, s6, 4
	v_cmp_gt_i32_e64 s[0:1], s0, v1
	s_ashr_i32 s11, s10, 31
	s_and_b64 s[0:1], vcc, s[0:1]
	s_and_saveexec_b64 s[6:7], s[0:1]
	s_cbranch_execz .LBB169_5
; %bb.4:
	s_lshl_b64 s[8:9], s[18:19], 3
	s_waitcnt lgkmcnt(0)
	s_add_u32 s18, s28, s8
	s_addc_u32 s19, s29, s9
	s_mul_i32 s8, s16, s11
	s_mul_hi_u32 s9, s16, s10
	s_add_i32 s12, s9, s8
	v_mad_u64_u32 v[5:6], s[8:9], s16, v1, 0
	s_mul_i32 s8, s17, s10
	s_add_i32 s9, s12, s8
	v_mad_u64_u32 v[6:7], s[12:13], s17, v1, v[6:7]
	s_mul_i32 s8, s16, s10
	s_lshl_b64 s[8:9], s[8:9], 3
	s_add_u32 s8, s18, s8
	v_lshlrev_b64 v[5:6], 3, v[5:6]
	s_addc_u32 s9, s19, s9
	v_mov_b32_e32 v7, s9
	v_add_co_u32_e32 v5, vcc, s8, v5
	v_addc_co_u32_e32 v6, vcc, v7, v6, vcc
	v_add_co_u32_e32 v5, vcc, v5, v2
	v_addc_co_u32_e32 v6, vcc, 0, v6, vcc
	flat_load_dwordx2 v[5:6], v[5:6]
	v_add_u32_e32 v7, 0x800, v4
	s_waitcnt vmcnt(0) lgkmcnt(0)
	ds_write_b64 v7, v[5:6]
.LBB169_5:
	s_or_b64 exec, exec, s[6:7]
	s_cmpk_eq_i32 s25, 0x84
	s_cselect_b64 s[6:7], -1, 0
	v_cmp_eq_u32_e32 vcc, v1, v0
	s_and_b64 s[8:9], vcc, s[6:7]
	s_and_saveexec_b64 s[6:7], s[8:9]
; %bb.6:
	v_mov_b32_e32 v5, 1.0
	v_mov_b32_e32 v6, 0
	ds_write_b64 v4, v[5:6]
; %bb.7:
	s_or_b64 exec, exec, s[6:7]
	s_cmpk_lg_i32 s24, 0x79
	s_cbranch_scc0 .LBB169_9
; %bb.8:
	v_cmp_lt_u32_e32 vcc, v0, v1
	s_and_b64 s[6:7], vcc, exec
	s_cbranch_execz .LBB169_10
	s_branch .LBB169_11
.LBB169_9:
	s_mov_b64 s[6:7], 0
.LBB169_10:
	v_cmp_gt_u32_e32 vcc, v0, v1
	s_andn2_b64 s[6:7], s[6:7], exec
	s_and_b64 s[8:9], vcc, exec
	s_or_b64 s[6:7], s[6:7], s[8:9]
.LBB169_11:
	s_and_saveexec_b64 s[8:9], s[6:7]
; %bb.12:
	v_mov_b32_e32 v5, 0
	v_mov_b32_e32 v6, v5
	ds_write_b64 v4, v[5:6]
; %bb.13:
	s_or_b64 exec, exec, s[8:9]
	s_waitcnt lgkmcnt(0)
	s_barrier
	s_and_saveexec_b64 s[6:7], s[0:1]
	s_cbranch_execz .LBB169_15
; %bb.14:
	v_lshlrev_b32_e32 v0, 3, v3
	ds_read2_b64 v[3:6], v2 offset1:16
	ds_read_b128 v[7:10], v0 offset:2048
	ds_read_b128 v[11:14], v0 offset:2064
	ds_read2_b64 v[15:18], v2 offset0:32 offset1:48
	s_load_dwordx2 s[0:1], s[4:5], 0x60
	s_waitcnt lgkmcnt(0)
	v_mul_f32_e32 v19, v7, v4
	v_mul_f32_e32 v4, v8, v4
	;; [unrolled: 1-line block ×3, first 2 shown]
	v_fmac_f32_e32 v19, v8, v3
	v_fma_f32 v21, v7, v3, -v4
	v_mul_f32_e32 v3, v10, v6
	v_fmac_f32_e32 v20, v10, v5
	v_fma_f32 v22, v9, v5, -v3
	ds_read2_b64 v[3:6], v2 offset0:64 offset1:80
	ds_read_b128 v[7:10], v0 offset:2080
	v_mul_f32_e32 v23, v11, v16
	v_fmac_f32_e32 v23, v12, v15
	v_mul_f32_e32 v12, v12, v16
	v_mul_f32_e32 v24, v13, v18
	v_fma_f32 v25, v11, v15, -v12
	v_mul_f32_e32 v11, v14, v18
	v_fmac_f32_e32 v24, v14, v17
	v_fma_f32 v26, v13, v17, -v11
	ds_read_b128 v[11:14], v0 offset:2096
	ds_read2_b64 v[15:18], v2 offset0:96 offset1:112
	s_waitcnt lgkmcnt(2)
	v_mul_f32_e32 v27, v7, v4
	v_mul_f32_e32 v4, v8, v4
	v_fmac_f32_e32 v27, v8, v3
	v_mul_f32_e32 v28, v9, v6
	v_fma_f32 v29, v7, v3, -v4
	v_mul_f32_e32 v3, v10, v6
	v_fmac_f32_e32 v28, v10, v5
	v_fma_f32 v30, v9, v5, -v3
	ds_read2_b64 v[3:6], v2 offset0:128 offset1:144
	ds_read_b128 v[7:10], v0 offset:2112
	s_waitcnt lgkmcnt(2)
	v_mul_f32_e32 v31, v11, v16
	v_fmac_f32_e32 v31, v12, v15
	v_mul_f32_e32 v12, v12, v16
	v_mul_f32_e32 v32, v13, v18
	v_fma_f32 v15, v11, v15, -v12
	v_mul_f32_e32 v11, v14, v18
	v_fmac_f32_e32 v32, v14, v17
	v_fma_f32 v16, v13, v17, -v11
	s_waitcnt lgkmcnt(0)
	v_mul_f32_e32 v17, v7, v4
	v_mul_f32_e32 v4, v8, v4
	v_fmac_f32_e32 v17, v8, v3
	v_mul_f32_e32 v18, v9, v6
	v_fma_f32 v33, v7, v3, -v4
	v_mul_f32_e32 v3, v10, v6
	ds_read_b128 v[11:14], v0 offset:2128
	v_fmac_f32_e32 v18, v10, v5
	v_fma_f32 v34, v9, v5, -v3
	ds_read2_b64 v[3:6], v2 offset0:160 offset1:176
	s_lshl_b64 s[0:1], s[0:1], 3
	s_add_u32 s4, s14, s0
	s_addc_u32 s5, s15, s1
	s_mul_i32 s0, s22, s11
	s_waitcnt lgkmcnt(0)
	v_mul_f32_e32 v35, v11, v4
	v_mul_f32_e32 v4, v12, v4
	v_fmac_f32_e32 v35, v12, v3
	v_mul_f32_e32 v36, v13, v6
	v_fma_f32 v37, v11, v3, -v4
	v_mul_f32_e32 v3, v14, v6
	v_fmac_f32_e32 v36, v14, v5
	v_fma_f32 v38, v13, v5, -v3
	ds_read2_b64 v[3:6], v2 offset0:192 offset1:208
	ds_read_b128 v[7:10], v0 offset:2144
	ds_read_b128 v[11:14], v0 offset:2160
	s_mul_hi_u32 s1, s22, s10
	s_add_i32 s0, s1, s0
	s_mul_i32 s1, s23, s10
	s_waitcnt lgkmcnt(1)
	v_mul_f32_e32 v0, v7, v4
	v_mul_f32_e32 v4, v8, v4
	v_fmac_f32_e32 v0, v8, v3
	v_fma_f32 v7, v7, v3, -v4
	v_mul_f32_e32 v3, v10, v6
	v_fma_f32 v8, v9, v5, -v3
	v_add_f32_e32 v3, 0, v19
	v_add_f32_e32 v3, v3, v20
	;; [unrolled: 1-line block ×8, first 2 shown]
	v_mul_f32_e32 v39, v9, v6
	v_add_f32_e32 v3, v3, v17
	v_fmac_f32_e32 v39, v10, v5
	v_add_f32_e32 v9, v3, v18
	ds_read2_b64 v[3:6], v2 offset0:224 offset1:240
	v_add_f32_e32 v9, v9, v35
	v_add_f32_e32 v9, v9, v36
	;; [unrolled: 1-line block ×4, first 2 shown]
	s_waitcnt lgkmcnt(0)
	v_mul_f32_e32 v9, v11, v4
	v_fmac_f32_e32 v9, v12, v3
	v_add_f32_e32 v0, v0, v9
	v_mul_f32_e32 v9, v13, v6
	v_fmac_f32_e32 v9, v14, v5
	v_add_f32_e32 v9, v0, v9
	v_add_f32_e32 v0, 0, v21
	;; [unrolled: 1-line block ×12, first 2 shown]
	s_add_i32 s1, s0, s1
	s_mul_i32 s0, s22, s10
	v_add_f32_e32 v0, v0, v38
	s_lshl_b64 s[0:1], s[0:1], 3
	v_add_f32_e32 v0, v0, v7
	v_mul_f32_e32 v4, v12, v4
	s_add_u32 s4, s4, s0
	v_add_f32_e32 v0, v0, v8
	v_fma_f32 v3, v11, v3, -v4
	s_addc_u32 s5, s5, s1
	v_add_f32_e32 v0, v0, v3
	v_mad_u64_u32 v[3:4], s[0:1], s22, v1, 0
	v_mul_f32_e32 v6, v14, v6
	v_fma_f32 v5, v13, v5, -v6
	v_add_f32_e32 v5, v0, v5
	v_mov_b32_e32 v0, v4
	v_mad_u64_u32 v[0:1], s[0:1], s23, v1, v[0:1]
	v_mul_f32_e32 v6, s2, v9
	v_mul_f32_e32 v1, s3, v9
	v_mov_b32_e32 v4, v0
	v_fmac_f32_e32 v6, s3, v5
	v_fma_f32 v5, s2, v5, -v1
	v_lshlrev_b64 v[0:1], 3, v[3:4]
	v_mov_b32_e32 v3, s5
	v_add_co_u32_e32 v0, vcc, s4, v0
	v_addc_co_u32_e32 v1, vcc, v3, v1, vcc
	v_add_co_u32_e32 v0, vcc, v0, v2
	v_addc_co_u32_e32 v1, vcc, 0, v1, vcc
	flat_store_dwordx2 v[0:1], v[5:6]
.LBB169_15:
	s_endpgm
	.section	.rodata,"a",@progbits
	.p2align	6, 0x0
	.amdhsa_kernel _ZL23rocblas_trmm_lNx_kernelILi16E19rocblas_complex_numIfES1_KPKS1_KPS1_Ev13rocblas_fill_17rocblas_diagonal_iiT1_lPT2_llSB_llPT3_lli
		.amdhsa_group_segment_fixed_size 4096
		.amdhsa_private_segment_fixed_size 0
		.amdhsa_kernarg_size 108
		.amdhsa_user_sgpr_count 6
		.amdhsa_user_sgpr_private_segment_buffer 1
		.amdhsa_user_sgpr_dispatch_ptr 0
		.amdhsa_user_sgpr_queue_ptr 0
		.amdhsa_user_sgpr_kernarg_segment_ptr 1
		.amdhsa_user_sgpr_dispatch_id 0
		.amdhsa_user_sgpr_flat_scratch_init 0
		.amdhsa_user_sgpr_private_segment_size 0
		.amdhsa_uses_dynamic_stack 0
		.amdhsa_system_sgpr_private_segment_wavefront_offset 0
		.amdhsa_system_sgpr_workgroup_id_x 1
		.amdhsa_system_sgpr_workgroup_id_y 0
		.amdhsa_system_sgpr_workgroup_id_z 1
		.amdhsa_system_sgpr_workgroup_info 0
		.amdhsa_system_vgpr_workitem_id 1
		.amdhsa_next_free_vgpr 40
		.amdhsa_next_free_sgpr 32
		.amdhsa_reserve_vcc 1
		.amdhsa_reserve_flat_scratch 0
		.amdhsa_float_round_mode_32 0
		.amdhsa_float_round_mode_16_64 0
		.amdhsa_float_denorm_mode_32 3
		.amdhsa_float_denorm_mode_16_64 3
		.amdhsa_dx10_clamp 1
		.amdhsa_ieee_mode 1
		.amdhsa_fp16_overflow 0
		.amdhsa_exception_fp_ieee_invalid_op 0
		.amdhsa_exception_fp_denorm_src 0
		.amdhsa_exception_fp_ieee_div_zero 0
		.amdhsa_exception_fp_ieee_overflow 0
		.amdhsa_exception_fp_ieee_underflow 0
		.amdhsa_exception_fp_ieee_inexact 0
		.amdhsa_exception_int_div_zero 0
	.end_amdhsa_kernel
	.section	.text._ZL23rocblas_trmm_lNx_kernelILi16E19rocblas_complex_numIfES1_KPKS1_KPS1_Ev13rocblas_fill_17rocblas_diagonal_iiT1_lPT2_llSB_llPT3_lli,"axG",@progbits,_ZL23rocblas_trmm_lNx_kernelILi16E19rocblas_complex_numIfES1_KPKS1_KPS1_Ev13rocblas_fill_17rocblas_diagonal_iiT1_lPT2_llSB_llPT3_lli,comdat
.Lfunc_end169:
	.size	_ZL23rocblas_trmm_lNx_kernelILi16E19rocblas_complex_numIfES1_KPKS1_KPS1_Ev13rocblas_fill_17rocblas_diagonal_iiT1_lPT2_llSB_llPT3_lli, .Lfunc_end169-_ZL23rocblas_trmm_lNx_kernelILi16E19rocblas_complex_numIfES1_KPKS1_KPS1_Ev13rocblas_fill_17rocblas_diagonal_iiT1_lPT2_llSB_llPT3_lli
                                        ; -- End function
	.set _ZL23rocblas_trmm_lNx_kernelILi16E19rocblas_complex_numIfES1_KPKS1_KPS1_Ev13rocblas_fill_17rocblas_diagonal_iiT1_lPT2_llSB_llPT3_lli.num_vgpr, 40
	.set _ZL23rocblas_trmm_lNx_kernelILi16E19rocblas_complex_numIfES1_KPKS1_KPS1_Ev13rocblas_fill_17rocblas_diagonal_iiT1_lPT2_llSB_llPT3_lli.num_agpr, 0
	.set _ZL23rocblas_trmm_lNx_kernelILi16E19rocblas_complex_numIfES1_KPKS1_KPS1_Ev13rocblas_fill_17rocblas_diagonal_iiT1_lPT2_llSB_llPT3_lli.numbered_sgpr, 32
	.set _ZL23rocblas_trmm_lNx_kernelILi16E19rocblas_complex_numIfES1_KPKS1_KPS1_Ev13rocblas_fill_17rocblas_diagonal_iiT1_lPT2_llSB_llPT3_lli.num_named_barrier, 0
	.set _ZL23rocblas_trmm_lNx_kernelILi16E19rocblas_complex_numIfES1_KPKS1_KPS1_Ev13rocblas_fill_17rocblas_diagonal_iiT1_lPT2_llSB_llPT3_lli.private_seg_size, 0
	.set _ZL23rocblas_trmm_lNx_kernelILi16E19rocblas_complex_numIfES1_KPKS1_KPS1_Ev13rocblas_fill_17rocblas_diagonal_iiT1_lPT2_llSB_llPT3_lli.uses_vcc, 1
	.set _ZL23rocblas_trmm_lNx_kernelILi16E19rocblas_complex_numIfES1_KPKS1_KPS1_Ev13rocblas_fill_17rocblas_diagonal_iiT1_lPT2_llSB_llPT3_lli.uses_flat_scratch, 0
	.set _ZL23rocblas_trmm_lNx_kernelILi16E19rocblas_complex_numIfES1_KPKS1_KPS1_Ev13rocblas_fill_17rocblas_diagonal_iiT1_lPT2_llSB_llPT3_lli.has_dyn_sized_stack, 0
	.set _ZL23rocblas_trmm_lNx_kernelILi16E19rocblas_complex_numIfES1_KPKS1_KPS1_Ev13rocblas_fill_17rocblas_diagonal_iiT1_lPT2_llSB_llPT3_lli.has_recursion, 0
	.set _ZL23rocblas_trmm_lNx_kernelILi16E19rocblas_complex_numIfES1_KPKS1_KPS1_Ev13rocblas_fill_17rocblas_diagonal_iiT1_lPT2_llSB_llPT3_lli.has_indirect_call, 0
	.section	.AMDGPU.csdata,"",@progbits
; Kernel info:
; codeLenInByte = 1344
; TotalNumSgprs: 36
; NumVgprs: 40
; ScratchSize: 0
; MemoryBound: 0
; FloatMode: 240
; IeeeMode: 1
; LDSByteSize: 4096 bytes/workgroup (compile time only)
; SGPRBlocks: 4
; VGPRBlocks: 9
; NumSGPRsForWavesPerEU: 36
; NumVGPRsForWavesPerEU: 40
; Occupancy: 6
; WaveLimiterHint : 1
; COMPUTE_PGM_RSRC2:SCRATCH_EN: 0
; COMPUTE_PGM_RSRC2:USER_SGPR: 6
; COMPUTE_PGM_RSRC2:TRAP_HANDLER: 0
; COMPUTE_PGM_RSRC2:TGID_X_EN: 1
; COMPUTE_PGM_RSRC2:TGID_Y_EN: 0
; COMPUTE_PGM_RSRC2:TGID_Z_EN: 1
; COMPUTE_PGM_RSRC2:TIDIG_COMP_CNT: 1
	.section	.text._ZL23rocblas_trmm_lTx_kernelILi16ELb0E19rocblas_complex_numIfEPKS1_KS3_KPS1_Ev13rocblas_fill_17rocblas_diagonal_iiT2_lPT3_llSB_llPT4_lli,"axG",@progbits,_ZL23rocblas_trmm_lTx_kernelILi16ELb0E19rocblas_complex_numIfEPKS1_KS3_KPS1_Ev13rocblas_fill_17rocblas_diagonal_iiT2_lPT3_llSB_llPT4_lli,comdat
	.globl	_ZL23rocblas_trmm_lTx_kernelILi16ELb0E19rocblas_complex_numIfEPKS1_KS3_KPS1_Ev13rocblas_fill_17rocblas_diagonal_iiT2_lPT3_llSB_llPT4_lli ; -- Begin function _ZL23rocblas_trmm_lTx_kernelILi16ELb0E19rocblas_complex_numIfEPKS1_KS3_KPS1_Ev13rocblas_fill_17rocblas_diagonal_iiT2_lPT3_llSB_llPT4_lli
	.p2align	8
	.type	_ZL23rocblas_trmm_lTx_kernelILi16ELb0E19rocblas_complex_numIfEPKS1_KS3_KPS1_Ev13rocblas_fill_17rocblas_diagonal_iiT2_lPT3_llSB_llPT4_lli,@function
_ZL23rocblas_trmm_lTx_kernelILi16ELb0E19rocblas_complex_numIfEPKS1_KS3_KPS1_Ev13rocblas_fill_17rocblas_diagonal_iiT2_lPT3_llSB_llPT4_lli: ; @_ZL23rocblas_trmm_lTx_kernelILi16ELb0E19rocblas_complex_numIfEPKS1_KS3_KPS1_Ev13rocblas_fill_17rocblas_diagonal_iiT2_lPT3_llSB_llPT4_lli
; %bb.0:
	s_load_dwordx16 s[8:23], s[4:5], 0x10
	s_mov_b32 s27, 0
	s_waitcnt lgkmcnt(0)
	s_mul_i32 s0, s11, s7
	s_mul_hi_u32 s1, s10, s7
	s_add_i32 s1, s1, s0
	s_mul_i32 s0, s10, s7
	s_lshl_b64 s[0:1], s[0:1], 3
	s_add_u32 s0, s8, s0
	s_addc_u32 s1, s9, s1
	s_load_dwordx2 s[24:25], s[0:1], 0x0
	s_waitcnt lgkmcnt(0)
	v_cmp_neq_f32_e64 s[0:1], s24, 0
	v_cmp_neq_f32_e64 s[2:3], s25, 0
	s_or_b64 s[0:1], s[0:1], s[2:3]
	s_andn2_b64 vcc, exec, s[0:1]
	s_cbranch_vccnz .LBB170_15
; %bb.1:
	s_mov_b32 s26, s7
	s_load_dwordx4 s[8:11], s[4:5], 0x0
	s_load_dwordx4 s[0:3], s[4:5], 0x50
	s_lshl_b64 s[30:31], s[26:27], 3
	s_add_u32 s12, s12, s30
	s_addc_u32 s13, s13, s31
	s_load_dwordx2 s[28:29], s[12:13], 0x0
	s_add_u32 s12, s18, s30
	s_addc_u32 s13, s19, s31
	s_waitcnt lgkmcnt(0)
	s_add_u32 s0, s0, s30
	s_addc_u32 s1, s1, s31
	s_load_dwordx2 s[18:19], s[12:13], 0x0
	s_mov_b32 s26, s27
	s_load_dwordx2 s[12:13], s[0:1], 0x0
	v_lshlrev_b32_e32 v3, 4, v1
	v_mov_b32_e32 v5, s26
	v_cmp_gt_i32_e64 s[0:1], s10, v1
	v_cmp_gt_i32_e32 vcc, s10, v0
	v_add_lshl_u32 v4, v3, v0, 3
	v_mov_b32_e32 v6, s27
	s_and_b64 s[0:1], s[0:1], vcc
	v_lshlrev_b32_e32 v2, 3, v0
	ds_write2st64_b64 v4, v[5:6], v[5:6] offset1:4
	s_waitcnt lgkmcnt(0)
	s_barrier
	s_and_saveexec_b64 s[26:27], s[0:1]
	s_cbranch_execz .LBB170_3
; %bb.2:
	v_mad_u64_u32 v[5:6], s[0:1], s14, v1, 0
	s_lshl_b64 s[0:1], s[16:17], 3
	s_add_u32 s0, s28, s0
	v_mad_u64_u32 v[6:7], s[14:15], s15, v1, v[6:7]
	s_addc_u32 s1, s29, s1
	v_mov_b32_e32 v7, s1
	v_lshlrev_b64 v[5:6], 3, v[5:6]
	v_add_co_u32_e64 v5, s[0:1], s0, v5
	v_addc_co_u32_e64 v6, s[0:1], v7, v6, s[0:1]
	v_add_co_u32_e64 v5, s[0:1], v5, v2
	v_addc_co_u32_e64 v6, s[0:1], 0, v6, s[0:1]
	flat_load_dwordx2 v[5:6], v[5:6]
	v_lshlrev_b32_e32 v7, 3, v1
	v_lshl_add_u32 v7, v0, 7, v7
	s_waitcnt vmcnt(0) lgkmcnt(0)
	ds_write_b64 v7, v[5:6]
.LBB170_3:
	s_or_b64 exec, exec, s[26:27]
	s_add_i32 s0, s11, -1
	s_ashr_i32 s1, s0, 31
	s_lshr_b32 s1, s1, 28
	s_add_i32 s0, s0, s1
	s_ashr_i32 s1, s0, 4
	s_and_b32 s0, s0, -16
	s_sub_i32 s0, s11, s0
	s_cmp_ge_i32 s6, s1
	s_cselect_b32 s0, s0, 16
	s_lshl_b32 s10, s6, 4
	v_cmp_gt_i32_e64 s[0:1], s0, v1
	s_ashr_i32 s11, s10, 31
	s_and_b64 s[0:1], vcc, s[0:1]
	s_and_saveexec_b64 s[6:7], s[0:1]
	s_cbranch_execz .LBB170_5
; %bb.4:
	s_lshl_b64 s[14:15], s[22:23], 3
	s_add_u32 s18, s18, s14
	s_addc_u32 s19, s19, s15
	s_mul_i32 s14, s20, s11
	s_mul_hi_u32 s15, s20, s10
	s_add_i32 s16, s15, s14
	v_mad_u64_u32 v[5:6], s[14:15], s20, v1, 0
	s_mul_i32 s14, s21, s10
	s_add_i32 s15, s16, s14
	v_mad_u64_u32 v[6:7], s[16:17], s21, v1, v[6:7]
	s_mul_i32 s14, s20, s10
	s_lshl_b64 s[14:15], s[14:15], 3
	s_add_u32 s14, s18, s14
	v_lshlrev_b64 v[5:6], 3, v[5:6]
	s_addc_u32 s15, s19, s15
	v_mov_b32_e32 v7, s15
	v_add_co_u32_e32 v5, vcc, s14, v5
	v_addc_co_u32_e32 v6, vcc, v7, v6, vcc
	v_add_co_u32_e32 v5, vcc, v5, v2
	v_addc_co_u32_e32 v6, vcc, 0, v6, vcc
	flat_load_dwordx2 v[5:6], v[5:6]
	v_add_u32_e32 v7, 0x800, v4
	s_waitcnt vmcnt(0) lgkmcnt(0)
	ds_write_b64 v7, v[5:6]
.LBB170_5:
	s_or_b64 exec, exec, s[6:7]
	s_cmpk_eq_i32 s9, 0x84
	s_cselect_b64 s[6:7], -1, 0
	v_cmp_eq_u32_e32 vcc, v1, v0
	s_and_b64 s[14:15], vcc, s[6:7]
	s_and_saveexec_b64 s[6:7], s[14:15]
; %bb.6:
	v_mov_b32_e32 v5, 1.0
	v_mov_b32_e32 v6, 0
	ds_write_b64 v4, v[5:6]
; %bb.7:
	s_or_b64 exec, exec, s[6:7]
	s_cmpk_lg_i32 s8, 0x7a
	s_waitcnt lgkmcnt(0)
	s_barrier
	s_cbranch_scc0 .LBB170_9
; %bb.8:
	v_cmp_lt_u32_e32 vcc, v0, v1
	s_and_b64 s[6:7], vcc, exec
	s_cbranch_execz .LBB170_10
	s_branch .LBB170_11
.LBB170_9:
	s_mov_b64 s[6:7], 0
.LBB170_10:
	v_cmp_gt_u32_e32 vcc, v0, v1
	s_andn2_b64 s[6:7], s[6:7], exec
	s_and_b64 s[8:9], vcc, exec
	s_or_b64 s[6:7], s[6:7], s[8:9]
.LBB170_11:
	s_and_saveexec_b64 s[8:9], s[6:7]
; %bb.12:
	v_mov_b32_e32 v5, 0
	v_mov_b32_e32 v6, v5
	ds_write_b64 v4, v[5:6]
; %bb.13:
	s_or_b64 exec, exec, s[8:9]
	s_waitcnt lgkmcnt(0)
	s_barrier
	s_and_saveexec_b64 s[6:7], s[0:1]
	s_cbranch_execz .LBB170_15
; %bb.14:
	v_lshlrev_b32_e32 v0, 3, v3
	ds_read2_b64 v[3:6], v2 offset1:16
	ds_read_b128 v[7:10], v0 offset:2048
	ds_read_b128 v[11:14], v0 offset:2064
	ds_read2_b64 v[15:18], v2 offset0:32 offset1:48
	s_load_dwordx2 s[0:1], s[4:5], 0x60
	s_waitcnt lgkmcnt(0)
	v_mul_f32_e32 v19, v7, v4
	v_mul_f32_e32 v4, v8, v4
	;; [unrolled: 1-line block ×3, first 2 shown]
	v_fmac_f32_e32 v19, v8, v3
	v_fma_f32 v21, v7, v3, -v4
	v_mul_f32_e32 v3, v10, v6
	v_fmac_f32_e32 v20, v10, v5
	v_fma_f32 v22, v9, v5, -v3
	ds_read2_b64 v[3:6], v2 offset0:64 offset1:80
	ds_read_b128 v[7:10], v0 offset:2080
	v_mul_f32_e32 v23, v11, v16
	v_fmac_f32_e32 v23, v12, v15
	v_mul_f32_e32 v12, v12, v16
	v_mul_f32_e32 v24, v13, v18
	v_fma_f32 v25, v11, v15, -v12
	v_mul_f32_e32 v11, v14, v18
	v_fmac_f32_e32 v24, v14, v17
	v_fma_f32 v26, v13, v17, -v11
	ds_read_b128 v[11:14], v0 offset:2096
	ds_read2_b64 v[15:18], v2 offset0:96 offset1:112
	s_waitcnt lgkmcnt(2)
	v_mul_f32_e32 v27, v7, v4
	v_mul_f32_e32 v4, v8, v4
	v_fmac_f32_e32 v27, v8, v3
	v_mul_f32_e32 v28, v9, v6
	v_fma_f32 v29, v7, v3, -v4
	v_mul_f32_e32 v3, v10, v6
	v_fmac_f32_e32 v28, v10, v5
	v_fma_f32 v30, v9, v5, -v3
	ds_read2_b64 v[3:6], v2 offset0:128 offset1:144
	ds_read_b128 v[7:10], v0 offset:2112
	s_waitcnt lgkmcnt(2)
	v_mul_f32_e32 v31, v11, v16
	v_fmac_f32_e32 v31, v12, v15
	v_mul_f32_e32 v12, v12, v16
	v_mul_f32_e32 v32, v13, v18
	v_fma_f32 v15, v11, v15, -v12
	v_mul_f32_e32 v11, v14, v18
	v_fmac_f32_e32 v32, v14, v17
	v_fma_f32 v16, v13, v17, -v11
	s_waitcnt lgkmcnt(0)
	v_mul_f32_e32 v17, v7, v4
	v_mul_f32_e32 v4, v8, v4
	v_fmac_f32_e32 v17, v8, v3
	v_mul_f32_e32 v18, v9, v6
	v_fma_f32 v33, v7, v3, -v4
	v_mul_f32_e32 v3, v10, v6
	ds_read_b128 v[11:14], v0 offset:2128
	v_fmac_f32_e32 v18, v10, v5
	v_fma_f32 v34, v9, v5, -v3
	ds_read2_b64 v[3:6], v2 offset0:160 offset1:176
	s_lshl_b64 s[0:1], s[0:1], 3
	s_add_u32 s4, s12, s0
	s_addc_u32 s5, s13, s1
	s_mul_i32 s0, s2, s11
	s_waitcnt lgkmcnt(0)
	v_mul_f32_e32 v35, v11, v4
	v_mul_f32_e32 v4, v12, v4
	v_fmac_f32_e32 v35, v12, v3
	v_mul_f32_e32 v36, v13, v6
	v_fma_f32 v37, v11, v3, -v4
	v_mul_f32_e32 v3, v14, v6
	v_fmac_f32_e32 v36, v14, v5
	v_fma_f32 v38, v13, v5, -v3
	ds_read2_b64 v[3:6], v2 offset0:192 offset1:208
	ds_read_b128 v[7:10], v0 offset:2144
	ds_read_b128 v[11:14], v0 offset:2160
	s_mul_hi_u32 s1, s2, s10
	s_add_i32 s0, s1, s0
	s_mul_i32 s1, s3, s10
	s_waitcnt lgkmcnt(1)
	v_mul_f32_e32 v0, v7, v4
	v_mul_f32_e32 v4, v8, v4
	v_fmac_f32_e32 v0, v8, v3
	v_fma_f32 v7, v7, v3, -v4
	v_mul_f32_e32 v3, v10, v6
	v_fma_f32 v8, v9, v5, -v3
	v_add_f32_e32 v3, 0, v19
	v_add_f32_e32 v3, v3, v20
	;; [unrolled: 1-line block ×8, first 2 shown]
	v_mul_f32_e32 v39, v9, v6
	v_add_f32_e32 v3, v3, v17
	v_fmac_f32_e32 v39, v10, v5
	v_add_f32_e32 v9, v3, v18
	ds_read2_b64 v[3:6], v2 offset0:224 offset1:240
	v_add_f32_e32 v9, v9, v35
	v_add_f32_e32 v9, v9, v36
	;; [unrolled: 1-line block ×4, first 2 shown]
	s_waitcnt lgkmcnt(0)
	v_mul_f32_e32 v9, v11, v4
	v_fmac_f32_e32 v9, v12, v3
	v_add_f32_e32 v0, v0, v9
	v_mul_f32_e32 v9, v13, v6
	v_fmac_f32_e32 v9, v14, v5
	v_add_f32_e32 v9, v0, v9
	v_add_f32_e32 v0, 0, v21
	;; [unrolled: 1-line block ×12, first 2 shown]
	s_add_i32 s1, s0, s1
	s_mul_i32 s0, s2, s10
	v_add_f32_e32 v0, v0, v38
	s_lshl_b64 s[0:1], s[0:1], 3
	v_add_f32_e32 v0, v0, v7
	v_mul_f32_e32 v4, v12, v4
	s_add_u32 s4, s4, s0
	v_add_f32_e32 v0, v0, v8
	v_fma_f32 v3, v11, v3, -v4
	s_addc_u32 s5, s5, s1
	v_add_f32_e32 v0, v0, v3
	v_mad_u64_u32 v[3:4], s[0:1], s2, v1, 0
	v_mul_f32_e32 v6, v14, v6
	v_fma_f32 v5, v13, v5, -v6
	v_add_f32_e32 v5, v0, v5
	v_mov_b32_e32 v0, v4
	v_mad_u64_u32 v[0:1], s[0:1], s3, v1, v[0:1]
	v_mul_f32_e32 v6, s24, v9
	v_mul_f32_e32 v1, s25, v9
	v_mov_b32_e32 v4, v0
	v_fmac_f32_e32 v6, s25, v5
	v_fma_f32 v5, s24, v5, -v1
	v_lshlrev_b64 v[0:1], 3, v[3:4]
	v_mov_b32_e32 v3, s5
	v_add_co_u32_e32 v0, vcc, s4, v0
	v_addc_co_u32_e32 v1, vcc, v3, v1, vcc
	v_add_co_u32_e32 v0, vcc, v0, v2
	v_addc_co_u32_e32 v1, vcc, 0, v1, vcc
	flat_store_dwordx2 v[0:1], v[5:6]
.LBB170_15:
	s_endpgm
	.section	.rodata,"a",@progbits
	.p2align	6, 0x0
	.amdhsa_kernel _ZL23rocblas_trmm_lTx_kernelILi16ELb0E19rocblas_complex_numIfEPKS1_KS3_KPS1_Ev13rocblas_fill_17rocblas_diagonal_iiT2_lPT3_llSB_llPT4_lli
		.amdhsa_group_segment_fixed_size 4096
		.amdhsa_private_segment_fixed_size 0
		.amdhsa_kernarg_size 108
		.amdhsa_user_sgpr_count 6
		.amdhsa_user_sgpr_private_segment_buffer 1
		.amdhsa_user_sgpr_dispatch_ptr 0
		.amdhsa_user_sgpr_queue_ptr 0
		.amdhsa_user_sgpr_kernarg_segment_ptr 1
		.amdhsa_user_sgpr_dispatch_id 0
		.amdhsa_user_sgpr_flat_scratch_init 0
		.amdhsa_user_sgpr_private_segment_size 0
		.amdhsa_uses_dynamic_stack 0
		.amdhsa_system_sgpr_private_segment_wavefront_offset 0
		.amdhsa_system_sgpr_workgroup_id_x 1
		.amdhsa_system_sgpr_workgroup_id_y 0
		.amdhsa_system_sgpr_workgroup_id_z 1
		.amdhsa_system_sgpr_workgroup_info 0
		.amdhsa_system_vgpr_workitem_id 1
		.amdhsa_next_free_vgpr 40
		.amdhsa_next_free_sgpr 32
		.amdhsa_reserve_vcc 1
		.amdhsa_reserve_flat_scratch 0
		.amdhsa_float_round_mode_32 0
		.amdhsa_float_round_mode_16_64 0
		.amdhsa_float_denorm_mode_32 3
		.amdhsa_float_denorm_mode_16_64 3
		.amdhsa_dx10_clamp 1
		.amdhsa_ieee_mode 1
		.amdhsa_fp16_overflow 0
		.amdhsa_exception_fp_ieee_invalid_op 0
		.amdhsa_exception_fp_denorm_src 0
		.amdhsa_exception_fp_ieee_div_zero 0
		.amdhsa_exception_fp_ieee_overflow 0
		.amdhsa_exception_fp_ieee_underflow 0
		.amdhsa_exception_fp_ieee_inexact 0
		.amdhsa_exception_int_div_zero 0
	.end_amdhsa_kernel
	.section	.text._ZL23rocblas_trmm_lTx_kernelILi16ELb0E19rocblas_complex_numIfEPKS1_KS3_KPS1_Ev13rocblas_fill_17rocblas_diagonal_iiT2_lPT3_llSB_llPT4_lli,"axG",@progbits,_ZL23rocblas_trmm_lTx_kernelILi16ELb0E19rocblas_complex_numIfEPKS1_KS3_KPS1_Ev13rocblas_fill_17rocblas_diagonal_iiT2_lPT3_llSB_llPT4_lli,comdat
.Lfunc_end170:
	.size	_ZL23rocblas_trmm_lTx_kernelILi16ELb0E19rocblas_complex_numIfEPKS1_KS3_KPS1_Ev13rocblas_fill_17rocblas_diagonal_iiT2_lPT3_llSB_llPT4_lli, .Lfunc_end170-_ZL23rocblas_trmm_lTx_kernelILi16ELb0E19rocblas_complex_numIfEPKS1_KS3_KPS1_Ev13rocblas_fill_17rocblas_diagonal_iiT2_lPT3_llSB_llPT4_lli
                                        ; -- End function
	.set _ZL23rocblas_trmm_lTx_kernelILi16ELb0E19rocblas_complex_numIfEPKS1_KS3_KPS1_Ev13rocblas_fill_17rocblas_diagonal_iiT2_lPT3_llSB_llPT4_lli.num_vgpr, 40
	.set _ZL23rocblas_trmm_lTx_kernelILi16ELb0E19rocblas_complex_numIfEPKS1_KS3_KPS1_Ev13rocblas_fill_17rocblas_diagonal_iiT2_lPT3_llSB_llPT4_lli.num_agpr, 0
	.set _ZL23rocblas_trmm_lTx_kernelILi16ELb0E19rocblas_complex_numIfEPKS1_KS3_KPS1_Ev13rocblas_fill_17rocblas_diagonal_iiT2_lPT3_llSB_llPT4_lli.numbered_sgpr, 32
	.set _ZL23rocblas_trmm_lTx_kernelILi16ELb0E19rocblas_complex_numIfEPKS1_KS3_KPS1_Ev13rocblas_fill_17rocblas_diagonal_iiT2_lPT3_llSB_llPT4_lli.num_named_barrier, 0
	.set _ZL23rocblas_trmm_lTx_kernelILi16ELb0E19rocblas_complex_numIfEPKS1_KS3_KPS1_Ev13rocblas_fill_17rocblas_diagonal_iiT2_lPT3_llSB_llPT4_lli.private_seg_size, 0
	.set _ZL23rocblas_trmm_lTx_kernelILi16ELb0E19rocblas_complex_numIfEPKS1_KS3_KPS1_Ev13rocblas_fill_17rocblas_diagonal_iiT2_lPT3_llSB_llPT4_lli.uses_vcc, 1
	.set _ZL23rocblas_trmm_lTx_kernelILi16ELb0E19rocblas_complex_numIfEPKS1_KS3_KPS1_Ev13rocblas_fill_17rocblas_diagonal_iiT2_lPT3_llSB_llPT4_lli.uses_flat_scratch, 0
	.set _ZL23rocblas_trmm_lTx_kernelILi16ELb0E19rocblas_complex_numIfEPKS1_KS3_KPS1_Ev13rocblas_fill_17rocblas_diagonal_iiT2_lPT3_llSB_llPT4_lli.has_dyn_sized_stack, 0
	.set _ZL23rocblas_trmm_lTx_kernelILi16ELb0E19rocblas_complex_numIfEPKS1_KS3_KPS1_Ev13rocblas_fill_17rocblas_diagonal_iiT2_lPT3_llSB_llPT4_lli.has_recursion, 0
	.set _ZL23rocblas_trmm_lTx_kernelILi16ELb0E19rocblas_complex_numIfEPKS1_KS3_KPS1_Ev13rocblas_fill_17rocblas_diagonal_iiT2_lPT3_llSB_llPT4_lli.has_indirect_call, 0
	.section	.AMDGPU.csdata,"",@progbits
; Kernel info:
; codeLenInByte = 1404
; TotalNumSgprs: 36
; NumVgprs: 40
; ScratchSize: 0
; MemoryBound: 0
; FloatMode: 240
; IeeeMode: 1
; LDSByteSize: 4096 bytes/workgroup (compile time only)
; SGPRBlocks: 4
; VGPRBlocks: 9
; NumSGPRsForWavesPerEU: 36
; NumVGPRsForWavesPerEU: 40
; Occupancy: 6
; WaveLimiterHint : 1
; COMPUTE_PGM_RSRC2:SCRATCH_EN: 0
; COMPUTE_PGM_RSRC2:USER_SGPR: 6
; COMPUTE_PGM_RSRC2:TRAP_HANDLER: 0
; COMPUTE_PGM_RSRC2:TGID_X_EN: 1
; COMPUTE_PGM_RSRC2:TGID_Y_EN: 0
; COMPUTE_PGM_RSRC2:TGID_Z_EN: 1
; COMPUTE_PGM_RSRC2:TIDIG_COMP_CNT: 1
	.section	.text._ZL23rocblas_trmm_lTx_kernelILi16ELb0E19rocblas_complex_numIfES1_KPKS1_KPS1_Ev13rocblas_fill_17rocblas_diagonal_iiT2_lPT3_llSB_llPT4_lli,"axG",@progbits,_ZL23rocblas_trmm_lTx_kernelILi16ELb0E19rocblas_complex_numIfES1_KPKS1_KPS1_Ev13rocblas_fill_17rocblas_diagonal_iiT2_lPT3_llSB_llPT4_lli,comdat
	.globl	_ZL23rocblas_trmm_lTx_kernelILi16ELb0E19rocblas_complex_numIfES1_KPKS1_KPS1_Ev13rocblas_fill_17rocblas_diagonal_iiT2_lPT3_llSB_llPT4_lli ; -- Begin function _ZL23rocblas_trmm_lTx_kernelILi16ELb0E19rocblas_complex_numIfES1_KPKS1_KPS1_Ev13rocblas_fill_17rocblas_diagonal_iiT2_lPT3_llSB_llPT4_lli
	.p2align	8
	.type	_ZL23rocblas_trmm_lTx_kernelILi16ELb0E19rocblas_complex_numIfES1_KPKS1_KPS1_Ev13rocblas_fill_17rocblas_diagonal_iiT2_lPT3_llSB_llPT4_lli,@function
_ZL23rocblas_trmm_lTx_kernelILi16ELb0E19rocblas_complex_numIfES1_KPKS1_KPS1_Ev13rocblas_fill_17rocblas_diagonal_iiT2_lPT3_llSB_llPT4_lli: ; @_ZL23rocblas_trmm_lTx_kernelILi16ELb0E19rocblas_complex_numIfES1_KPKS1_KPS1_Ev13rocblas_fill_17rocblas_diagonal_iiT2_lPT3_llSB_llPT4_lli
; %bb.0:
	s_load_dwordx2 s[2:3], s[4:5], 0x10
	s_mov_b32 s1, 0
	s_waitcnt lgkmcnt(0)
	v_cmp_neq_f32_e64 s[8:9], s2, 0
	v_cmp_neq_f32_e64 s[10:11], s3, 0
	s_or_b64 s[8:9], s[8:9], s[10:11]
	s_andn2_b64 vcc, exec, s[8:9]
	s_cbranch_vccnz .LBB171_15
; %bb.1:
	s_load_dwordx16 s[8:23], s[4:5], 0x20
	s_load_dwordx4 s[24:27], s[4:5], 0x0
	s_mov_b32 s0, s7
	s_lshl_b64 s[30:31], s[0:1], 3
	s_mov_b32 s0, s1
	s_waitcnt lgkmcnt(0)
	s_add_u32 s8, s8, s30
	s_addc_u32 s9, s9, s31
	s_load_dwordx2 s[28:29], s[8:9], 0x0
	s_add_u32 s8, s14, s30
	s_addc_u32 s9, s15, s31
	s_load_dwordx2 s[14:15], s[8:9], 0x0
	;; [unrolled: 3-line block ×3, first 2 shown]
	v_mov_b32_e32 v6, s1
	v_lshlrev_b32_e32 v3, 4, v1
	v_mov_b32_e32 v5, s0
	v_cmp_gt_i32_e64 s[0:1], s26, v1
	v_cmp_gt_i32_e32 vcc, s26, v0
	v_add_lshl_u32 v4, v3, v0, 3
	s_and_b64 s[0:1], s[0:1], vcc
	v_lshlrev_b32_e32 v2, 3, v0
	ds_write2st64_b64 v4, v[5:6], v[5:6] offset1:4
	s_waitcnt lgkmcnt(0)
	s_barrier
	s_and_saveexec_b64 s[20:21], s[0:1]
	s_cbranch_execz .LBB171_3
; %bb.2:
	v_mad_u64_u32 v[5:6], s[0:1], s10, v1, 0
	s_lshl_b64 s[0:1], s[12:13], 3
	s_add_u32 s0, s28, s0
	v_mad_u64_u32 v[6:7], s[10:11], s11, v1, v[6:7]
	s_addc_u32 s1, s29, s1
	v_mov_b32_e32 v7, s1
	v_lshlrev_b64 v[5:6], 3, v[5:6]
	v_add_co_u32_e64 v5, s[0:1], s0, v5
	v_addc_co_u32_e64 v6, s[0:1], v7, v6, s[0:1]
	v_add_co_u32_e64 v5, s[0:1], v5, v2
	v_addc_co_u32_e64 v6, s[0:1], 0, v6, s[0:1]
	flat_load_dwordx2 v[5:6], v[5:6]
	v_lshlrev_b32_e32 v7, 3, v1
	v_lshl_add_u32 v7, v0, 7, v7
	s_waitcnt vmcnt(0) lgkmcnt(0)
	ds_write_b64 v7, v[5:6]
.LBB171_3:
	s_or_b64 exec, exec, s[20:21]
	s_add_i32 s0, s27, -1
	s_ashr_i32 s1, s0, 31
	s_lshr_b32 s1, s1, 28
	s_add_i32 s0, s0, s1
	s_ashr_i32 s1, s0, 4
	s_and_b32 s0, s0, -16
	s_sub_i32 s0, s27, s0
	s_cmp_ge_i32 s6, s1
	s_cselect_b32 s0, s0, 16
	s_lshl_b32 s12, s6, 4
	v_cmp_gt_i32_e64 s[0:1], s0, v1
	s_ashr_i32 s13, s12, 31
	s_and_b64 s[0:1], vcc, s[0:1]
	s_and_saveexec_b64 s[6:7], s[0:1]
	s_cbranch_execz .LBB171_5
; %bb.4:
	s_lshl_b64 s[10:11], s[18:19], 3
	s_add_u32 s18, s14, s10
	s_addc_u32 s19, s15, s11
	s_mul_i32 s10, s16, s13
	s_mul_hi_u32 s11, s16, s12
	s_add_i32 s14, s11, s10
	v_mad_u64_u32 v[5:6], s[10:11], s16, v1, 0
	s_mul_i32 s10, s17, s12
	s_add_i32 s11, s14, s10
	v_mad_u64_u32 v[6:7], s[14:15], s17, v1, v[6:7]
	s_mul_i32 s10, s16, s12
	s_lshl_b64 s[10:11], s[10:11], 3
	s_add_u32 s10, s18, s10
	v_lshlrev_b64 v[5:6], 3, v[5:6]
	s_addc_u32 s11, s19, s11
	v_mov_b32_e32 v7, s11
	v_add_co_u32_e32 v5, vcc, s10, v5
	v_addc_co_u32_e32 v6, vcc, v7, v6, vcc
	v_add_co_u32_e32 v5, vcc, v5, v2
	v_addc_co_u32_e32 v6, vcc, 0, v6, vcc
	flat_load_dwordx2 v[5:6], v[5:6]
	v_add_u32_e32 v7, 0x800, v4
	s_waitcnt vmcnt(0) lgkmcnt(0)
	ds_write_b64 v7, v[5:6]
.LBB171_5:
	s_or_b64 exec, exec, s[6:7]
	s_cmpk_eq_i32 s25, 0x84
	s_cselect_b64 s[6:7], -1, 0
	v_cmp_eq_u32_e32 vcc, v1, v0
	s_and_b64 s[10:11], vcc, s[6:7]
	s_and_saveexec_b64 s[6:7], s[10:11]
; %bb.6:
	v_mov_b32_e32 v5, 1.0
	v_mov_b32_e32 v6, 0
	ds_write_b64 v4, v[5:6]
; %bb.7:
	s_or_b64 exec, exec, s[6:7]
	s_cmpk_lg_i32 s24, 0x7a
	s_waitcnt lgkmcnt(0)
	s_barrier
	s_cbranch_scc0 .LBB171_9
; %bb.8:
	v_cmp_lt_u32_e32 vcc, v0, v1
	s_and_b64 s[6:7], vcc, exec
	s_cbranch_execz .LBB171_10
	s_branch .LBB171_11
.LBB171_9:
	s_mov_b64 s[6:7], 0
.LBB171_10:
	v_cmp_gt_u32_e32 vcc, v0, v1
	s_andn2_b64 s[6:7], s[6:7], exec
	s_and_b64 s[10:11], vcc, exec
	s_or_b64 s[6:7], s[6:7], s[10:11]
.LBB171_11:
	s_and_saveexec_b64 s[10:11], s[6:7]
; %bb.12:
	v_mov_b32_e32 v5, 0
	v_mov_b32_e32 v6, v5
	ds_write_b64 v4, v[5:6]
; %bb.13:
	s_or_b64 exec, exec, s[10:11]
	s_waitcnt lgkmcnt(0)
	s_barrier
	s_and_saveexec_b64 s[6:7], s[0:1]
	s_cbranch_execz .LBB171_15
; %bb.14:
	v_lshlrev_b32_e32 v0, 3, v3
	ds_read2_b64 v[3:6], v2 offset1:16
	ds_read_b128 v[7:10], v0 offset:2048
	ds_read_b128 v[11:14], v0 offset:2064
	ds_read2_b64 v[15:18], v2 offset0:32 offset1:48
	s_load_dwordx2 s[0:1], s[4:5], 0x60
	s_waitcnt lgkmcnt(0)
	v_mul_f32_e32 v19, v7, v4
	v_mul_f32_e32 v4, v8, v4
	;; [unrolled: 1-line block ×3, first 2 shown]
	v_fmac_f32_e32 v19, v8, v3
	v_fma_f32 v21, v7, v3, -v4
	v_mul_f32_e32 v3, v10, v6
	v_fmac_f32_e32 v20, v10, v5
	v_fma_f32 v22, v9, v5, -v3
	ds_read2_b64 v[3:6], v2 offset0:64 offset1:80
	ds_read_b128 v[7:10], v0 offset:2080
	v_mul_f32_e32 v23, v11, v16
	v_fmac_f32_e32 v23, v12, v15
	v_mul_f32_e32 v12, v12, v16
	v_mul_f32_e32 v24, v13, v18
	v_fma_f32 v25, v11, v15, -v12
	v_mul_f32_e32 v11, v14, v18
	v_fmac_f32_e32 v24, v14, v17
	v_fma_f32 v26, v13, v17, -v11
	ds_read_b128 v[11:14], v0 offset:2096
	ds_read2_b64 v[15:18], v2 offset0:96 offset1:112
	s_waitcnt lgkmcnt(2)
	v_mul_f32_e32 v27, v7, v4
	v_mul_f32_e32 v4, v8, v4
	v_fmac_f32_e32 v27, v8, v3
	v_mul_f32_e32 v28, v9, v6
	v_fma_f32 v29, v7, v3, -v4
	v_mul_f32_e32 v3, v10, v6
	v_fmac_f32_e32 v28, v10, v5
	v_fma_f32 v30, v9, v5, -v3
	ds_read2_b64 v[3:6], v2 offset0:128 offset1:144
	ds_read_b128 v[7:10], v0 offset:2112
	s_waitcnt lgkmcnt(2)
	v_mul_f32_e32 v31, v11, v16
	v_fmac_f32_e32 v31, v12, v15
	v_mul_f32_e32 v12, v12, v16
	v_mul_f32_e32 v32, v13, v18
	v_fma_f32 v15, v11, v15, -v12
	v_mul_f32_e32 v11, v14, v18
	v_fmac_f32_e32 v32, v14, v17
	v_fma_f32 v16, v13, v17, -v11
	s_waitcnt lgkmcnt(0)
	v_mul_f32_e32 v17, v7, v4
	v_mul_f32_e32 v4, v8, v4
	v_fmac_f32_e32 v17, v8, v3
	v_mul_f32_e32 v18, v9, v6
	v_fma_f32 v33, v7, v3, -v4
	v_mul_f32_e32 v3, v10, v6
	ds_read_b128 v[11:14], v0 offset:2128
	v_fmac_f32_e32 v18, v10, v5
	v_fma_f32 v34, v9, v5, -v3
	ds_read2_b64 v[3:6], v2 offset0:160 offset1:176
	s_lshl_b64 s[0:1], s[0:1], 3
	s_add_u32 s4, s8, s0
	s_addc_u32 s5, s9, s1
	s_mul_i32 s0, s22, s13
	s_waitcnt lgkmcnt(0)
	v_mul_f32_e32 v35, v11, v4
	v_mul_f32_e32 v4, v12, v4
	v_fmac_f32_e32 v35, v12, v3
	v_mul_f32_e32 v36, v13, v6
	v_fma_f32 v37, v11, v3, -v4
	v_mul_f32_e32 v3, v14, v6
	v_fmac_f32_e32 v36, v14, v5
	v_fma_f32 v38, v13, v5, -v3
	ds_read2_b64 v[3:6], v2 offset0:192 offset1:208
	ds_read_b128 v[7:10], v0 offset:2144
	ds_read_b128 v[11:14], v0 offset:2160
	s_mul_hi_u32 s1, s22, s12
	s_add_i32 s0, s1, s0
	s_mul_i32 s1, s23, s12
	s_waitcnt lgkmcnt(1)
	v_mul_f32_e32 v0, v7, v4
	v_mul_f32_e32 v4, v8, v4
	v_fmac_f32_e32 v0, v8, v3
	v_fma_f32 v7, v7, v3, -v4
	v_mul_f32_e32 v3, v10, v6
	v_fma_f32 v8, v9, v5, -v3
	v_add_f32_e32 v3, 0, v19
	v_add_f32_e32 v3, v3, v20
	;; [unrolled: 1-line block ×8, first 2 shown]
	v_mul_f32_e32 v39, v9, v6
	v_add_f32_e32 v3, v3, v17
	v_fmac_f32_e32 v39, v10, v5
	v_add_f32_e32 v9, v3, v18
	ds_read2_b64 v[3:6], v2 offset0:224 offset1:240
	v_add_f32_e32 v9, v9, v35
	v_add_f32_e32 v9, v9, v36
	;; [unrolled: 1-line block ×4, first 2 shown]
	s_waitcnt lgkmcnt(0)
	v_mul_f32_e32 v9, v11, v4
	v_fmac_f32_e32 v9, v12, v3
	v_add_f32_e32 v0, v0, v9
	v_mul_f32_e32 v9, v13, v6
	v_fmac_f32_e32 v9, v14, v5
	v_add_f32_e32 v9, v0, v9
	v_add_f32_e32 v0, 0, v21
	;; [unrolled: 1-line block ×12, first 2 shown]
	s_add_i32 s1, s0, s1
	s_mul_i32 s0, s22, s12
	v_add_f32_e32 v0, v0, v38
	s_lshl_b64 s[0:1], s[0:1], 3
	v_add_f32_e32 v0, v0, v7
	v_mul_f32_e32 v4, v12, v4
	s_add_u32 s4, s4, s0
	v_add_f32_e32 v0, v0, v8
	v_fma_f32 v3, v11, v3, -v4
	s_addc_u32 s5, s5, s1
	v_add_f32_e32 v0, v0, v3
	v_mad_u64_u32 v[3:4], s[0:1], s22, v1, 0
	v_mul_f32_e32 v6, v14, v6
	v_fma_f32 v5, v13, v5, -v6
	v_add_f32_e32 v5, v0, v5
	v_mov_b32_e32 v0, v4
	v_mad_u64_u32 v[0:1], s[0:1], s23, v1, v[0:1]
	v_mul_f32_e32 v6, s2, v9
	v_mul_f32_e32 v1, s3, v9
	v_mov_b32_e32 v4, v0
	v_fmac_f32_e32 v6, s3, v5
	v_fma_f32 v5, s2, v5, -v1
	v_lshlrev_b64 v[0:1], 3, v[3:4]
	v_mov_b32_e32 v3, s5
	v_add_co_u32_e32 v0, vcc, s4, v0
	v_addc_co_u32_e32 v1, vcc, v3, v1, vcc
	v_add_co_u32_e32 v0, vcc, v0, v2
	v_addc_co_u32_e32 v1, vcc, 0, v1, vcc
	flat_store_dwordx2 v[0:1], v[5:6]
.LBB171_15:
	s_endpgm
	.section	.rodata,"a",@progbits
	.p2align	6, 0x0
	.amdhsa_kernel _ZL23rocblas_trmm_lTx_kernelILi16ELb0E19rocblas_complex_numIfES1_KPKS1_KPS1_Ev13rocblas_fill_17rocblas_diagonal_iiT2_lPT3_llSB_llPT4_lli
		.amdhsa_group_segment_fixed_size 4096
		.amdhsa_private_segment_fixed_size 0
		.amdhsa_kernarg_size 108
		.amdhsa_user_sgpr_count 6
		.amdhsa_user_sgpr_private_segment_buffer 1
		.amdhsa_user_sgpr_dispatch_ptr 0
		.amdhsa_user_sgpr_queue_ptr 0
		.amdhsa_user_sgpr_kernarg_segment_ptr 1
		.amdhsa_user_sgpr_dispatch_id 0
		.amdhsa_user_sgpr_flat_scratch_init 0
		.amdhsa_user_sgpr_private_segment_size 0
		.amdhsa_uses_dynamic_stack 0
		.amdhsa_system_sgpr_private_segment_wavefront_offset 0
		.amdhsa_system_sgpr_workgroup_id_x 1
		.amdhsa_system_sgpr_workgroup_id_y 0
		.amdhsa_system_sgpr_workgroup_id_z 1
		.amdhsa_system_sgpr_workgroup_info 0
		.amdhsa_system_vgpr_workitem_id 1
		.amdhsa_next_free_vgpr 40
		.amdhsa_next_free_sgpr 32
		.amdhsa_reserve_vcc 1
		.amdhsa_reserve_flat_scratch 0
		.amdhsa_float_round_mode_32 0
		.amdhsa_float_round_mode_16_64 0
		.amdhsa_float_denorm_mode_32 3
		.amdhsa_float_denorm_mode_16_64 3
		.amdhsa_dx10_clamp 1
		.amdhsa_ieee_mode 1
		.amdhsa_fp16_overflow 0
		.amdhsa_exception_fp_ieee_invalid_op 0
		.amdhsa_exception_fp_denorm_src 0
		.amdhsa_exception_fp_ieee_div_zero 0
		.amdhsa_exception_fp_ieee_overflow 0
		.amdhsa_exception_fp_ieee_underflow 0
		.amdhsa_exception_fp_ieee_inexact 0
		.amdhsa_exception_int_div_zero 0
	.end_amdhsa_kernel
	.section	.text._ZL23rocblas_trmm_lTx_kernelILi16ELb0E19rocblas_complex_numIfES1_KPKS1_KPS1_Ev13rocblas_fill_17rocblas_diagonal_iiT2_lPT3_llSB_llPT4_lli,"axG",@progbits,_ZL23rocblas_trmm_lTx_kernelILi16ELb0E19rocblas_complex_numIfES1_KPKS1_KPS1_Ev13rocblas_fill_17rocblas_diagonal_iiT2_lPT3_llSB_llPT4_lli,comdat
.Lfunc_end171:
	.size	_ZL23rocblas_trmm_lTx_kernelILi16ELb0E19rocblas_complex_numIfES1_KPKS1_KPS1_Ev13rocblas_fill_17rocblas_diagonal_iiT2_lPT3_llSB_llPT4_lli, .Lfunc_end171-_ZL23rocblas_trmm_lTx_kernelILi16ELb0E19rocblas_complex_numIfES1_KPKS1_KPS1_Ev13rocblas_fill_17rocblas_diagonal_iiT2_lPT3_llSB_llPT4_lli
                                        ; -- End function
	.set _ZL23rocblas_trmm_lTx_kernelILi16ELb0E19rocblas_complex_numIfES1_KPKS1_KPS1_Ev13rocblas_fill_17rocblas_diagonal_iiT2_lPT3_llSB_llPT4_lli.num_vgpr, 40
	.set _ZL23rocblas_trmm_lTx_kernelILi16ELb0E19rocblas_complex_numIfES1_KPKS1_KPS1_Ev13rocblas_fill_17rocblas_diagonal_iiT2_lPT3_llSB_llPT4_lli.num_agpr, 0
	.set _ZL23rocblas_trmm_lTx_kernelILi16ELb0E19rocblas_complex_numIfES1_KPKS1_KPS1_Ev13rocblas_fill_17rocblas_diagonal_iiT2_lPT3_llSB_llPT4_lli.numbered_sgpr, 32
	.set _ZL23rocblas_trmm_lTx_kernelILi16ELb0E19rocblas_complex_numIfES1_KPKS1_KPS1_Ev13rocblas_fill_17rocblas_diagonal_iiT2_lPT3_llSB_llPT4_lli.num_named_barrier, 0
	.set _ZL23rocblas_trmm_lTx_kernelILi16ELb0E19rocblas_complex_numIfES1_KPKS1_KPS1_Ev13rocblas_fill_17rocblas_diagonal_iiT2_lPT3_llSB_llPT4_lli.private_seg_size, 0
	.set _ZL23rocblas_trmm_lTx_kernelILi16ELb0E19rocblas_complex_numIfES1_KPKS1_KPS1_Ev13rocblas_fill_17rocblas_diagonal_iiT2_lPT3_llSB_llPT4_lli.uses_vcc, 1
	.set _ZL23rocblas_trmm_lTx_kernelILi16ELb0E19rocblas_complex_numIfES1_KPKS1_KPS1_Ev13rocblas_fill_17rocblas_diagonal_iiT2_lPT3_llSB_llPT4_lli.uses_flat_scratch, 0
	.set _ZL23rocblas_trmm_lTx_kernelILi16ELb0E19rocblas_complex_numIfES1_KPKS1_KPS1_Ev13rocblas_fill_17rocblas_diagonal_iiT2_lPT3_llSB_llPT4_lli.has_dyn_sized_stack, 0
	.set _ZL23rocblas_trmm_lTx_kernelILi16ELb0E19rocblas_complex_numIfES1_KPKS1_KPS1_Ev13rocblas_fill_17rocblas_diagonal_iiT2_lPT3_llSB_llPT4_lli.has_recursion, 0
	.set _ZL23rocblas_trmm_lTx_kernelILi16ELb0E19rocblas_complex_numIfES1_KPKS1_KPS1_Ev13rocblas_fill_17rocblas_diagonal_iiT2_lPT3_llSB_llPT4_lli.has_indirect_call, 0
	.section	.AMDGPU.csdata,"",@progbits
; Kernel info:
; codeLenInByte = 1364
; TotalNumSgprs: 36
; NumVgprs: 40
; ScratchSize: 0
; MemoryBound: 0
; FloatMode: 240
; IeeeMode: 1
; LDSByteSize: 4096 bytes/workgroup (compile time only)
; SGPRBlocks: 4
; VGPRBlocks: 9
; NumSGPRsForWavesPerEU: 36
; NumVGPRsForWavesPerEU: 40
; Occupancy: 6
; WaveLimiterHint : 1
; COMPUTE_PGM_RSRC2:SCRATCH_EN: 0
; COMPUTE_PGM_RSRC2:USER_SGPR: 6
; COMPUTE_PGM_RSRC2:TRAP_HANDLER: 0
; COMPUTE_PGM_RSRC2:TGID_X_EN: 1
; COMPUTE_PGM_RSRC2:TGID_Y_EN: 0
; COMPUTE_PGM_RSRC2:TGID_Z_EN: 1
; COMPUTE_PGM_RSRC2:TIDIG_COMP_CNT: 1
	.section	.text._ZL23rocblas_trmm_lTx_kernelILi16ELb1E19rocblas_complex_numIfEPKS1_KS3_KPS1_Ev13rocblas_fill_17rocblas_diagonal_iiT2_lPT3_llSB_llPT4_lli,"axG",@progbits,_ZL23rocblas_trmm_lTx_kernelILi16ELb1E19rocblas_complex_numIfEPKS1_KS3_KPS1_Ev13rocblas_fill_17rocblas_diagonal_iiT2_lPT3_llSB_llPT4_lli,comdat
	.globl	_ZL23rocblas_trmm_lTx_kernelILi16ELb1E19rocblas_complex_numIfEPKS1_KS3_KPS1_Ev13rocblas_fill_17rocblas_diagonal_iiT2_lPT3_llSB_llPT4_lli ; -- Begin function _ZL23rocblas_trmm_lTx_kernelILi16ELb1E19rocblas_complex_numIfEPKS1_KS3_KPS1_Ev13rocblas_fill_17rocblas_diagonal_iiT2_lPT3_llSB_llPT4_lli
	.p2align	8
	.type	_ZL23rocblas_trmm_lTx_kernelILi16ELb1E19rocblas_complex_numIfEPKS1_KS3_KPS1_Ev13rocblas_fill_17rocblas_diagonal_iiT2_lPT3_llSB_llPT4_lli,@function
_ZL23rocblas_trmm_lTx_kernelILi16ELb1E19rocblas_complex_numIfEPKS1_KS3_KPS1_Ev13rocblas_fill_17rocblas_diagonal_iiT2_lPT3_llSB_llPT4_lli: ; @_ZL23rocblas_trmm_lTx_kernelILi16ELb1E19rocblas_complex_numIfEPKS1_KS3_KPS1_Ev13rocblas_fill_17rocblas_diagonal_iiT2_lPT3_llSB_llPT4_lli
; %bb.0:
	s_load_dwordx16 s[8:23], s[4:5], 0x10
	s_mov_b32 s27, 0
	s_waitcnt lgkmcnt(0)
	s_mul_i32 s0, s11, s7
	s_mul_hi_u32 s1, s10, s7
	s_add_i32 s1, s1, s0
	s_mul_i32 s0, s10, s7
	s_lshl_b64 s[0:1], s[0:1], 3
	s_add_u32 s0, s8, s0
	s_addc_u32 s1, s9, s1
	s_load_dwordx2 s[24:25], s[0:1], 0x0
	s_waitcnt lgkmcnt(0)
	v_cmp_neq_f32_e64 s[0:1], s24, 0
	v_cmp_neq_f32_e64 s[2:3], s25, 0
	s_or_b64 s[0:1], s[0:1], s[2:3]
	s_andn2_b64 vcc, exec, s[0:1]
	s_cbranch_vccnz .LBB172_15
; %bb.1:
	s_mov_b32 s26, s7
	s_load_dwordx4 s[8:11], s[4:5], 0x0
	s_load_dwordx4 s[0:3], s[4:5], 0x50
	s_lshl_b64 s[30:31], s[26:27], 3
	s_add_u32 s12, s12, s30
	s_addc_u32 s13, s13, s31
	s_load_dwordx2 s[28:29], s[12:13], 0x0
	s_add_u32 s12, s18, s30
	s_addc_u32 s13, s19, s31
	s_waitcnt lgkmcnt(0)
	s_add_u32 s0, s0, s30
	s_addc_u32 s1, s1, s31
	s_load_dwordx2 s[18:19], s[12:13], 0x0
	s_mov_b32 s26, s27
	s_load_dwordx2 s[12:13], s[0:1], 0x0
	v_lshlrev_b32_e32 v3, 4, v1
	v_mov_b32_e32 v5, s26
	v_cmp_gt_i32_e64 s[0:1], s10, v1
	v_cmp_gt_i32_e32 vcc, s10, v0
	v_add_lshl_u32 v4, v3, v0, 3
	v_mov_b32_e32 v6, s27
	s_and_b64 s[0:1], s[0:1], vcc
	v_lshlrev_b32_e32 v2, 3, v0
	ds_write2st64_b64 v4, v[5:6], v[5:6] offset1:4
	s_waitcnt lgkmcnt(0)
	s_barrier
	s_and_saveexec_b64 s[26:27], s[0:1]
	s_cbranch_execz .LBB172_3
; %bb.2:
	v_mad_u64_u32 v[5:6], s[0:1], s14, v1, 0
	s_lshl_b64 s[0:1], s[16:17], 3
	s_add_u32 s0, s28, s0
	v_mad_u64_u32 v[6:7], s[14:15], s15, v1, v[6:7]
	s_addc_u32 s1, s29, s1
	v_mov_b32_e32 v7, s1
	v_lshlrev_b64 v[5:6], 3, v[5:6]
	v_add_co_u32_e64 v5, s[0:1], s0, v5
	v_addc_co_u32_e64 v6, s[0:1], v7, v6, s[0:1]
	v_add_co_u32_e64 v5, s[0:1], v5, v2
	v_addc_co_u32_e64 v6, s[0:1], 0, v6, s[0:1]
	flat_load_dwordx2 v[5:6], v[5:6]
	v_lshlrev_b32_e32 v7, 3, v1
	v_lshl_add_u32 v7, v0, 7, v7
	s_waitcnt vmcnt(0) lgkmcnt(0)
	v_xor_b32_e32 v6, 0x80000000, v6
	ds_write_b64 v7, v[5:6]
.LBB172_3:
	s_or_b64 exec, exec, s[26:27]
	s_add_i32 s0, s11, -1
	s_ashr_i32 s1, s0, 31
	s_lshr_b32 s1, s1, 28
	s_add_i32 s0, s0, s1
	s_ashr_i32 s1, s0, 4
	s_and_b32 s0, s0, -16
	s_sub_i32 s0, s11, s0
	s_cmp_ge_i32 s6, s1
	s_cselect_b32 s0, s0, 16
	s_lshl_b32 s10, s6, 4
	v_cmp_gt_i32_e64 s[0:1], s0, v1
	s_ashr_i32 s11, s10, 31
	s_and_b64 s[0:1], vcc, s[0:1]
	s_and_saveexec_b64 s[6:7], s[0:1]
	s_cbranch_execz .LBB172_5
; %bb.4:
	s_lshl_b64 s[14:15], s[22:23], 3
	s_add_u32 s18, s18, s14
	s_addc_u32 s19, s19, s15
	s_mul_i32 s14, s20, s11
	s_mul_hi_u32 s15, s20, s10
	s_add_i32 s16, s15, s14
	v_mad_u64_u32 v[5:6], s[14:15], s20, v1, 0
	s_mul_i32 s14, s21, s10
	s_add_i32 s15, s16, s14
	v_mad_u64_u32 v[6:7], s[16:17], s21, v1, v[6:7]
	s_mul_i32 s14, s20, s10
	s_lshl_b64 s[14:15], s[14:15], 3
	s_add_u32 s14, s18, s14
	v_lshlrev_b64 v[5:6], 3, v[5:6]
	s_addc_u32 s15, s19, s15
	v_mov_b32_e32 v7, s15
	v_add_co_u32_e32 v5, vcc, s14, v5
	v_addc_co_u32_e32 v6, vcc, v7, v6, vcc
	v_add_co_u32_e32 v5, vcc, v5, v2
	v_addc_co_u32_e32 v6, vcc, 0, v6, vcc
	flat_load_dwordx2 v[5:6], v[5:6]
	v_add_u32_e32 v7, 0x800, v4
	s_waitcnt vmcnt(0) lgkmcnt(0)
	ds_write_b64 v7, v[5:6]
.LBB172_5:
	s_or_b64 exec, exec, s[6:7]
	s_cmpk_eq_i32 s9, 0x84
	s_cselect_b64 s[6:7], -1, 0
	v_cmp_eq_u32_e32 vcc, v1, v0
	s_and_b64 s[14:15], vcc, s[6:7]
	s_and_saveexec_b64 s[6:7], s[14:15]
; %bb.6:
	v_mov_b32_e32 v5, 1.0
	v_mov_b32_e32 v6, 0
	ds_write_b64 v4, v[5:6]
; %bb.7:
	s_or_b64 exec, exec, s[6:7]
	s_cmpk_lg_i32 s8, 0x7a
	s_waitcnt lgkmcnt(0)
	s_barrier
	s_cbranch_scc0 .LBB172_9
; %bb.8:
	v_cmp_lt_u32_e32 vcc, v0, v1
	s_and_b64 s[6:7], vcc, exec
	s_cbranch_execz .LBB172_10
	s_branch .LBB172_11
.LBB172_9:
	s_mov_b64 s[6:7], 0
.LBB172_10:
	v_cmp_gt_u32_e32 vcc, v0, v1
	s_andn2_b64 s[6:7], s[6:7], exec
	s_and_b64 s[8:9], vcc, exec
	s_or_b64 s[6:7], s[6:7], s[8:9]
.LBB172_11:
	s_and_saveexec_b64 s[8:9], s[6:7]
; %bb.12:
	v_mov_b32_e32 v5, 0
	v_mov_b32_e32 v6, v5
	ds_write_b64 v4, v[5:6]
; %bb.13:
	s_or_b64 exec, exec, s[8:9]
	s_waitcnt lgkmcnt(0)
	s_barrier
	s_and_saveexec_b64 s[6:7], s[0:1]
	s_cbranch_execz .LBB172_15
; %bb.14:
	v_lshlrev_b32_e32 v0, 3, v3
	ds_read2_b64 v[3:6], v2 offset1:16
	ds_read_b128 v[7:10], v0 offset:2048
	ds_read_b128 v[11:14], v0 offset:2064
	ds_read2_b64 v[15:18], v2 offset0:32 offset1:48
	s_load_dwordx2 s[0:1], s[4:5], 0x60
	s_waitcnt lgkmcnt(0)
	v_mul_f32_e32 v19, v7, v4
	v_mul_f32_e32 v4, v8, v4
	;; [unrolled: 1-line block ×3, first 2 shown]
	v_fmac_f32_e32 v19, v8, v3
	v_fma_f32 v21, v7, v3, -v4
	v_mul_f32_e32 v3, v10, v6
	v_fmac_f32_e32 v20, v10, v5
	v_fma_f32 v22, v9, v5, -v3
	ds_read2_b64 v[3:6], v2 offset0:64 offset1:80
	ds_read_b128 v[7:10], v0 offset:2080
	v_mul_f32_e32 v23, v11, v16
	v_fmac_f32_e32 v23, v12, v15
	v_mul_f32_e32 v12, v12, v16
	v_mul_f32_e32 v24, v13, v18
	v_fma_f32 v25, v11, v15, -v12
	v_mul_f32_e32 v11, v14, v18
	v_fmac_f32_e32 v24, v14, v17
	v_fma_f32 v26, v13, v17, -v11
	ds_read_b128 v[11:14], v0 offset:2096
	ds_read2_b64 v[15:18], v2 offset0:96 offset1:112
	s_waitcnt lgkmcnt(2)
	v_mul_f32_e32 v27, v7, v4
	v_mul_f32_e32 v4, v8, v4
	v_fmac_f32_e32 v27, v8, v3
	v_mul_f32_e32 v28, v9, v6
	v_fma_f32 v29, v7, v3, -v4
	v_mul_f32_e32 v3, v10, v6
	v_fmac_f32_e32 v28, v10, v5
	v_fma_f32 v30, v9, v5, -v3
	ds_read2_b64 v[3:6], v2 offset0:128 offset1:144
	ds_read_b128 v[7:10], v0 offset:2112
	s_waitcnt lgkmcnt(2)
	v_mul_f32_e32 v31, v11, v16
	v_fmac_f32_e32 v31, v12, v15
	v_mul_f32_e32 v12, v12, v16
	v_mul_f32_e32 v32, v13, v18
	v_fma_f32 v15, v11, v15, -v12
	v_mul_f32_e32 v11, v14, v18
	v_fmac_f32_e32 v32, v14, v17
	v_fma_f32 v16, v13, v17, -v11
	s_waitcnt lgkmcnt(0)
	v_mul_f32_e32 v17, v7, v4
	v_mul_f32_e32 v4, v8, v4
	v_fmac_f32_e32 v17, v8, v3
	v_mul_f32_e32 v18, v9, v6
	v_fma_f32 v33, v7, v3, -v4
	v_mul_f32_e32 v3, v10, v6
	ds_read_b128 v[11:14], v0 offset:2128
	v_fmac_f32_e32 v18, v10, v5
	v_fma_f32 v34, v9, v5, -v3
	ds_read2_b64 v[3:6], v2 offset0:160 offset1:176
	s_lshl_b64 s[0:1], s[0:1], 3
	s_add_u32 s4, s12, s0
	s_addc_u32 s5, s13, s1
	s_mul_i32 s0, s2, s11
	s_waitcnt lgkmcnt(0)
	v_mul_f32_e32 v35, v11, v4
	v_mul_f32_e32 v4, v12, v4
	v_fmac_f32_e32 v35, v12, v3
	v_mul_f32_e32 v36, v13, v6
	v_fma_f32 v37, v11, v3, -v4
	v_mul_f32_e32 v3, v14, v6
	v_fmac_f32_e32 v36, v14, v5
	v_fma_f32 v38, v13, v5, -v3
	ds_read2_b64 v[3:6], v2 offset0:192 offset1:208
	ds_read_b128 v[7:10], v0 offset:2144
	ds_read_b128 v[11:14], v0 offset:2160
	s_mul_hi_u32 s1, s2, s10
	s_add_i32 s0, s1, s0
	s_mul_i32 s1, s3, s10
	s_waitcnt lgkmcnt(1)
	v_mul_f32_e32 v0, v7, v4
	v_mul_f32_e32 v4, v8, v4
	v_fmac_f32_e32 v0, v8, v3
	v_fma_f32 v7, v7, v3, -v4
	v_mul_f32_e32 v3, v10, v6
	v_fma_f32 v8, v9, v5, -v3
	v_add_f32_e32 v3, 0, v19
	v_add_f32_e32 v3, v3, v20
	;; [unrolled: 1-line block ×8, first 2 shown]
	v_mul_f32_e32 v39, v9, v6
	v_add_f32_e32 v3, v3, v17
	v_fmac_f32_e32 v39, v10, v5
	v_add_f32_e32 v9, v3, v18
	ds_read2_b64 v[3:6], v2 offset0:224 offset1:240
	v_add_f32_e32 v9, v9, v35
	v_add_f32_e32 v9, v9, v36
	;; [unrolled: 1-line block ×4, first 2 shown]
	s_waitcnt lgkmcnt(0)
	v_mul_f32_e32 v9, v11, v4
	v_fmac_f32_e32 v9, v12, v3
	v_add_f32_e32 v0, v0, v9
	v_mul_f32_e32 v9, v13, v6
	v_fmac_f32_e32 v9, v14, v5
	v_add_f32_e32 v9, v0, v9
	v_add_f32_e32 v0, 0, v21
	;; [unrolled: 1-line block ×12, first 2 shown]
	s_add_i32 s1, s0, s1
	s_mul_i32 s0, s2, s10
	v_add_f32_e32 v0, v0, v38
	s_lshl_b64 s[0:1], s[0:1], 3
	v_add_f32_e32 v0, v0, v7
	v_mul_f32_e32 v4, v12, v4
	s_add_u32 s4, s4, s0
	v_add_f32_e32 v0, v0, v8
	v_fma_f32 v3, v11, v3, -v4
	s_addc_u32 s5, s5, s1
	v_add_f32_e32 v0, v0, v3
	v_mad_u64_u32 v[3:4], s[0:1], s2, v1, 0
	v_mul_f32_e32 v6, v14, v6
	v_fma_f32 v5, v13, v5, -v6
	v_add_f32_e32 v5, v0, v5
	v_mov_b32_e32 v0, v4
	v_mad_u64_u32 v[0:1], s[0:1], s3, v1, v[0:1]
	v_mul_f32_e32 v6, s24, v9
	v_mul_f32_e32 v1, s25, v9
	v_mov_b32_e32 v4, v0
	v_fmac_f32_e32 v6, s25, v5
	v_fma_f32 v5, s24, v5, -v1
	v_lshlrev_b64 v[0:1], 3, v[3:4]
	v_mov_b32_e32 v3, s5
	v_add_co_u32_e32 v0, vcc, s4, v0
	v_addc_co_u32_e32 v1, vcc, v3, v1, vcc
	v_add_co_u32_e32 v0, vcc, v0, v2
	v_addc_co_u32_e32 v1, vcc, 0, v1, vcc
	flat_store_dwordx2 v[0:1], v[5:6]
.LBB172_15:
	s_endpgm
	.section	.rodata,"a",@progbits
	.p2align	6, 0x0
	.amdhsa_kernel _ZL23rocblas_trmm_lTx_kernelILi16ELb1E19rocblas_complex_numIfEPKS1_KS3_KPS1_Ev13rocblas_fill_17rocblas_diagonal_iiT2_lPT3_llSB_llPT4_lli
		.amdhsa_group_segment_fixed_size 4096
		.amdhsa_private_segment_fixed_size 0
		.amdhsa_kernarg_size 108
		.amdhsa_user_sgpr_count 6
		.amdhsa_user_sgpr_private_segment_buffer 1
		.amdhsa_user_sgpr_dispatch_ptr 0
		.amdhsa_user_sgpr_queue_ptr 0
		.amdhsa_user_sgpr_kernarg_segment_ptr 1
		.amdhsa_user_sgpr_dispatch_id 0
		.amdhsa_user_sgpr_flat_scratch_init 0
		.amdhsa_user_sgpr_private_segment_size 0
		.amdhsa_uses_dynamic_stack 0
		.amdhsa_system_sgpr_private_segment_wavefront_offset 0
		.amdhsa_system_sgpr_workgroup_id_x 1
		.amdhsa_system_sgpr_workgroup_id_y 0
		.amdhsa_system_sgpr_workgroup_id_z 1
		.amdhsa_system_sgpr_workgroup_info 0
		.amdhsa_system_vgpr_workitem_id 1
		.amdhsa_next_free_vgpr 40
		.amdhsa_next_free_sgpr 32
		.amdhsa_reserve_vcc 1
		.amdhsa_reserve_flat_scratch 0
		.amdhsa_float_round_mode_32 0
		.amdhsa_float_round_mode_16_64 0
		.amdhsa_float_denorm_mode_32 3
		.amdhsa_float_denorm_mode_16_64 3
		.amdhsa_dx10_clamp 1
		.amdhsa_ieee_mode 1
		.amdhsa_fp16_overflow 0
		.amdhsa_exception_fp_ieee_invalid_op 0
		.amdhsa_exception_fp_denorm_src 0
		.amdhsa_exception_fp_ieee_div_zero 0
		.amdhsa_exception_fp_ieee_overflow 0
		.amdhsa_exception_fp_ieee_underflow 0
		.amdhsa_exception_fp_ieee_inexact 0
		.amdhsa_exception_int_div_zero 0
	.end_amdhsa_kernel
	.section	.text._ZL23rocblas_trmm_lTx_kernelILi16ELb1E19rocblas_complex_numIfEPKS1_KS3_KPS1_Ev13rocblas_fill_17rocblas_diagonal_iiT2_lPT3_llSB_llPT4_lli,"axG",@progbits,_ZL23rocblas_trmm_lTx_kernelILi16ELb1E19rocblas_complex_numIfEPKS1_KS3_KPS1_Ev13rocblas_fill_17rocblas_diagonal_iiT2_lPT3_llSB_llPT4_lli,comdat
.Lfunc_end172:
	.size	_ZL23rocblas_trmm_lTx_kernelILi16ELb1E19rocblas_complex_numIfEPKS1_KS3_KPS1_Ev13rocblas_fill_17rocblas_diagonal_iiT2_lPT3_llSB_llPT4_lli, .Lfunc_end172-_ZL23rocblas_trmm_lTx_kernelILi16ELb1E19rocblas_complex_numIfEPKS1_KS3_KPS1_Ev13rocblas_fill_17rocblas_diagonal_iiT2_lPT3_llSB_llPT4_lli
                                        ; -- End function
	.set _ZL23rocblas_trmm_lTx_kernelILi16ELb1E19rocblas_complex_numIfEPKS1_KS3_KPS1_Ev13rocblas_fill_17rocblas_diagonal_iiT2_lPT3_llSB_llPT4_lli.num_vgpr, 40
	.set _ZL23rocblas_trmm_lTx_kernelILi16ELb1E19rocblas_complex_numIfEPKS1_KS3_KPS1_Ev13rocblas_fill_17rocblas_diagonal_iiT2_lPT3_llSB_llPT4_lli.num_agpr, 0
	.set _ZL23rocblas_trmm_lTx_kernelILi16ELb1E19rocblas_complex_numIfEPKS1_KS3_KPS1_Ev13rocblas_fill_17rocblas_diagonal_iiT2_lPT3_llSB_llPT4_lli.numbered_sgpr, 32
	.set _ZL23rocblas_trmm_lTx_kernelILi16ELb1E19rocblas_complex_numIfEPKS1_KS3_KPS1_Ev13rocblas_fill_17rocblas_diagonal_iiT2_lPT3_llSB_llPT4_lli.num_named_barrier, 0
	.set _ZL23rocblas_trmm_lTx_kernelILi16ELb1E19rocblas_complex_numIfEPKS1_KS3_KPS1_Ev13rocblas_fill_17rocblas_diagonal_iiT2_lPT3_llSB_llPT4_lli.private_seg_size, 0
	.set _ZL23rocblas_trmm_lTx_kernelILi16ELb1E19rocblas_complex_numIfEPKS1_KS3_KPS1_Ev13rocblas_fill_17rocblas_diagonal_iiT2_lPT3_llSB_llPT4_lli.uses_vcc, 1
	.set _ZL23rocblas_trmm_lTx_kernelILi16ELb1E19rocblas_complex_numIfEPKS1_KS3_KPS1_Ev13rocblas_fill_17rocblas_diagonal_iiT2_lPT3_llSB_llPT4_lli.uses_flat_scratch, 0
	.set _ZL23rocblas_trmm_lTx_kernelILi16ELb1E19rocblas_complex_numIfEPKS1_KS3_KPS1_Ev13rocblas_fill_17rocblas_diagonal_iiT2_lPT3_llSB_llPT4_lli.has_dyn_sized_stack, 0
	.set _ZL23rocblas_trmm_lTx_kernelILi16ELb1E19rocblas_complex_numIfEPKS1_KS3_KPS1_Ev13rocblas_fill_17rocblas_diagonal_iiT2_lPT3_llSB_llPT4_lli.has_recursion, 0
	.set _ZL23rocblas_trmm_lTx_kernelILi16ELb1E19rocblas_complex_numIfEPKS1_KS3_KPS1_Ev13rocblas_fill_17rocblas_diagonal_iiT2_lPT3_llSB_llPT4_lli.has_indirect_call, 0
	.section	.AMDGPU.csdata,"",@progbits
; Kernel info:
; codeLenInByte = 1412
; TotalNumSgprs: 36
; NumVgprs: 40
; ScratchSize: 0
; MemoryBound: 0
; FloatMode: 240
; IeeeMode: 1
; LDSByteSize: 4096 bytes/workgroup (compile time only)
; SGPRBlocks: 4
; VGPRBlocks: 9
; NumSGPRsForWavesPerEU: 36
; NumVGPRsForWavesPerEU: 40
; Occupancy: 6
; WaveLimiterHint : 1
; COMPUTE_PGM_RSRC2:SCRATCH_EN: 0
; COMPUTE_PGM_RSRC2:USER_SGPR: 6
; COMPUTE_PGM_RSRC2:TRAP_HANDLER: 0
; COMPUTE_PGM_RSRC2:TGID_X_EN: 1
; COMPUTE_PGM_RSRC2:TGID_Y_EN: 0
; COMPUTE_PGM_RSRC2:TGID_Z_EN: 1
; COMPUTE_PGM_RSRC2:TIDIG_COMP_CNT: 1
	.section	.text._ZL23rocblas_trmm_lTx_kernelILi16ELb1E19rocblas_complex_numIfES1_KPKS1_KPS1_Ev13rocblas_fill_17rocblas_diagonal_iiT2_lPT3_llSB_llPT4_lli,"axG",@progbits,_ZL23rocblas_trmm_lTx_kernelILi16ELb1E19rocblas_complex_numIfES1_KPKS1_KPS1_Ev13rocblas_fill_17rocblas_diagonal_iiT2_lPT3_llSB_llPT4_lli,comdat
	.globl	_ZL23rocblas_trmm_lTx_kernelILi16ELb1E19rocblas_complex_numIfES1_KPKS1_KPS1_Ev13rocblas_fill_17rocblas_diagonal_iiT2_lPT3_llSB_llPT4_lli ; -- Begin function _ZL23rocblas_trmm_lTx_kernelILi16ELb1E19rocblas_complex_numIfES1_KPKS1_KPS1_Ev13rocblas_fill_17rocblas_diagonal_iiT2_lPT3_llSB_llPT4_lli
	.p2align	8
	.type	_ZL23rocblas_trmm_lTx_kernelILi16ELb1E19rocblas_complex_numIfES1_KPKS1_KPS1_Ev13rocblas_fill_17rocblas_diagonal_iiT2_lPT3_llSB_llPT4_lli,@function
_ZL23rocblas_trmm_lTx_kernelILi16ELb1E19rocblas_complex_numIfES1_KPKS1_KPS1_Ev13rocblas_fill_17rocblas_diagonal_iiT2_lPT3_llSB_llPT4_lli: ; @_ZL23rocblas_trmm_lTx_kernelILi16ELb1E19rocblas_complex_numIfES1_KPKS1_KPS1_Ev13rocblas_fill_17rocblas_diagonal_iiT2_lPT3_llSB_llPT4_lli
; %bb.0:
	s_load_dwordx2 s[2:3], s[4:5], 0x10
	s_mov_b32 s1, 0
	s_waitcnt lgkmcnt(0)
	v_cmp_neq_f32_e64 s[8:9], s2, 0
	v_cmp_neq_f32_e64 s[10:11], s3, 0
	s_or_b64 s[8:9], s[8:9], s[10:11]
	s_andn2_b64 vcc, exec, s[8:9]
	s_cbranch_vccnz .LBB173_15
; %bb.1:
	s_load_dwordx16 s[8:23], s[4:5], 0x20
	s_load_dwordx4 s[24:27], s[4:5], 0x0
	s_mov_b32 s0, s7
	s_lshl_b64 s[30:31], s[0:1], 3
	s_mov_b32 s0, s1
	s_waitcnt lgkmcnt(0)
	s_add_u32 s8, s8, s30
	s_addc_u32 s9, s9, s31
	s_load_dwordx2 s[28:29], s[8:9], 0x0
	s_add_u32 s8, s14, s30
	s_addc_u32 s9, s15, s31
	s_load_dwordx2 s[14:15], s[8:9], 0x0
	;; [unrolled: 3-line block ×3, first 2 shown]
	v_mov_b32_e32 v6, s1
	v_lshlrev_b32_e32 v3, 4, v1
	v_mov_b32_e32 v5, s0
	v_cmp_gt_i32_e64 s[0:1], s26, v1
	v_cmp_gt_i32_e32 vcc, s26, v0
	v_add_lshl_u32 v4, v3, v0, 3
	s_and_b64 s[0:1], s[0:1], vcc
	v_lshlrev_b32_e32 v2, 3, v0
	ds_write2st64_b64 v4, v[5:6], v[5:6] offset1:4
	s_waitcnt lgkmcnt(0)
	s_barrier
	s_and_saveexec_b64 s[20:21], s[0:1]
	s_cbranch_execz .LBB173_3
; %bb.2:
	v_mad_u64_u32 v[5:6], s[0:1], s10, v1, 0
	s_lshl_b64 s[0:1], s[12:13], 3
	s_add_u32 s0, s28, s0
	v_mad_u64_u32 v[6:7], s[10:11], s11, v1, v[6:7]
	s_addc_u32 s1, s29, s1
	v_mov_b32_e32 v7, s1
	v_lshlrev_b64 v[5:6], 3, v[5:6]
	v_add_co_u32_e64 v5, s[0:1], s0, v5
	v_addc_co_u32_e64 v6, s[0:1], v7, v6, s[0:1]
	v_add_co_u32_e64 v5, s[0:1], v5, v2
	v_addc_co_u32_e64 v6, s[0:1], 0, v6, s[0:1]
	flat_load_dwordx2 v[5:6], v[5:6]
	v_lshlrev_b32_e32 v7, 3, v1
	v_lshl_add_u32 v7, v0, 7, v7
	s_waitcnt vmcnt(0) lgkmcnt(0)
	v_xor_b32_e32 v6, 0x80000000, v6
	ds_write_b64 v7, v[5:6]
.LBB173_3:
	s_or_b64 exec, exec, s[20:21]
	s_add_i32 s0, s27, -1
	s_ashr_i32 s1, s0, 31
	s_lshr_b32 s1, s1, 28
	s_add_i32 s0, s0, s1
	s_ashr_i32 s1, s0, 4
	s_and_b32 s0, s0, -16
	s_sub_i32 s0, s27, s0
	s_cmp_ge_i32 s6, s1
	s_cselect_b32 s0, s0, 16
	s_lshl_b32 s12, s6, 4
	v_cmp_gt_i32_e64 s[0:1], s0, v1
	s_ashr_i32 s13, s12, 31
	s_and_b64 s[0:1], vcc, s[0:1]
	s_and_saveexec_b64 s[6:7], s[0:1]
	s_cbranch_execz .LBB173_5
; %bb.4:
	s_lshl_b64 s[10:11], s[18:19], 3
	s_add_u32 s18, s14, s10
	s_addc_u32 s19, s15, s11
	s_mul_i32 s10, s16, s13
	s_mul_hi_u32 s11, s16, s12
	s_add_i32 s14, s11, s10
	v_mad_u64_u32 v[5:6], s[10:11], s16, v1, 0
	s_mul_i32 s10, s17, s12
	s_add_i32 s11, s14, s10
	v_mad_u64_u32 v[6:7], s[14:15], s17, v1, v[6:7]
	s_mul_i32 s10, s16, s12
	s_lshl_b64 s[10:11], s[10:11], 3
	s_add_u32 s10, s18, s10
	v_lshlrev_b64 v[5:6], 3, v[5:6]
	s_addc_u32 s11, s19, s11
	v_mov_b32_e32 v7, s11
	v_add_co_u32_e32 v5, vcc, s10, v5
	v_addc_co_u32_e32 v6, vcc, v7, v6, vcc
	v_add_co_u32_e32 v5, vcc, v5, v2
	v_addc_co_u32_e32 v6, vcc, 0, v6, vcc
	flat_load_dwordx2 v[5:6], v[5:6]
	v_add_u32_e32 v7, 0x800, v4
	s_waitcnt vmcnt(0) lgkmcnt(0)
	ds_write_b64 v7, v[5:6]
.LBB173_5:
	s_or_b64 exec, exec, s[6:7]
	s_cmpk_eq_i32 s25, 0x84
	s_cselect_b64 s[6:7], -1, 0
	v_cmp_eq_u32_e32 vcc, v1, v0
	s_and_b64 s[10:11], vcc, s[6:7]
	s_and_saveexec_b64 s[6:7], s[10:11]
; %bb.6:
	v_mov_b32_e32 v5, 1.0
	v_mov_b32_e32 v6, 0
	ds_write_b64 v4, v[5:6]
; %bb.7:
	s_or_b64 exec, exec, s[6:7]
	s_cmpk_lg_i32 s24, 0x7a
	s_waitcnt lgkmcnt(0)
	s_barrier
	s_cbranch_scc0 .LBB173_9
; %bb.8:
	v_cmp_lt_u32_e32 vcc, v0, v1
	s_and_b64 s[6:7], vcc, exec
	s_cbranch_execz .LBB173_10
	s_branch .LBB173_11
.LBB173_9:
	s_mov_b64 s[6:7], 0
.LBB173_10:
	v_cmp_gt_u32_e32 vcc, v0, v1
	s_andn2_b64 s[6:7], s[6:7], exec
	s_and_b64 s[10:11], vcc, exec
	s_or_b64 s[6:7], s[6:7], s[10:11]
.LBB173_11:
	s_and_saveexec_b64 s[10:11], s[6:7]
; %bb.12:
	v_mov_b32_e32 v5, 0
	v_mov_b32_e32 v6, v5
	ds_write_b64 v4, v[5:6]
; %bb.13:
	s_or_b64 exec, exec, s[10:11]
	s_waitcnt lgkmcnt(0)
	s_barrier
	s_and_saveexec_b64 s[6:7], s[0:1]
	s_cbranch_execz .LBB173_15
; %bb.14:
	v_lshlrev_b32_e32 v0, 3, v3
	ds_read2_b64 v[3:6], v2 offset1:16
	ds_read_b128 v[7:10], v0 offset:2048
	ds_read_b128 v[11:14], v0 offset:2064
	ds_read2_b64 v[15:18], v2 offset0:32 offset1:48
	s_load_dwordx2 s[0:1], s[4:5], 0x60
	s_waitcnt lgkmcnt(0)
	v_mul_f32_e32 v19, v7, v4
	v_mul_f32_e32 v4, v8, v4
	v_mul_f32_e32 v20, v9, v6
	v_fmac_f32_e32 v19, v8, v3
	v_fma_f32 v21, v7, v3, -v4
	v_mul_f32_e32 v3, v10, v6
	v_fmac_f32_e32 v20, v10, v5
	v_fma_f32 v22, v9, v5, -v3
	ds_read2_b64 v[3:6], v2 offset0:64 offset1:80
	ds_read_b128 v[7:10], v0 offset:2080
	v_mul_f32_e32 v23, v11, v16
	v_fmac_f32_e32 v23, v12, v15
	v_mul_f32_e32 v12, v12, v16
	v_mul_f32_e32 v24, v13, v18
	v_fma_f32 v25, v11, v15, -v12
	v_mul_f32_e32 v11, v14, v18
	v_fmac_f32_e32 v24, v14, v17
	v_fma_f32 v26, v13, v17, -v11
	ds_read_b128 v[11:14], v0 offset:2096
	ds_read2_b64 v[15:18], v2 offset0:96 offset1:112
	s_waitcnt lgkmcnt(2)
	v_mul_f32_e32 v27, v7, v4
	v_mul_f32_e32 v4, v8, v4
	v_fmac_f32_e32 v27, v8, v3
	v_mul_f32_e32 v28, v9, v6
	v_fma_f32 v29, v7, v3, -v4
	v_mul_f32_e32 v3, v10, v6
	v_fmac_f32_e32 v28, v10, v5
	v_fma_f32 v30, v9, v5, -v3
	ds_read2_b64 v[3:6], v2 offset0:128 offset1:144
	ds_read_b128 v[7:10], v0 offset:2112
	s_waitcnt lgkmcnt(2)
	v_mul_f32_e32 v31, v11, v16
	v_fmac_f32_e32 v31, v12, v15
	v_mul_f32_e32 v12, v12, v16
	v_mul_f32_e32 v32, v13, v18
	v_fma_f32 v15, v11, v15, -v12
	v_mul_f32_e32 v11, v14, v18
	v_fmac_f32_e32 v32, v14, v17
	v_fma_f32 v16, v13, v17, -v11
	s_waitcnt lgkmcnt(0)
	v_mul_f32_e32 v17, v7, v4
	v_mul_f32_e32 v4, v8, v4
	v_fmac_f32_e32 v17, v8, v3
	v_mul_f32_e32 v18, v9, v6
	v_fma_f32 v33, v7, v3, -v4
	v_mul_f32_e32 v3, v10, v6
	ds_read_b128 v[11:14], v0 offset:2128
	v_fmac_f32_e32 v18, v10, v5
	v_fma_f32 v34, v9, v5, -v3
	ds_read2_b64 v[3:6], v2 offset0:160 offset1:176
	s_lshl_b64 s[0:1], s[0:1], 3
	s_add_u32 s4, s8, s0
	s_addc_u32 s5, s9, s1
	s_mul_i32 s0, s22, s13
	s_waitcnt lgkmcnt(0)
	v_mul_f32_e32 v35, v11, v4
	v_mul_f32_e32 v4, v12, v4
	v_fmac_f32_e32 v35, v12, v3
	v_mul_f32_e32 v36, v13, v6
	v_fma_f32 v37, v11, v3, -v4
	v_mul_f32_e32 v3, v14, v6
	v_fmac_f32_e32 v36, v14, v5
	v_fma_f32 v38, v13, v5, -v3
	ds_read2_b64 v[3:6], v2 offset0:192 offset1:208
	ds_read_b128 v[7:10], v0 offset:2144
	ds_read_b128 v[11:14], v0 offset:2160
	s_mul_hi_u32 s1, s22, s12
	s_add_i32 s0, s1, s0
	s_mul_i32 s1, s23, s12
	s_waitcnt lgkmcnt(1)
	v_mul_f32_e32 v0, v7, v4
	v_mul_f32_e32 v4, v8, v4
	v_fmac_f32_e32 v0, v8, v3
	v_fma_f32 v7, v7, v3, -v4
	v_mul_f32_e32 v3, v10, v6
	v_fma_f32 v8, v9, v5, -v3
	v_add_f32_e32 v3, 0, v19
	v_add_f32_e32 v3, v3, v20
	;; [unrolled: 1-line block ×8, first 2 shown]
	v_mul_f32_e32 v39, v9, v6
	v_add_f32_e32 v3, v3, v17
	v_fmac_f32_e32 v39, v10, v5
	v_add_f32_e32 v9, v3, v18
	ds_read2_b64 v[3:6], v2 offset0:224 offset1:240
	v_add_f32_e32 v9, v9, v35
	v_add_f32_e32 v9, v9, v36
	;; [unrolled: 1-line block ×4, first 2 shown]
	s_waitcnt lgkmcnt(0)
	v_mul_f32_e32 v9, v11, v4
	v_fmac_f32_e32 v9, v12, v3
	v_add_f32_e32 v0, v0, v9
	v_mul_f32_e32 v9, v13, v6
	v_fmac_f32_e32 v9, v14, v5
	v_add_f32_e32 v9, v0, v9
	v_add_f32_e32 v0, 0, v21
	v_add_f32_e32 v0, v0, v22
	v_add_f32_e32 v0, v0, v25
	v_add_f32_e32 v0, v0, v26
	v_add_f32_e32 v0, v0, v29
	v_add_f32_e32 v0, v0, v30
	v_add_f32_e32 v0, v0, v15
	v_add_f32_e32 v0, v0, v16
	v_add_f32_e32 v0, v0, v33
	v_add_f32_e32 v0, v0, v34
	v_add_f32_e32 v0, v0, v37
	s_add_i32 s1, s0, s1
	s_mul_i32 s0, s22, s12
	v_add_f32_e32 v0, v0, v38
	s_lshl_b64 s[0:1], s[0:1], 3
	v_add_f32_e32 v0, v0, v7
	v_mul_f32_e32 v4, v12, v4
	s_add_u32 s4, s4, s0
	v_add_f32_e32 v0, v0, v8
	v_fma_f32 v3, v11, v3, -v4
	s_addc_u32 s5, s5, s1
	v_add_f32_e32 v0, v0, v3
	v_mad_u64_u32 v[3:4], s[0:1], s22, v1, 0
	v_mul_f32_e32 v6, v14, v6
	v_fma_f32 v5, v13, v5, -v6
	v_add_f32_e32 v5, v0, v5
	v_mov_b32_e32 v0, v4
	v_mad_u64_u32 v[0:1], s[0:1], s23, v1, v[0:1]
	v_mul_f32_e32 v6, s2, v9
	v_mul_f32_e32 v1, s3, v9
	v_mov_b32_e32 v4, v0
	v_fmac_f32_e32 v6, s3, v5
	v_fma_f32 v5, s2, v5, -v1
	v_lshlrev_b64 v[0:1], 3, v[3:4]
	v_mov_b32_e32 v3, s5
	v_add_co_u32_e32 v0, vcc, s4, v0
	v_addc_co_u32_e32 v1, vcc, v3, v1, vcc
	v_add_co_u32_e32 v0, vcc, v0, v2
	v_addc_co_u32_e32 v1, vcc, 0, v1, vcc
	flat_store_dwordx2 v[0:1], v[5:6]
.LBB173_15:
	s_endpgm
	.section	.rodata,"a",@progbits
	.p2align	6, 0x0
	.amdhsa_kernel _ZL23rocblas_trmm_lTx_kernelILi16ELb1E19rocblas_complex_numIfES1_KPKS1_KPS1_Ev13rocblas_fill_17rocblas_diagonal_iiT2_lPT3_llSB_llPT4_lli
		.amdhsa_group_segment_fixed_size 4096
		.amdhsa_private_segment_fixed_size 0
		.amdhsa_kernarg_size 108
		.amdhsa_user_sgpr_count 6
		.amdhsa_user_sgpr_private_segment_buffer 1
		.amdhsa_user_sgpr_dispatch_ptr 0
		.amdhsa_user_sgpr_queue_ptr 0
		.amdhsa_user_sgpr_kernarg_segment_ptr 1
		.amdhsa_user_sgpr_dispatch_id 0
		.amdhsa_user_sgpr_flat_scratch_init 0
		.amdhsa_user_sgpr_private_segment_size 0
		.amdhsa_uses_dynamic_stack 0
		.amdhsa_system_sgpr_private_segment_wavefront_offset 0
		.amdhsa_system_sgpr_workgroup_id_x 1
		.amdhsa_system_sgpr_workgroup_id_y 0
		.amdhsa_system_sgpr_workgroup_id_z 1
		.amdhsa_system_sgpr_workgroup_info 0
		.amdhsa_system_vgpr_workitem_id 1
		.amdhsa_next_free_vgpr 40
		.amdhsa_next_free_sgpr 32
		.amdhsa_reserve_vcc 1
		.amdhsa_reserve_flat_scratch 0
		.amdhsa_float_round_mode_32 0
		.amdhsa_float_round_mode_16_64 0
		.amdhsa_float_denorm_mode_32 3
		.amdhsa_float_denorm_mode_16_64 3
		.amdhsa_dx10_clamp 1
		.amdhsa_ieee_mode 1
		.amdhsa_fp16_overflow 0
		.amdhsa_exception_fp_ieee_invalid_op 0
		.amdhsa_exception_fp_denorm_src 0
		.amdhsa_exception_fp_ieee_div_zero 0
		.amdhsa_exception_fp_ieee_overflow 0
		.amdhsa_exception_fp_ieee_underflow 0
		.amdhsa_exception_fp_ieee_inexact 0
		.amdhsa_exception_int_div_zero 0
	.end_amdhsa_kernel
	.section	.text._ZL23rocblas_trmm_lTx_kernelILi16ELb1E19rocblas_complex_numIfES1_KPKS1_KPS1_Ev13rocblas_fill_17rocblas_diagonal_iiT2_lPT3_llSB_llPT4_lli,"axG",@progbits,_ZL23rocblas_trmm_lTx_kernelILi16ELb1E19rocblas_complex_numIfES1_KPKS1_KPS1_Ev13rocblas_fill_17rocblas_diagonal_iiT2_lPT3_llSB_llPT4_lli,comdat
.Lfunc_end173:
	.size	_ZL23rocblas_trmm_lTx_kernelILi16ELb1E19rocblas_complex_numIfES1_KPKS1_KPS1_Ev13rocblas_fill_17rocblas_diagonal_iiT2_lPT3_llSB_llPT4_lli, .Lfunc_end173-_ZL23rocblas_trmm_lTx_kernelILi16ELb1E19rocblas_complex_numIfES1_KPKS1_KPS1_Ev13rocblas_fill_17rocblas_diagonal_iiT2_lPT3_llSB_llPT4_lli
                                        ; -- End function
	.set _ZL23rocblas_trmm_lTx_kernelILi16ELb1E19rocblas_complex_numIfES1_KPKS1_KPS1_Ev13rocblas_fill_17rocblas_diagonal_iiT2_lPT3_llSB_llPT4_lli.num_vgpr, 40
	.set _ZL23rocblas_trmm_lTx_kernelILi16ELb1E19rocblas_complex_numIfES1_KPKS1_KPS1_Ev13rocblas_fill_17rocblas_diagonal_iiT2_lPT3_llSB_llPT4_lli.num_agpr, 0
	.set _ZL23rocblas_trmm_lTx_kernelILi16ELb1E19rocblas_complex_numIfES1_KPKS1_KPS1_Ev13rocblas_fill_17rocblas_diagonal_iiT2_lPT3_llSB_llPT4_lli.numbered_sgpr, 32
	.set _ZL23rocblas_trmm_lTx_kernelILi16ELb1E19rocblas_complex_numIfES1_KPKS1_KPS1_Ev13rocblas_fill_17rocblas_diagonal_iiT2_lPT3_llSB_llPT4_lli.num_named_barrier, 0
	.set _ZL23rocblas_trmm_lTx_kernelILi16ELb1E19rocblas_complex_numIfES1_KPKS1_KPS1_Ev13rocblas_fill_17rocblas_diagonal_iiT2_lPT3_llSB_llPT4_lli.private_seg_size, 0
	.set _ZL23rocblas_trmm_lTx_kernelILi16ELb1E19rocblas_complex_numIfES1_KPKS1_KPS1_Ev13rocblas_fill_17rocblas_diagonal_iiT2_lPT3_llSB_llPT4_lli.uses_vcc, 1
	.set _ZL23rocblas_trmm_lTx_kernelILi16ELb1E19rocblas_complex_numIfES1_KPKS1_KPS1_Ev13rocblas_fill_17rocblas_diagonal_iiT2_lPT3_llSB_llPT4_lli.uses_flat_scratch, 0
	.set _ZL23rocblas_trmm_lTx_kernelILi16ELb1E19rocblas_complex_numIfES1_KPKS1_KPS1_Ev13rocblas_fill_17rocblas_diagonal_iiT2_lPT3_llSB_llPT4_lli.has_dyn_sized_stack, 0
	.set _ZL23rocblas_trmm_lTx_kernelILi16ELb1E19rocblas_complex_numIfES1_KPKS1_KPS1_Ev13rocblas_fill_17rocblas_diagonal_iiT2_lPT3_llSB_llPT4_lli.has_recursion, 0
	.set _ZL23rocblas_trmm_lTx_kernelILi16ELb1E19rocblas_complex_numIfES1_KPKS1_KPS1_Ev13rocblas_fill_17rocblas_diagonal_iiT2_lPT3_llSB_llPT4_lli.has_indirect_call, 0
	.section	.AMDGPU.csdata,"",@progbits
; Kernel info:
; codeLenInByte = 1372
; TotalNumSgprs: 36
; NumVgprs: 40
; ScratchSize: 0
; MemoryBound: 0
; FloatMode: 240
; IeeeMode: 1
; LDSByteSize: 4096 bytes/workgroup (compile time only)
; SGPRBlocks: 4
; VGPRBlocks: 9
; NumSGPRsForWavesPerEU: 36
; NumVGPRsForWavesPerEU: 40
; Occupancy: 6
; WaveLimiterHint : 1
; COMPUTE_PGM_RSRC2:SCRATCH_EN: 0
; COMPUTE_PGM_RSRC2:USER_SGPR: 6
; COMPUTE_PGM_RSRC2:TRAP_HANDLER: 0
; COMPUTE_PGM_RSRC2:TGID_X_EN: 1
; COMPUTE_PGM_RSRC2:TGID_Y_EN: 0
; COMPUTE_PGM_RSRC2:TGID_Z_EN: 1
; COMPUTE_PGM_RSRC2:TIDIG_COMP_CNT: 1
	.section	.text._ZL23rocblas_trmm_rNx_kernelILi16E19rocblas_complex_numIfEPKS1_KS3_KPS1_Ev13rocblas_fill_17rocblas_diagonal_iiT1_lPT2_llSB_llPT3_lli,"axG",@progbits,_ZL23rocblas_trmm_rNx_kernelILi16E19rocblas_complex_numIfEPKS1_KS3_KPS1_Ev13rocblas_fill_17rocblas_diagonal_iiT1_lPT2_llSB_llPT3_lli,comdat
	.globl	_ZL23rocblas_trmm_rNx_kernelILi16E19rocblas_complex_numIfEPKS1_KS3_KPS1_Ev13rocblas_fill_17rocblas_diagonal_iiT1_lPT2_llSB_llPT3_lli ; -- Begin function _ZL23rocblas_trmm_rNx_kernelILi16E19rocblas_complex_numIfEPKS1_KS3_KPS1_Ev13rocblas_fill_17rocblas_diagonal_iiT1_lPT2_llSB_llPT3_lli
	.p2align	8
	.type	_ZL23rocblas_trmm_rNx_kernelILi16E19rocblas_complex_numIfEPKS1_KS3_KPS1_Ev13rocblas_fill_17rocblas_diagonal_iiT1_lPT2_llSB_llPT3_lli,@function
_ZL23rocblas_trmm_rNx_kernelILi16E19rocblas_complex_numIfEPKS1_KS3_KPS1_Ev13rocblas_fill_17rocblas_diagonal_iiT1_lPT2_llSB_llPT3_lli: ; @_ZL23rocblas_trmm_rNx_kernelILi16E19rocblas_complex_numIfEPKS1_KS3_KPS1_Ev13rocblas_fill_17rocblas_diagonal_iiT1_lPT2_llSB_llPT3_lli
; %bb.0:
	s_load_dwordx16 s[8:23], s[4:5], 0x10
	s_mov_b32 s29, 0
	s_waitcnt lgkmcnt(0)
	s_mul_i32 s0, s11, s7
	s_mul_hi_u32 s1, s10, s7
	s_add_i32 s1, s1, s0
	s_mul_i32 s0, s10, s7
	s_lshl_b64 s[0:1], s[0:1], 3
	s_add_u32 s0, s8, s0
	s_addc_u32 s1, s9, s1
	s_load_dwordx2 s[24:25], s[0:1], 0x0
	s_waitcnt lgkmcnt(0)
	v_cmp_neq_f32_e64 s[0:1], s24, 0
	v_cmp_neq_f32_e64 s[2:3], s25, 0
	s_or_b64 s[0:1], s[0:1], s[2:3]
	s_andn2_b64 vcc, exec, s[0:1]
	s_cbranch_vccnz .LBB174_15
; %bb.1:
	s_load_dwordx4 s[8:11], s[4:5], 0x0
	s_load_dwordx4 s[0:3], s[4:5], 0x50
	s_mov_b32 s28, s7
	s_lshl_b64 s[30:31], s[28:29], 3
	s_add_u32 s18, s18, s30
	s_addc_u32 s19, s19, s31
	s_waitcnt lgkmcnt(0)
	s_add_u32 s0, s0, s30
	s_addc_u32 s1, s1, s31
	s_load_dwordx2 s[26:27], s[18:19], 0x0
	s_mov_b32 s28, s29
	s_load_dwordx2 s[18:19], s[0:1], 0x0
	v_lshlrev_b32_e32 v3, 4, v1
	v_mov_b32_e32 v5, s28
	v_cmp_gt_i32_e32 vcc, s11, v1
	v_cmp_gt_i32_e64 s[0:1], s11, v0
	v_add_lshl_u32 v4, v3, v0, 3
	v_mov_b32_e32 v6, s29
	s_and_b64 s[0:1], vcc, s[0:1]
	v_lshlrev_b32_e32 v2, 3, v0
	ds_write2st64_b64 v4, v[5:6], v[5:6] offset1:4
	s_and_saveexec_b64 s[28:29], s[0:1]
	s_cbranch_execz .LBB174_3
; %bb.2:
	v_mad_u64_u32 v[5:6], s[0:1], s14, v1, 0
	s_add_u32 s0, s12, s30
	s_addc_u32 s1, s13, s31
	s_load_dwordx2 s[0:1], s[0:1], 0x0
	v_mad_u64_u32 v[6:7], s[12:13], s15, v1, v[6:7]
	s_lshl_b64 s[12:13], s[16:17], 3
	s_waitcnt lgkmcnt(0)
	s_add_u32 s0, s0, s12
	v_lshlrev_b64 v[5:6], 3, v[5:6]
	s_addc_u32 s1, s1, s13
	v_mov_b32_e32 v7, s1
	v_add_co_u32_e64 v5, s[0:1], s0, v5
	v_addc_co_u32_e64 v6, s[0:1], v7, v6, s[0:1]
	v_add_co_u32_e64 v5, s[0:1], v5, v2
	v_addc_co_u32_e64 v6, s[0:1], 0, v6, s[0:1]
	flat_load_dwordx2 v[5:6], v[5:6]
	s_waitcnt vmcnt(0) lgkmcnt(0)
	ds_write_b64 v4, v[5:6]
.LBB174_3:
	s_or_b64 exec, exec, s[28:29]
	s_add_i32 s0, s10, -1
	s_ashr_i32 s1, s0, 31
	s_lshr_b32 s1, s1, 28
	s_add_i32 s0, s0, s1
	s_ashr_i32 s1, s0, 4
	s_and_b32 s0, s0, -16
	s_sub_i32 s0, s10, s0
	s_cmp_ge_i32 s6, s1
	s_cselect_b32 s0, s0, 16
	s_lshl_b32 s6, s6, 4
	v_cmp_gt_i32_e64 s[0:1], s0, v0
	s_ashr_i32 s7, s6, 31
	s_and_b64 s[0:1], vcc, s[0:1]
	s_and_saveexec_b64 s[10:11], s[0:1]
	s_cbranch_execz .LBB174_5
; %bb.4:
	v_mad_u64_u32 v[5:6], s[12:13], s20, v1, 0
	s_lshl_b64 s[12:13], s[22:23], 3
	s_waitcnt lgkmcnt(0)
	s_add_u32 s14, s26, s12
	s_addc_u32 s15, s27, s13
	v_mad_u64_u32 v[6:7], s[12:13], s21, v1, v[6:7]
	s_lshl_b64 s[12:13], s[6:7], 3
	s_add_u32 s12, s14, s12
	v_lshlrev_b64 v[5:6], 3, v[5:6]
	s_addc_u32 s13, s15, s13
	v_mov_b32_e32 v7, s13
	v_add_co_u32_e32 v5, vcc, s12, v5
	v_addc_co_u32_e32 v6, vcc, v7, v6, vcc
	v_add_co_u32_e32 v5, vcc, v5, v2
	v_addc_co_u32_e32 v6, vcc, 0, v6, vcc
	flat_load_dwordx2 v[5:6], v[5:6]
	v_add_u32_e32 v7, 0x800, v4
	s_waitcnt vmcnt(0) lgkmcnt(0)
	ds_write_b64 v7, v[5:6]
.LBB174_5:
	s_or_b64 exec, exec, s[10:11]
	s_cmpk_eq_i32 s9, 0x84
	s_cselect_b64 s[10:11], -1, 0
	v_cmp_eq_u32_e32 vcc, v1, v0
	s_and_b64 s[12:13], vcc, s[10:11]
	s_and_saveexec_b64 s[10:11], s[12:13]
; %bb.6:
	v_mov_b32_e32 v5, 1.0
	v_mov_b32_e32 v6, 0
	ds_write_b64 v4, v[5:6]
; %bb.7:
	s_or_b64 exec, exec, s[10:11]
	s_cmpk_lg_i32 s8, 0x79
	s_cbranch_scc0 .LBB174_9
; %bb.8:
	v_cmp_lt_u32_e32 vcc, v0, v1
	s_and_b64 s[8:9], vcc, exec
	s_cbranch_execz .LBB174_10
	s_branch .LBB174_11
.LBB174_9:
	s_mov_b64 s[8:9], 0
.LBB174_10:
	v_cmp_gt_u32_e32 vcc, v0, v1
	s_andn2_b64 s[8:9], s[8:9], exec
	s_and_b64 s[10:11], vcc, exec
	s_or_b64 s[8:9], s[8:9], s[10:11]
.LBB174_11:
	s_and_saveexec_b64 s[10:11], s[8:9]
; %bb.12:
	v_mov_b32_e32 v5, 0
	v_mov_b32_e32 v6, v5
	ds_write_b64 v4, v[5:6]
; %bb.13:
	s_or_b64 exec, exec, s[10:11]
	s_waitcnt lgkmcnt(0)
	s_barrier
	s_and_saveexec_b64 s[8:9], s[0:1]
	s_cbranch_execz .LBB174_15
; %bb.14:
	v_add_u32_e32 v19, 0x800, v2
	v_lshlrev_b32_e32 v0, 3, v3
	ds_read2_b64 v[3:6], v19 offset1:16
	ds_read_b128 v[7:10], v0
	ds_read_b128 v[11:14], v0 offset:16
	ds_read2_b64 v[15:18], v19 offset0:32 offset1:48
	s_load_dwordx2 s[0:1], s[4:5], 0x60
	s_waitcnt lgkmcnt(0)
	v_mul_f32_e32 v20, v7, v4
	v_mul_f32_e32 v4, v8, v4
	;; [unrolled: 1-line block ×3, first 2 shown]
	v_fmac_f32_e32 v20, v8, v3
	v_fma_f32 v22, v7, v3, -v4
	v_mul_f32_e32 v3, v10, v6
	v_fmac_f32_e32 v21, v10, v5
	v_fma_f32 v23, v9, v5, -v3
	ds_read2_b64 v[3:6], v19 offset0:64 offset1:80
	ds_read_b128 v[7:10], v0 offset:32
	v_mul_f32_e32 v24, v11, v16
	v_fmac_f32_e32 v24, v12, v15
	v_mul_f32_e32 v12, v12, v16
	v_mul_f32_e32 v25, v13, v18
	v_fma_f32 v26, v11, v15, -v12
	v_mul_f32_e32 v11, v14, v18
	v_fmac_f32_e32 v25, v14, v17
	v_fma_f32 v27, v13, v17, -v11
	ds_read_b128 v[11:14], v0 offset:48
	ds_read2_b64 v[15:18], v19 offset0:96 offset1:112
	s_waitcnt lgkmcnt(2)
	v_mul_f32_e32 v28, v7, v4
	v_mul_f32_e32 v4, v8, v4
	v_fmac_f32_e32 v28, v8, v3
	v_mul_f32_e32 v29, v9, v6
	v_fma_f32 v30, v7, v3, -v4
	v_mul_f32_e32 v3, v10, v6
	v_fmac_f32_e32 v29, v10, v5
	v_fma_f32 v31, v9, v5, -v3
	ds_read2_b64 v[3:6], v19 offset0:128 offset1:144
	ds_read_b128 v[7:10], v0 offset:64
	s_waitcnt lgkmcnt(2)
	v_mul_f32_e32 v32, v11, v16
	v_fmac_f32_e32 v32, v12, v15
	v_mul_f32_e32 v12, v12, v16
	v_mul_f32_e32 v33, v13, v18
	v_fma_f32 v15, v11, v15, -v12
	v_mul_f32_e32 v11, v14, v18
	v_fmac_f32_e32 v33, v14, v17
	v_fma_f32 v16, v13, v17, -v11
	s_waitcnt lgkmcnt(0)
	v_mul_f32_e32 v17, v7, v4
	v_mul_f32_e32 v4, v8, v4
	v_fmac_f32_e32 v17, v8, v3
	v_mul_f32_e32 v18, v9, v6
	v_fma_f32 v34, v7, v3, -v4
	v_mul_f32_e32 v3, v10, v6
	ds_read_b128 v[11:14], v0 offset:80
	v_fmac_f32_e32 v18, v10, v5
	v_fma_f32 v35, v9, v5, -v3
	ds_read2_b64 v[3:6], v19 offset0:160 offset1:176
	s_lshl_b64 s[0:1], s[0:1], 3
	s_add_u32 s4, s18, s0
	s_addc_u32 s5, s19, s1
	s_lshl_b64 s[0:1], s[6:7], 3
	s_waitcnt lgkmcnt(0)
	v_mul_f32_e32 v36, v11, v4
	v_mul_f32_e32 v4, v12, v4
	v_fmac_f32_e32 v36, v12, v3
	v_mul_f32_e32 v37, v13, v6
	v_fma_f32 v38, v11, v3, -v4
	v_mul_f32_e32 v3, v14, v6
	v_fmac_f32_e32 v37, v14, v5
	v_fma_f32 v39, v13, v5, -v3
	ds_read2_b64 v[3:6], v19 offset0:192 offset1:208
	ds_read_b128 v[7:10], v0 offset:96
	ds_read_b128 v[11:14], v0 offset:112
	s_add_u32 s4, s4, s0
	s_addc_u32 s5, s5, s1
	s_waitcnt lgkmcnt(1)
	v_mul_f32_e32 v0, v7, v4
	v_mul_f32_e32 v4, v8, v4
	v_fmac_f32_e32 v0, v8, v3
	v_fma_f32 v7, v7, v3, -v4
	v_mul_f32_e32 v3, v10, v6
	v_fma_f32 v8, v9, v5, -v3
	v_add_f32_e32 v3, 0, v20
	v_add_f32_e32 v3, v3, v21
	;; [unrolled: 1-line block ×8, first 2 shown]
	v_mul_f32_e32 v40, v9, v6
	v_add_f32_e32 v3, v3, v17
	v_fmac_f32_e32 v40, v10, v5
	v_add_f32_e32 v9, v3, v18
	ds_read2_b64 v[3:6], v19 offset0:224 offset1:240
	v_add_f32_e32 v9, v9, v36
	v_add_f32_e32 v9, v9, v37
	;; [unrolled: 1-line block ×4, first 2 shown]
	s_waitcnt lgkmcnt(0)
	v_mul_f32_e32 v9, v11, v4
	v_fmac_f32_e32 v9, v12, v3
	v_add_f32_e32 v0, v0, v9
	v_mul_f32_e32 v9, v13, v6
	v_fmac_f32_e32 v9, v14, v5
	v_add_f32_e32 v9, v0, v9
	v_add_f32_e32 v0, 0, v22
	v_add_f32_e32 v0, v0, v23
	v_add_f32_e32 v0, v0, v26
	v_add_f32_e32 v0, v0, v27
	v_add_f32_e32 v0, v0, v30
	v_add_f32_e32 v0, v0, v31
	v_add_f32_e32 v0, v0, v15
	v_add_f32_e32 v0, v0, v16
	v_add_f32_e32 v0, v0, v34
	v_add_f32_e32 v0, v0, v35
	v_add_f32_e32 v0, v0, v38
	v_add_f32_e32 v0, v0, v39
	v_add_f32_e32 v0, v0, v7
	v_mul_f32_e32 v4, v12, v4
	v_add_f32_e32 v0, v0, v8
	v_fma_f32 v3, v11, v3, -v4
	v_add_f32_e32 v0, v0, v3
	v_mad_u64_u32 v[3:4], s[0:1], s2, v1, 0
	v_mul_f32_e32 v6, v14, v6
	v_fma_f32 v5, v13, v5, -v6
	v_add_f32_e32 v5, v0, v5
	v_mov_b32_e32 v0, v4
	v_mad_u64_u32 v[0:1], s[0:1], s3, v1, v[0:1]
	v_mul_f32_e32 v6, s24, v9
	v_mul_f32_e32 v1, s25, v9
	v_mov_b32_e32 v4, v0
	v_fmac_f32_e32 v6, s25, v5
	v_fma_f32 v5, s24, v5, -v1
	v_lshlrev_b64 v[0:1], 3, v[3:4]
	v_mov_b32_e32 v3, s5
	v_add_co_u32_e32 v0, vcc, s4, v0
	v_addc_co_u32_e32 v1, vcc, v3, v1, vcc
	v_add_co_u32_e32 v0, vcc, v0, v2
	v_addc_co_u32_e32 v1, vcc, 0, v1, vcc
	flat_store_dwordx2 v[0:1], v[5:6]
.LBB174_15:
	s_endpgm
	.section	.rodata,"a",@progbits
	.p2align	6, 0x0
	.amdhsa_kernel _ZL23rocblas_trmm_rNx_kernelILi16E19rocblas_complex_numIfEPKS1_KS3_KPS1_Ev13rocblas_fill_17rocblas_diagonal_iiT1_lPT2_llSB_llPT3_lli
		.amdhsa_group_segment_fixed_size 4096
		.amdhsa_private_segment_fixed_size 0
		.amdhsa_kernarg_size 108
		.amdhsa_user_sgpr_count 6
		.amdhsa_user_sgpr_private_segment_buffer 1
		.amdhsa_user_sgpr_dispatch_ptr 0
		.amdhsa_user_sgpr_queue_ptr 0
		.amdhsa_user_sgpr_kernarg_segment_ptr 1
		.amdhsa_user_sgpr_dispatch_id 0
		.amdhsa_user_sgpr_flat_scratch_init 0
		.amdhsa_user_sgpr_private_segment_size 0
		.amdhsa_uses_dynamic_stack 0
		.amdhsa_system_sgpr_private_segment_wavefront_offset 0
		.amdhsa_system_sgpr_workgroup_id_x 1
		.amdhsa_system_sgpr_workgroup_id_y 0
		.amdhsa_system_sgpr_workgroup_id_z 1
		.amdhsa_system_sgpr_workgroup_info 0
		.amdhsa_system_vgpr_workitem_id 1
		.amdhsa_next_free_vgpr 41
		.amdhsa_next_free_sgpr 32
		.amdhsa_reserve_vcc 1
		.amdhsa_reserve_flat_scratch 0
		.amdhsa_float_round_mode_32 0
		.amdhsa_float_round_mode_16_64 0
		.amdhsa_float_denorm_mode_32 3
		.amdhsa_float_denorm_mode_16_64 3
		.amdhsa_dx10_clamp 1
		.amdhsa_ieee_mode 1
		.amdhsa_fp16_overflow 0
		.amdhsa_exception_fp_ieee_invalid_op 0
		.amdhsa_exception_fp_denorm_src 0
		.amdhsa_exception_fp_ieee_div_zero 0
		.amdhsa_exception_fp_ieee_overflow 0
		.amdhsa_exception_fp_ieee_underflow 0
		.amdhsa_exception_fp_ieee_inexact 0
		.amdhsa_exception_int_div_zero 0
	.end_amdhsa_kernel
	.section	.text._ZL23rocblas_trmm_rNx_kernelILi16E19rocblas_complex_numIfEPKS1_KS3_KPS1_Ev13rocblas_fill_17rocblas_diagonal_iiT1_lPT2_llSB_llPT3_lli,"axG",@progbits,_ZL23rocblas_trmm_rNx_kernelILi16E19rocblas_complex_numIfEPKS1_KS3_KPS1_Ev13rocblas_fill_17rocblas_diagonal_iiT1_lPT2_llSB_llPT3_lli,comdat
.Lfunc_end174:
	.size	_ZL23rocblas_trmm_rNx_kernelILi16E19rocblas_complex_numIfEPKS1_KS3_KPS1_Ev13rocblas_fill_17rocblas_diagonal_iiT1_lPT2_llSB_llPT3_lli, .Lfunc_end174-_ZL23rocblas_trmm_rNx_kernelILi16E19rocblas_complex_numIfEPKS1_KS3_KPS1_Ev13rocblas_fill_17rocblas_diagonal_iiT1_lPT2_llSB_llPT3_lli
                                        ; -- End function
	.set _ZL23rocblas_trmm_rNx_kernelILi16E19rocblas_complex_numIfEPKS1_KS3_KPS1_Ev13rocblas_fill_17rocblas_diagonal_iiT1_lPT2_llSB_llPT3_lli.num_vgpr, 41
	.set _ZL23rocblas_trmm_rNx_kernelILi16E19rocblas_complex_numIfEPKS1_KS3_KPS1_Ev13rocblas_fill_17rocblas_diagonal_iiT1_lPT2_llSB_llPT3_lli.num_agpr, 0
	.set _ZL23rocblas_trmm_rNx_kernelILi16E19rocblas_complex_numIfEPKS1_KS3_KPS1_Ev13rocblas_fill_17rocblas_diagonal_iiT1_lPT2_llSB_llPT3_lli.numbered_sgpr, 32
	.set _ZL23rocblas_trmm_rNx_kernelILi16E19rocblas_complex_numIfEPKS1_KS3_KPS1_Ev13rocblas_fill_17rocblas_diagonal_iiT1_lPT2_llSB_llPT3_lli.num_named_barrier, 0
	.set _ZL23rocblas_trmm_rNx_kernelILi16E19rocblas_complex_numIfEPKS1_KS3_KPS1_Ev13rocblas_fill_17rocblas_diagonal_iiT1_lPT2_llSB_llPT3_lli.private_seg_size, 0
	.set _ZL23rocblas_trmm_rNx_kernelILi16E19rocblas_complex_numIfEPKS1_KS3_KPS1_Ev13rocblas_fill_17rocblas_diagonal_iiT1_lPT2_llSB_llPT3_lli.uses_vcc, 1
	.set _ZL23rocblas_trmm_rNx_kernelILi16E19rocblas_complex_numIfEPKS1_KS3_KPS1_Ev13rocblas_fill_17rocblas_diagonal_iiT1_lPT2_llSB_llPT3_lli.uses_flat_scratch, 0
	.set _ZL23rocblas_trmm_rNx_kernelILi16E19rocblas_complex_numIfEPKS1_KS3_KPS1_Ev13rocblas_fill_17rocblas_diagonal_iiT1_lPT2_llSB_llPT3_lli.has_dyn_sized_stack, 0
	.set _ZL23rocblas_trmm_rNx_kernelILi16E19rocblas_complex_numIfEPKS1_KS3_KPS1_Ev13rocblas_fill_17rocblas_diagonal_iiT1_lPT2_llSB_llPT3_lli.has_recursion, 0
	.set _ZL23rocblas_trmm_rNx_kernelILi16E19rocblas_complex_numIfEPKS1_KS3_KPS1_Ev13rocblas_fill_17rocblas_diagonal_iiT1_lPT2_llSB_llPT3_lli.has_indirect_call, 0
	.section	.AMDGPU.csdata,"",@progbits
; Kernel info:
; codeLenInByte = 1344
; TotalNumSgprs: 36
; NumVgprs: 41
; ScratchSize: 0
; MemoryBound: 0
; FloatMode: 240
; IeeeMode: 1
; LDSByteSize: 4096 bytes/workgroup (compile time only)
; SGPRBlocks: 4
; VGPRBlocks: 10
; NumSGPRsForWavesPerEU: 36
; NumVGPRsForWavesPerEU: 41
; Occupancy: 5
; WaveLimiterHint : 1
; COMPUTE_PGM_RSRC2:SCRATCH_EN: 0
; COMPUTE_PGM_RSRC2:USER_SGPR: 6
; COMPUTE_PGM_RSRC2:TRAP_HANDLER: 0
; COMPUTE_PGM_RSRC2:TGID_X_EN: 1
; COMPUTE_PGM_RSRC2:TGID_Y_EN: 0
; COMPUTE_PGM_RSRC2:TGID_Z_EN: 1
; COMPUTE_PGM_RSRC2:TIDIG_COMP_CNT: 1
	.section	.text._ZL23rocblas_trmm_rNx_kernelILi16E19rocblas_complex_numIfES1_KPKS1_KPS1_Ev13rocblas_fill_17rocblas_diagonal_iiT1_lPT2_llSB_llPT3_lli,"axG",@progbits,_ZL23rocblas_trmm_rNx_kernelILi16E19rocblas_complex_numIfES1_KPKS1_KPS1_Ev13rocblas_fill_17rocblas_diagonal_iiT1_lPT2_llSB_llPT3_lli,comdat
	.globl	_ZL23rocblas_trmm_rNx_kernelILi16E19rocblas_complex_numIfES1_KPKS1_KPS1_Ev13rocblas_fill_17rocblas_diagonal_iiT1_lPT2_llSB_llPT3_lli ; -- Begin function _ZL23rocblas_trmm_rNx_kernelILi16E19rocblas_complex_numIfES1_KPKS1_KPS1_Ev13rocblas_fill_17rocblas_diagonal_iiT1_lPT2_llSB_llPT3_lli
	.p2align	8
	.type	_ZL23rocblas_trmm_rNx_kernelILi16E19rocblas_complex_numIfES1_KPKS1_KPS1_Ev13rocblas_fill_17rocblas_diagonal_iiT1_lPT2_llSB_llPT3_lli,@function
_ZL23rocblas_trmm_rNx_kernelILi16E19rocblas_complex_numIfES1_KPKS1_KPS1_Ev13rocblas_fill_17rocblas_diagonal_iiT1_lPT2_llSB_llPT3_lli: ; @_ZL23rocblas_trmm_rNx_kernelILi16E19rocblas_complex_numIfES1_KPKS1_KPS1_Ev13rocblas_fill_17rocblas_diagonal_iiT1_lPT2_llSB_llPT3_lli
; %bb.0:
	s_load_dwordx2 s[2:3], s[4:5], 0x10
	s_mov_b32 s1, 0
	s_waitcnt lgkmcnt(0)
	v_cmp_neq_f32_e64 s[8:9], s2, 0
	v_cmp_neq_f32_e64 s[10:11], s3, 0
	s_or_b64 s[8:9], s[8:9], s[10:11]
	s_andn2_b64 vcc, exec, s[8:9]
	s_cbranch_vccnz .LBB175_15
; %bb.1:
	s_load_dwordx16 s[8:23], s[4:5], 0x20
	s_load_dwordx4 s[24:27], s[4:5], 0x0
	s_mov_b32 s0, s7
	s_lshl_b64 s[30:31], s[0:1], 3
	s_mov_b32 s0, s1
	s_waitcnt lgkmcnt(0)
	s_add_u32 s14, s14, s30
	s_addc_u32 s15, s15, s31
	s_load_dwordx2 s[28:29], s[14:15], 0x0
	s_add_u32 s14, s20, s30
	s_addc_u32 s15, s21, s31
	s_load_dwordx2 s[14:15], s[14:15], 0x0
	v_mov_b32_e32 v6, s1
	v_lshlrev_b32_e32 v3, 4, v1
	v_mov_b32_e32 v5, s0
	v_cmp_gt_i32_e32 vcc, s27, v1
	v_cmp_gt_i32_e64 s[0:1], s27, v0
	v_add_lshl_u32 v4, v3, v0, 3
	s_and_b64 s[0:1], vcc, s[0:1]
	v_lshlrev_b32_e32 v2, 3, v0
	ds_write2st64_b64 v4, v[5:6], v[5:6] offset1:4
	s_and_saveexec_b64 s[20:21], s[0:1]
	s_cbranch_execz .LBB175_3
; %bb.2:
	v_mad_u64_u32 v[5:6], s[0:1], s10, v1, 0
	s_add_u32 s0, s8, s30
	s_addc_u32 s1, s9, s31
	s_load_dwordx2 s[0:1], s[0:1], 0x0
	v_mad_u64_u32 v[6:7], s[8:9], s11, v1, v[6:7]
	s_lshl_b64 s[8:9], s[12:13], 3
	s_waitcnt lgkmcnt(0)
	s_add_u32 s0, s0, s8
	v_lshlrev_b64 v[5:6], 3, v[5:6]
	s_addc_u32 s1, s1, s9
	v_mov_b32_e32 v7, s1
	v_add_co_u32_e64 v5, s[0:1], s0, v5
	v_addc_co_u32_e64 v6, s[0:1], v7, v6, s[0:1]
	v_add_co_u32_e64 v5, s[0:1], v5, v2
	v_addc_co_u32_e64 v6, s[0:1], 0, v6, s[0:1]
	flat_load_dwordx2 v[5:6], v[5:6]
	s_waitcnt vmcnt(0) lgkmcnt(0)
	ds_write_b64 v4, v[5:6]
.LBB175_3:
	s_or_b64 exec, exec, s[20:21]
	s_add_i32 s0, s26, -1
	s_ashr_i32 s1, s0, 31
	s_lshr_b32 s1, s1, 28
	s_add_i32 s0, s0, s1
	s_ashr_i32 s1, s0, 4
	s_and_b32 s0, s0, -16
	s_sub_i32 s0, s26, s0
	s_cmp_ge_i32 s6, s1
	s_cselect_b32 s0, s0, 16
	s_lshl_b32 s6, s6, 4
	v_cmp_gt_i32_e64 s[0:1], s0, v0
	s_ashr_i32 s7, s6, 31
	s_and_b64 s[0:1], vcc, s[0:1]
	s_and_saveexec_b64 s[8:9], s[0:1]
	s_cbranch_execz .LBB175_5
; %bb.4:
	v_mad_u64_u32 v[5:6], s[10:11], s16, v1, 0
	s_lshl_b64 s[10:11], s[18:19], 3
	s_waitcnt lgkmcnt(0)
	s_add_u32 s12, s28, s10
	s_addc_u32 s13, s29, s11
	v_mad_u64_u32 v[6:7], s[10:11], s17, v1, v[6:7]
	s_lshl_b64 s[10:11], s[6:7], 3
	s_add_u32 s10, s12, s10
	v_lshlrev_b64 v[5:6], 3, v[5:6]
	s_addc_u32 s11, s13, s11
	v_mov_b32_e32 v7, s11
	v_add_co_u32_e32 v5, vcc, s10, v5
	v_addc_co_u32_e32 v6, vcc, v7, v6, vcc
	v_add_co_u32_e32 v5, vcc, v5, v2
	v_addc_co_u32_e32 v6, vcc, 0, v6, vcc
	flat_load_dwordx2 v[5:6], v[5:6]
	v_add_u32_e32 v7, 0x800, v4
	s_waitcnt vmcnt(0) lgkmcnt(0)
	ds_write_b64 v7, v[5:6]
.LBB175_5:
	s_or_b64 exec, exec, s[8:9]
	s_cmpk_eq_i32 s25, 0x84
	s_cselect_b64 s[8:9], -1, 0
	v_cmp_eq_u32_e32 vcc, v1, v0
	s_and_b64 s[10:11], vcc, s[8:9]
	s_and_saveexec_b64 s[8:9], s[10:11]
; %bb.6:
	v_mov_b32_e32 v5, 1.0
	v_mov_b32_e32 v6, 0
	ds_write_b64 v4, v[5:6]
; %bb.7:
	s_or_b64 exec, exec, s[8:9]
	s_cmpk_lg_i32 s24, 0x79
	s_cbranch_scc0 .LBB175_9
; %bb.8:
	v_cmp_lt_u32_e32 vcc, v0, v1
	s_and_b64 s[8:9], vcc, exec
	s_cbranch_execz .LBB175_10
	s_branch .LBB175_11
.LBB175_9:
	s_mov_b64 s[8:9], 0
.LBB175_10:
	v_cmp_gt_u32_e32 vcc, v0, v1
	s_andn2_b64 s[8:9], s[8:9], exec
	s_and_b64 s[10:11], vcc, exec
	s_or_b64 s[8:9], s[8:9], s[10:11]
.LBB175_11:
	s_and_saveexec_b64 s[10:11], s[8:9]
; %bb.12:
	v_mov_b32_e32 v5, 0
	v_mov_b32_e32 v6, v5
	ds_write_b64 v4, v[5:6]
; %bb.13:
	s_or_b64 exec, exec, s[10:11]
	s_waitcnt lgkmcnt(0)
	s_barrier
	s_and_saveexec_b64 s[8:9], s[0:1]
	s_cbranch_execz .LBB175_15
; %bb.14:
	v_add_u32_e32 v19, 0x800, v2
	v_lshlrev_b32_e32 v0, 3, v3
	ds_read2_b64 v[3:6], v19 offset1:16
	ds_read_b128 v[7:10], v0
	ds_read_b128 v[11:14], v0 offset:16
	ds_read2_b64 v[15:18], v19 offset0:32 offset1:48
	s_load_dwordx2 s[0:1], s[4:5], 0x60
	s_waitcnt lgkmcnt(0)
	v_mul_f32_e32 v20, v7, v4
	v_mul_f32_e32 v4, v8, v4
	;; [unrolled: 1-line block ×3, first 2 shown]
	v_fmac_f32_e32 v20, v8, v3
	v_fma_f32 v22, v7, v3, -v4
	v_mul_f32_e32 v3, v10, v6
	v_fmac_f32_e32 v21, v10, v5
	v_fma_f32 v23, v9, v5, -v3
	ds_read2_b64 v[3:6], v19 offset0:64 offset1:80
	ds_read_b128 v[7:10], v0 offset:32
	v_mul_f32_e32 v24, v11, v16
	v_fmac_f32_e32 v24, v12, v15
	v_mul_f32_e32 v12, v12, v16
	v_mul_f32_e32 v25, v13, v18
	v_fma_f32 v26, v11, v15, -v12
	v_mul_f32_e32 v11, v14, v18
	v_fmac_f32_e32 v25, v14, v17
	v_fma_f32 v27, v13, v17, -v11
	ds_read_b128 v[11:14], v0 offset:48
	ds_read2_b64 v[15:18], v19 offset0:96 offset1:112
	s_waitcnt lgkmcnt(2)
	v_mul_f32_e32 v28, v7, v4
	v_mul_f32_e32 v4, v8, v4
	v_fmac_f32_e32 v28, v8, v3
	v_mul_f32_e32 v29, v9, v6
	v_fma_f32 v30, v7, v3, -v4
	v_mul_f32_e32 v3, v10, v6
	v_fmac_f32_e32 v29, v10, v5
	v_fma_f32 v31, v9, v5, -v3
	ds_read2_b64 v[3:6], v19 offset0:128 offset1:144
	ds_read_b128 v[7:10], v0 offset:64
	s_waitcnt lgkmcnt(2)
	v_mul_f32_e32 v32, v11, v16
	v_fmac_f32_e32 v32, v12, v15
	v_mul_f32_e32 v12, v12, v16
	v_mul_f32_e32 v33, v13, v18
	v_fma_f32 v15, v11, v15, -v12
	v_mul_f32_e32 v11, v14, v18
	v_fmac_f32_e32 v33, v14, v17
	v_fma_f32 v16, v13, v17, -v11
	s_waitcnt lgkmcnt(0)
	v_mul_f32_e32 v17, v7, v4
	v_mul_f32_e32 v4, v8, v4
	v_fmac_f32_e32 v17, v8, v3
	v_mul_f32_e32 v18, v9, v6
	v_fma_f32 v34, v7, v3, -v4
	v_mul_f32_e32 v3, v10, v6
	ds_read_b128 v[11:14], v0 offset:80
	v_fmac_f32_e32 v18, v10, v5
	v_fma_f32 v35, v9, v5, -v3
	ds_read2_b64 v[3:6], v19 offset0:160 offset1:176
	s_lshl_b64 s[0:1], s[0:1], 3
	s_add_u32 s4, s14, s0
	s_addc_u32 s5, s15, s1
	s_lshl_b64 s[0:1], s[6:7], 3
	s_waitcnt lgkmcnt(0)
	v_mul_f32_e32 v36, v11, v4
	v_mul_f32_e32 v4, v12, v4
	v_fmac_f32_e32 v36, v12, v3
	v_mul_f32_e32 v37, v13, v6
	v_fma_f32 v38, v11, v3, -v4
	v_mul_f32_e32 v3, v14, v6
	v_fmac_f32_e32 v37, v14, v5
	v_fma_f32 v39, v13, v5, -v3
	ds_read2_b64 v[3:6], v19 offset0:192 offset1:208
	ds_read_b128 v[7:10], v0 offset:96
	ds_read_b128 v[11:14], v0 offset:112
	s_add_u32 s4, s4, s0
	s_addc_u32 s5, s5, s1
	s_waitcnt lgkmcnt(1)
	v_mul_f32_e32 v0, v7, v4
	v_mul_f32_e32 v4, v8, v4
	v_fmac_f32_e32 v0, v8, v3
	v_fma_f32 v7, v7, v3, -v4
	v_mul_f32_e32 v3, v10, v6
	v_fma_f32 v8, v9, v5, -v3
	v_add_f32_e32 v3, 0, v20
	v_add_f32_e32 v3, v3, v21
	;; [unrolled: 1-line block ×8, first 2 shown]
	v_mul_f32_e32 v40, v9, v6
	v_add_f32_e32 v3, v3, v17
	v_fmac_f32_e32 v40, v10, v5
	v_add_f32_e32 v9, v3, v18
	ds_read2_b64 v[3:6], v19 offset0:224 offset1:240
	v_add_f32_e32 v9, v9, v36
	v_add_f32_e32 v9, v9, v37
	;; [unrolled: 1-line block ×4, first 2 shown]
	s_waitcnt lgkmcnt(0)
	v_mul_f32_e32 v9, v11, v4
	v_fmac_f32_e32 v9, v12, v3
	v_add_f32_e32 v0, v0, v9
	v_mul_f32_e32 v9, v13, v6
	v_fmac_f32_e32 v9, v14, v5
	v_add_f32_e32 v9, v0, v9
	v_add_f32_e32 v0, 0, v22
	;; [unrolled: 1-line block ×14, first 2 shown]
	v_mul_f32_e32 v4, v12, v4
	v_add_f32_e32 v0, v0, v8
	v_fma_f32 v3, v11, v3, -v4
	v_add_f32_e32 v0, v0, v3
	v_mad_u64_u32 v[3:4], s[0:1], s22, v1, 0
	v_mul_f32_e32 v6, v14, v6
	v_fma_f32 v5, v13, v5, -v6
	v_add_f32_e32 v5, v0, v5
	v_mov_b32_e32 v0, v4
	v_mad_u64_u32 v[0:1], s[0:1], s23, v1, v[0:1]
	v_mul_f32_e32 v6, s2, v9
	v_mul_f32_e32 v1, s3, v9
	v_mov_b32_e32 v4, v0
	v_fmac_f32_e32 v6, s3, v5
	v_fma_f32 v5, s2, v5, -v1
	v_lshlrev_b64 v[0:1], 3, v[3:4]
	v_mov_b32_e32 v3, s5
	v_add_co_u32_e32 v0, vcc, s4, v0
	v_addc_co_u32_e32 v1, vcc, v3, v1, vcc
	v_add_co_u32_e32 v0, vcc, v0, v2
	v_addc_co_u32_e32 v1, vcc, 0, v1, vcc
	flat_store_dwordx2 v[0:1], v[5:6]
.LBB175_15:
	s_endpgm
	.section	.rodata,"a",@progbits
	.p2align	6, 0x0
	.amdhsa_kernel _ZL23rocblas_trmm_rNx_kernelILi16E19rocblas_complex_numIfES1_KPKS1_KPS1_Ev13rocblas_fill_17rocblas_diagonal_iiT1_lPT2_llSB_llPT3_lli
		.amdhsa_group_segment_fixed_size 4096
		.amdhsa_private_segment_fixed_size 0
		.amdhsa_kernarg_size 108
		.amdhsa_user_sgpr_count 6
		.amdhsa_user_sgpr_private_segment_buffer 1
		.amdhsa_user_sgpr_dispatch_ptr 0
		.amdhsa_user_sgpr_queue_ptr 0
		.amdhsa_user_sgpr_kernarg_segment_ptr 1
		.amdhsa_user_sgpr_dispatch_id 0
		.amdhsa_user_sgpr_flat_scratch_init 0
		.amdhsa_user_sgpr_private_segment_size 0
		.amdhsa_uses_dynamic_stack 0
		.amdhsa_system_sgpr_private_segment_wavefront_offset 0
		.amdhsa_system_sgpr_workgroup_id_x 1
		.amdhsa_system_sgpr_workgroup_id_y 0
		.amdhsa_system_sgpr_workgroup_id_z 1
		.amdhsa_system_sgpr_workgroup_info 0
		.amdhsa_system_vgpr_workitem_id 1
		.amdhsa_next_free_vgpr 41
		.amdhsa_next_free_sgpr 32
		.amdhsa_reserve_vcc 1
		.amdhsa_reserve_flat_scratch 0
		.amdhsa_float_round_mode_32 0
		.amdhsa_float_round_mode_16_64 0
		.amdhsa_float_denorm_mode_32 3
		.amdhsa_float_denorm_mode_16_64 3
		.amdhsa_dx10_clamp 1
		.amdhsa_ieee_mode 1
		.amdhsa_fp16_overflow 0
		.amdhsa_exception_fp_ieee_invalid_op 0
		.amdhsa_exception_fp_denorm_src 0
		.amdhsa_exception_fp_ieee_div_zero 0
		.amdhsa_exception_fp_ieee_overflow 0
		.amdhsa_exception_fp_ieee_underflow 0
		.amdhsa_exception_fp_ieee_inexact 0
		.amdhsa_exception_int_div_zero 0
	.end_amdhsa_kernel
	.section	.text._ZL23rocblas_trmm_rNx_kernelILi16E19rocblas_complex_numIfES1_KPKS1_KPS1_Ev13rocblas_fill_17rocblas_diagonal_iiT1_lPT2_llSB_llPT3_lli,"axG",@progbits,_ZL23rocblas_trmm_rNx_kernelILi16E19rocblas_complex_numIfES1_KPKS1_KPS1_Ev13rocblas_fill_17rocblas_diagonal_iiT1_lPT2_llSB_llPT3_lli,comdat
.Lfunc_end175:
	.size	_ZL23rocblas_trmm_rNx_kernelILi16E19rocblas_complex_numIfES1_KPKS1_KPS1_Ev13rocblas_fill_17rocblas_diagonal_iiT1_lPT2_llSB_llPT3_lli, .Lfunc_end175-_ZL23rocblas_trmm_rNx_kernelILi16E19rocblas_complex_numIfES1_KPKS1_KPS1_Ev13rocblas_fill_17rocblas_diagonal_iiT1_lPT2_llSB_llPT3_lli
                                        ; -- End function
	.set _ZL23rocblas_trmm_rNx_kernelILi16E19rocblas_complex_numIfES1_KPKS1_KPS1_Ev13rocblas_fill_17rocblas_diagonal_iiT1_lPT2_llSB_llPT3_lli.num_vgpr, 41
	.set _ZL23rocblas_trmm_rNx_kernelILi16E19rocblas_complex_numIfES1_KPKS1_KPS1_Ev13rocblas_fill_17rocblas_diagonal_iiT1_lPT2_llSB_llPT3_lli.num_agpr, 0
	.set _ZL23rocblas_trmm_rNx_kernelILi16E19rocblas_complex_numIfES1_KPKS1_KPS1_Ev13rocblas_fill_17rocblas_diagonal_iiT1_lPT2_llSB_llPT3_lli.numbered_sgpr, 32
	.set _ZL23rocblas_trmm_rNx_kernelILi16E19rocblas_complex_numIfES1_KPKS1_KPS1_Ev13rocblas_fill_17rocblas_diagonal_iiT1_lPT2_llSB_llPT3_lli.num_named_barrier, 0
	.set _ZL23rocblas_trmm_rNx_kernelILi16E19rocblas_complex_numIfES1_KPKS1_KPS1_Ev13rocblas_fill_17rocblas_diagonal_iiT1_lPT2_llSB_llPT3_lli.private_seg_size, 0
	.set _ZL23rocblas_trmm_rNx_kernelILi16E19rocblas_complex_numIfES1_KPKS1_KPS1_Ev13rocblas_fill_17rocblas_diagonal_iiT1_lPT2_llSB_llPT3_lli.uses_vcc, 1
	.set _ZL23rocblas_trmm_rNx_kernelILi16E19rocblas_complex_numIfES1_KPKS1_KPS1_Ev13rocblas_fill_17rocblas_diagonal_iiT1_lPT2_llSB_llPT3_lli.uses_flat_scratch, 0
	.set _ZL23rocblas_trmm_rNx_kernelILi16E19rocblas_complex_numIfES1_KPKS1_KPS1_Ev13rocblas_fill_17rocblas_diagonal_iiT1_lPT2_llSB_llPT3_lli.has_dyn_sized_stack, 0
	.set _ZL23rocblas_trmm_rNx_kernelILi16E19rocblas_complex_numIfES1_KPKS1_KPS1_Ev13rocblas_fill_17rocblas_diagonal_iiT1_lPT2_llSB_llPT3_lli.has_recursion, 0
	.set _ZL23rocblas_trmm_rNx_kernelILi16E19rocblas_complex_numIfES1_KPKS1_KPS1_Ev13rocblas_fill_17rocblas_diagonal_iiT1_lPT2_llSB_llPT3_lli.has_indirect_call, 0
	.section	.AMDGPU.csdata,"",@progbits
; Kernel info:
; codeLenInByte = 1304
; TotalNumSgprs: 36
; NumVgprs: 41
; ScratchSize: 0
; MemoryBound: 0
; FloatMode: 240
; IeeeMode: 1
; LDSByteSize: 4096 bytes/workgroup (compile time only)
; SGPRBlocks: 4
; VGPRBlocks: 10
; NumSGPRsForWavesPerEU: 36
; NumVGPRsForWavesPerEU: 41
; Occupancy: 5
; WaveLimiterHint : 1
; COMPUTE_PGM_RSRC2:SCRATCH_EN: 0
; COMPUTE_PGM_RSRC2:USER_SGPR: 6
; COMPUTE_PGM_RSRC2:TRAP_HANDLER: 0
; COMPUTE_PGM_RSRC2:TGID_X_EN: 1
; COMPUTE_PGM_RSRC2:TGID_Y_EN: 0
; COMPUTE_PGM_RSRC2:TGID_Z_EN: 1
; COMPUTE_PGM_RSRC2:TIDIG_COMP_CNT: 1
	.section	.text._ZL23rocblas_trmm_rTx_kernelILi16ELb0E19rocblas_complex_numIfEPKS1_KS3_KPS1_Ev13rocblas_fill_17rocblas_diagonal_iiT2_lPT3_llSB_llPT4_lli,"axG",@progbits,_ZL23rocblas_trmm_rTx_kernelILi16ELb0E19rocblas_complex_numIfEPKS1_KS3_KPS1_Ev13rocblas_fill_17rocblas_diagonal_iiT2_lPT3_llSB_llPT4_lli,comdat
	.globl	_ZL23rocblas_trmm_rTx_kernelILi16ELb0E19rocblas_complex_numIfEPKS1_KS3_KPS1_Ev13rocblas_fill_17rocblas_diagonal_iiT2_lPT3_llSB_llPT4_lli ; -- Begin function _ZL23rocblas_trmm_rTx_kernelILi16ELb0E19rocblas_complex_numIfEPKS1_KS3_KPS1_Ev13rocblas_fill_17rocblas_diagonal_iiT2_lPT3_llSB_llPT4_lli
	.p2align	8
	.type	_ZL23rocblas_trmm_rTx_kernelILi16ELb0E19rocblas_complex_numIfEPKS1_KS3_KPS1_Ev13rocblas_fill_17rocblas_diagonal_iiT2_lPT3_llSB_llPT4_lli,@function
_ZL23rocblas_trmm_rTx_kernelILi16ELb0E19rocblas_complex_numIfEPKS1_KS3_KPS1_Ev13rocblas_fill_17rocblas_diagonal_iiT2_lPT3_llSB_llPT4_lli: ; @_ZL23rocblas_trmm_rTx_kernelILi16ELb0E19rocblas_complex_numIfEPKS1_KS3_KPS1_Ev13rocblas_fill_17rocblas_diagonal_iiT2_lPT3_llSB_llPT4_lli
; %bb.0:
	s_load_dwordx16 s[8:23], s[4:5], 0x10
	s_mov_b32 s29, 0
	s_waitcnt lgkmcnt(0)
	s_mul_i32 s0, s11, s7
	s_mul_hi_u32 s1, s10, s7
	s_add_i32 s1, s1, s0
	s_mul_i32 s0, s10, s7
	s_lshl_b64 s[0:1], s[0:1], 3
	s_add_u32 s0, s8, s0
	s_addc_u32 s1, s9, s1
	s_load_dwordx2 s[24:25], s[0:1], 0x0
	s_waitcnt lgkmcnt(0)
	v_cmp_neq_f32_e64 s[0:1], s24, 0
	v_cmp_neq_f32_e64 s[2:3], s25, 0
	s_or_b64 s[0:1], s[0:1], s[2:3]
	s_andn2_b64 vcc, exec, s[0:1]
	s_cbranch_vccnz .LBB176_15
; %bb.1:
	s_load_dwordx4 s[8:11], s[4:5], 0x0
	s_load_dwordx4 s[0:3], s[4:5], 0x50
	s_mov_b32 s28, s7
	s_lshl_b64 s[30:31], s[28:29], 3
	s_add_u32 s18, s18, s30
	s_addc_u32 s19, s19, s31
	s_waitcnt lgkmcnt(0)
	s_add_u32 s0, s0, s30
	s_addc_u32 s1, s1, s31
	s_load_dwordx2 s[26:27], s[18:19], 0x0
	s_mov_b32 s28, s29
	s_load_dwordx2 s[18:19], s[0:1], 0x0
	v_lshlrev_b32_e32 v2, 4, v1
	v_mov_b32_e32 v4, s28
	v_cmp_gt_i32_e32 vcc, s11, v1
	v_cmp_gt_i32_e64 s[0:1], s11, v0
	v_add_lshl_u32 v3, v2, v0, 3
	v_mov_b32_e32 v5, s29
	s_and_b64 s[0:1], vcc, s[0:1]
	v_lshlrev_b32_e32 v2, 3, v0
	ds_write2st64_b64 v3, v[4:5], v[4:5] offset1:4
	s_and_saveexec_b64 s[28:29], s[0:1]
	s_cbranch_execz .LBB176_3
; %bb.2:
	v_mad_u64_u32 v[4:5], s[0:1], s14, v1, 0
	s_add_u32 s0, s12, s30
	s_addc_u32 s1, s13, s31
	s_load_dwordx2 s[0:1], s[0:1], 0x0
	v_mad_u64_u32 v[5:6], s[12:13], s15, v1, v[5:6]
	s_lshl_b64 s[12:13], s[16:17], 3
	s_waitcnt lgkmcnt(0)
	s_add_u32 s0, s0, s12
	v_lshlrev_b64 v[4:5], 3, v[4:5]
	s_addc_u32 s1, s1, s13
	v_mov_b32_e32 v6, s1
	v_add_co_u32_e64 v4, s[0:1], s0, v4
	v_addc_co_u32_e64 v5, s[0:1], v6, v5, s[0:1]
	v_add_co_u32_e64 v4, s[0:1], v4, v2
	v_addc_co_u32_e64 v5, s[0:1], 0, v5, s[0:1]
	flat_load_dwordx2 v[4:5], v[4:5]
	s_waitcnt vmcnt(0) lgkmcnt(0)
	ds_write_b64 v3, v[4:5]
.LBB176_3:
	s_or_b64 exec, exec, s[28:29]
	s_add_i32 s0, s10, -1
	s_ashr_i32 s1, s0, 31
	s_lshr_b32 s1, s1, 28
	s_add_i32 s0, s0, s1
	s_ashr_i32 s1, s0, 4
	s_and_b32 s0, s0, -16
	s_sub_i32 s0, s10, s0
	s_cmp_ge_i32 s6, s1
	s_cselect_b32 s0, s0, 16
	s_lshl_b32 s6, s6, 4
	v_cmp_gt_i32_e64 s[0:1], s0, v0
	s_ashr_i32 s7, s6, 31
	s_and_b64 s[0:1], vcc, s[0:1]
	s_and_saveexec_b64 s[10:11], s[0:1]
	s_cbranch_execz .LBB176_5
; %bb.4:
	v_mad_u64_u32 v[4:5], s[12:13], s20, v1, 0
	s_lshl_b64 s[12:13], s[22:23], 3
	s_waitcnt lgkmcnt(0)
	s_add_u32 s14, s26, s12
	s_addc_u32 s15, s27, s13
	v_mad_u64_u32 v[5:6], s[12:13], s21, v1, v[5:6]
	s_lshl_b64 s[12:13], s[6:7], 3
	s_add_u32 s12, s14, s12
	v_lshlrev_b64 v[4:5], 3, v[4:5]
	s_addc_u32 s13, s15, s13
	v_mov_b32_e32 v6, s13
	v_add_co_u32_e32 v4, vcc, s12, v4
	v_addc_co_u32_e32 v5, vcc, v6, v5, vcc
	v_add_co_u32_e32 v4, vcc, v4, v2
	v_addc_co_u32_e32 v5, vcc, 0, v5, vcc
	flat_load_dwordx2 v[4:5], v[4:5]
	v_add_u32_e32 v6, 0x800, v3
	s_waitcnt vmcnt(0) lgkmcnt(0)
	ds_write_b64 v6, v[4:5]
.LBB176_5:
	s_or_b64 exec, exec, s[10:11]
	s_cmpk_eq_i32 s9, 0x84
	s_cselect_b64 s[10:11], -1, 0
	v_cmp_eq_u32_e32 vcc, v1, v0
	s_and_b64 s[12:13], vcc, s[10:11]
	s_and_saveexec_b64 s[10:11], s[12:13]
; %bb.6:
	v_mov_b32_e32 v4, 1.0
	v_mov_b32_e32 v5, 0
	ds_write_b64 v3, v[4:5]
; %bb.7:
	s_or_b64 exec, exec, s[10:11]
	s_cmpk_lg_i32 s8, 0x79
	s_cbranch_scc0 .LBB176_9
; %bb.8:
	v_cmp_lt_u32_e32 vcc, v0, v1
	s_and_b64 s[8:9], vcc, exec
	s_cbranch_execz .LBB176_10
	s_branch .LBB176_11
.LBB176_9:
	s_mov_b64 s[8:9], 0
.LBB176_10:
	v_cmp_gt_u32_e32 vcc, v0, v1
	s_andn2_b64 s[8:9], s[8:9], exec
	s_and_b64 s[10:11], vcc, exec
	s_or_b64 s[8:9], s[8:9], s[10:11]
.LBB176_11:
	s_and_saveexec_b64 s[10:11], s[8:9]
; %bb.12:
	v_mov_b32_e32 v4, 0
	v_mov_b32_e32 v5, v4
	ds_write_b64 v3, v[4:5]
; %bb.13:
	s_or_b64 exec, exec, s[10:11]
	s_waitcnt lgkmcnt(0)
	s_barrier
	s_and_saveexec_b64 s[8:9], s[0:1]
	s_cbranch_execz .LBB176_15
; %bb.14:
	v_lshlrev_b32_e32 v0, 3, v1
	v_add_u32_e32 v19, 0x800, v2
	ds_read2_b64 v[3:6], v0 offset1:16
	ds_read2_b64 v[7:10], v19 offset1:16
	ds_read2_b64 v[11:14], v0 offset0:32 offset1:48
	ds_read2_b64 v[15:18], v19 offset0:32 offset1:48
	s_load_dwordx2 s[0:1], s[4:5], 0x60
	s_waitcnt lgkmcnt(0)
	v_mul_f32_e32 v20, v3, v8
	v_fmac_f32_e32 v20, v4, v7
	v_mul_f32_e32 v4, v4, v8
	v_mul_f32_e32 v21, v5, v10
	v_fma_f32 v22, v3, v7, -v4
	v_mul_f32_e32 v3, v6, v10
	v_fmac_f32_e32 v21, v6, v9
	v_fma_f32 v23, v5, v9, -v3
	ds_read2_b64 v[3:6], v0 offset0:64 offset1:80
	ds_read2_b64 v[7:10], v19 offset0:64 offset1:80
	v_mul_f32_e32 v24, v11, v16
	v_fmac_f32_e32 v24, v12, v15
	v_mul_f32_e32 v12, v12, v16
	v_mul_f32_e32 v25, v13, v18
	v_fma_f32 v26, v11, v15, -v12
	v_mul_f32_e32 v11, v14, v18
	v_fmac_f32_e32 v25, v14, v17
	v_fma_f32 v27, v13, v17, -v11
	s_waitcnt lgkmcnt(0)
	v_mul_f32_e32 v28, v3, v8
	ds_read2_b64 v[11:14], v0 offset0:96 offset1:112
	ds_read2_b64 v[15:18], v19 offset0:96 offset1:112
	v_fmac_f32_e32 v28, v4, v7
	v_mul_f32_e32 v4, v4, v8
	v_mul_f32_e32 v29, v5, v10
	v_fma_f32 v30, v3, v7, -v4
	v_mul_f32_e32 v3, v6, v10
	v_fmac_f32_e32 v29, v6, v9
	v_fma_f32 v31, v5, v9, -v3
	ds_read2_b64 v[3:6], v0 offset0:128 offset1:144
	ds_read2_b64 v[7:10], v19 offset0:128 offset1:144
	s_waitcnt lgkmcnt(2)
	v_mul_f32_e32 v32, v11, v16
	v_fmac_f32_e32 v32, v12, v15
	v_mul_f32_e32 v12, v12, v16
	v_fma_f32 v11, v11, v15, -v12
	v_mul_f32_e32 v12, v14, v18
	v_mul_f32_e32 v33, v13, v18
	v_fma_f32 v12, v13, v17, -v12
	s_waitcnt lgkmcnt(0)
	v_mul_f32_e32 v13, v3, v8
	v_fmac_f32_e32 v13, v4, v7
	v_mul_f32_e32 v4, v4, v8
	v_fmac_f32_e32 v33, v14, v17
	v_mul_f32_e32 v14, v5, v10
	v_fma_f32 v15, v3, v7, -v4
	v_mul_f32_e32 v3, v6, v10
	v_fmac_f32_e32 v14, v6, v9
	v_fma_f32 v16, v5, v9, -v3
	ds_read2_b64 v[3:6], v0 offset0:160 offset1:176
	ds_read2_b64 v[7:10], v19 offset0:160 offset1:176
	s_lshl_b64 s[0:1], s[0:1], 3
	s_add_u32 s4, s18, s0
	s_addc_u32 s5, s19, s1
	s_lshl_b64 s[0:1], s[6:7], 3
	s_waitcnt lgkmcnt(0)
	v_mul_f32_e32 v17, v3, v8
	v_fmac_f32_e32 v17, v4, v7
	v_mul_f32_e32 v4, v4, v8
	v_mul_f32_e32 v18, v5, v10
	v_fma_f32 v34, v3, v7, -v4
	v_mul_f32_e32 v3, v6, v10
	v_fmac_f32_e32 v18, v6, v9
	v_fma_f32 v35, v5, v9, -v3
	ds_read2_b64 v[3:6], v0 offset0:192 offset1:208
	ds_read2_b64 v[7:10], v19 offset0:192 offset1:208
	s_add_u32 s4, s4, s0
	s_addc_u32 s5, s5, s1
	s_waitcnt lgkmcnt(0)
	v_mul_f32_e32 v36, v3, v8
	v_fmac_f32_e32 v36, v4, v7
	v_mul_f32_e32 v4, v4, v8
	v_fma_f32 v38, v3, v7, -v4
	v_mul_f32_e32 v3, v6, v10
	v_fma_f32 v39, v5, v9, -v3
	v_add_f32_e32 v3, 0, v20
	v_add_f32_e32 v3, v3, v21
	;; [unrolled: 1-line block ×8, first 2 shown]
	v_mul_f32_e32 v37, v5, v10
	v_add_f32_e32 v3, v3, v13
	v_fmac_f32_e32 v37, v6, v9
	v_add_f32_e32 v13, v3, v14
	ds_read2_b64 v[3:6], v0 offset0:224 offset1:240
	ds_read2_b64 v[7:10], v19 offset0:224 offset1:240
	v_add_f32_e32 v0, v13, v17
	v_add_f32_e32 v0, v0, v18
	;; [unrolled: 1-line block ×4, first 2 shown]
	s_waitcnt lgkmcnt(0)
	v_mul_f32_e32 v13, v3, v8
	v_fmac_f32_e32 v13, v4, v7
	v_add_f32_e32 v0, v0, v13
	v_mul_f32_e32 v13, v5, v10
	v_fmac_f32_e32 v13, v6, v9
	v_add_f32_e32 v13, v0, v13
	v_add_f32_e32 v0, 0, v22
	;; [unrolled: 1-line block ×14, first 2 shown]
	v_mul_f32_e32 v4, v4, v8
	v_add_f32_e32 v0, v0, v39
	v_fma_f32 v3, v3, v7, -v4
	v_add_f32_e32 v0, v0, v3
	v_mad_u64_u32 v[3:4], s[0:1], s2, v1, 0
	v_mul_f32_e32 v6, v6, v10
	v_fma_f32 v5, v5, v9, -v6
	v_add_f32_e32 v5, v0, v5
	v_mov_b32_e32 v0, v4
	v_mad_u64_u32 v[0:1], s[0:1], s3, v1, v[0:1]
	v_mul_f32_e32 v6, s24, v13
	v_mul_f32_e32 v1, s25, v13
	v_mov_b32_e32 v4, v0
	v_fmac_f32_e32 v6, s25, v5
	v_fma_f32 v5, s24, v5, -v1
	v_lshlrev_b64 v[0:1], 3, v[3:4]
	v_mov_b32_e32 v3, s5
	v_add_co_u32_e32 v0, vcc, s4, v0
	v_addc_co_u32_e32 v1, vcc, v3, v1, vcc
	v_add_co_u32_e32 v0, vcc, v0, v2
	v_addc_co_u32_e32 v1, vcc, 0, v1, vcc
	flat_store_dwordx2 v[0:1], v[5:6]
.LBB176_15:
	s_endpgm
	.section	.rodata,"a",@progbits
	.p2align	6, 0x0
	.amdhsa_kernel _ZL23rocblas_trmm_rTx_kernelILi16ELb0E19rocblas_complex_numIfEPKS1_KS3_KPS1_Ev13rocblas_fill_17rocblas_diagonal_iiT2_lPT3_llSB_llPT4_lli
		.amdhsa_group_segment_fixed_size 4096
		.amdhsa_private_segment_fixed_size 0
		.amdhsa_kernarg_size 108
		.amdhsa_user_sgpr_count 6
		.amdhsa_user_sgpr_private_segment_buffer 1
		.amdhsa_user_sgpr_dispatch_ptr 0
		.amdhsa_user_sgpr_queue_ptr 0
		.amdhsa_user_sgpr_kernarg_segment_ptr 1
		.amdhsa_user_sgpr_dispatch_id 0
		.amdhsa_user_sgpr_flat_scratch_init 0
		.amdhsa_user_sgpr_private_segment_size 0
		.amdhsa_uses_dynamic_stack 0
		.amdhsa_system_sgpr_private_segment_wavefront_offset 0
		.amdhsa_system_sgpr_workgroup_id_x 1
		.amdhsa_system_sgpr_workgroup_id_y 0
		.amdhsa_system_sgpr_workgroup_id_z 1
		.amdhsa_system_sgpr_workgroup_info 0
		.amdhsa_system_vgpr_workitem_id 1
		.amdhsa_next_free_vgpr 40
		.amdhsa_next_free_sgpr 32
		.amdhsa_reserve_vcc 1
		.amdhsa_reserve_flat_scratch 0
		.amdhsa_float_round_mode_32 0
		.amdhsa_float_round_mode_16_64 0
		.amdhsa_float_denorm_mode_32 3
		.amdhsa_float_denorm_mode_16_64 3
		.amdhsa_dx10_clamp 1
		.amdhsa_ieee_mode 1
		.amdhsa_fp16_overflow 0
		.amdhsa_exception_fp_ieee_invalid_op 0
		.amdhsa_exception_fp_denorm_src 0
		.amdhsa_exception_fp_ieee_div_zero 0
		.amdhsa_exception_fp_ieee_overflow 0
		.amdhsa_exception_fp_ieee_underflow 0
		.amdhsa_exception_fp_ieee_inexact 0
		.amdhsa_exception_int_div_zero 0
	.end_amdhsa_kernel
	.section	.text._ZL23rocblas_trmm_rTx_kernelILi16ELb0E19rocblas_complex_numIfEPKS1_KS3_KPS1_Ev13rocblas_fill_17rocblas_diagonal_iiT2_lPT3_llSB_llPT4_lli,"axG",@progbits,_ZL23rocblas_trmm_rTx_kernelILi16ELb0E19rocblas_complex_numIfEPKS1_KS3_KPS1_Ev13rocblas_fill_17rocblas_diagonal_iiT2_lPT3_llSB_llPT4_lli,comdat
.Lfunc_end176:
	.size	_ZL23rocblas_trmm_rTx_kernelILi16ELb0E19rocblas_complex_numIfEPKS1_KS3_KPS1_Ev13rocblas_fill_17rocblas_diagonal_iiT2_lPT3_llSB_llPT4_lli, .Lfunc_end176-_ZL23rocblas_trmm_rTx_kernelILi16ELb0E19rocblas_complex_numIfEPKS1_KS3_KPS1_Ev13rocblas_fill_17rocblas_diagonal_iiT2_lPT3_llSB_llPT4_lli
                                        ; -- End function
	.set _ZL23rocblas_trmm_rTx_kernelILi16ELb0E19rocblas_complex_numIfEPKS1_KS3_KPS1_Ev13rocblas_fill_17rocblas_diagonal_iiT2_lPT3_llSB_llPT4_lli.num_vgpr, 40
	.set _ZL23rocblas_trmm_rTx_kernelILi16ELb0E19rocblas_complex_numIfEPKS1_KS3_KPS1_Ev13rocblas_fill_17rocblas_diagonal_iiT2_lPT3_llSB_llPT4_lli.num_agpr, 0
	.set _ZL23rocblas_trmm_rTx_kernelILi16ELb0E19rocblas_complex_numIfEPKS1_KS3_KPS1_Ev13rocblas_fill_17rocblas_diagonal_iiT2_lPT3_llSB_llPT4_lli.numbered_sgpr, 32
	.set _ZL23rocblas_trmm_rTx_kernelILi16ELb0E19rocblas_complex_numIfEPKS1_KS3_KPS1_Ev13rocblas_fill_17rocblas_diagonal_iiT2_lPT3_llSB_llPT4_lli.num_named_barrier, 0
	.set _ZL23rocblas_trmm_rTx_kernelILi16ELb0E19rocblas_complex_numIfEPKS1_KS3_KPS1_Ev13rocblas_fill_17rocblas_diagonal_iiT2_lPT3_llSB_llPT4_lli.private_seg_size, 0
	.set _ZL23rocblas_trmm_rTx_kernelILi16ELb0E19rocblas_complex_numIfEPKS1_KS3_KPS1_Ev13rocblas_fill_17rocblas_diagonal_iiT2_lPT3_llSB_llPT4_lli.uses_vcc, 1
	.set _ZL23rocblas_trmm_rTx_kernelILi16ELb0E19rocblas_complex_numIfEPKS1_KS3_KPS1_Ev13rocblas_fill_17rocblas_diagonal_iiT2_lPT3_llSB_llPT4_lli.uses_flat_scratch, 0
	.set _ZL23rocblas_trmm_rTx_kernelILi16ELb0E19rocblas_complex_numIfEPKS1_KS3_KPS1_Ev13rocblas_fill_17rocblas_diagonal_iiT2_lPT3_llSB_llPT4_lli.has_dyn_sized_stack, 0
	.set _ZL23rocblas_trmm_rTx_kernelILi16ELb0E19rocblas_complex_numIfEPKS1_KS3_KPS1_Ev13rocblas_fill_17rocblas_diagonal_iiT2_lPT3_llSB_llPT4_lli.has_recursion, 0
	.set _ZL23rocblas_trmm_rTx_kernelILi16ELb0E19rocblas_complex_numIfEPKS1_KS3_KPS1_Ev13rocblas_fill_17rocblas_diagonal_iiT2_lPT3_llSB_llPT4_lli.has_indirect_call, 0
	.section	.AMDGPU.csdata,"",@progbits
; Kernel info:
; codeLenInByte = 1344
; TotalNumSgprs: 36
; NumVgprs: 40
; ScratchSize: 0
; MemoryBound: 0
; FloatMode: 240
; IeeeMode: 1
; LDSByteSize: 4096 bytes/workgroup (compile time only)
; SGPRBlocks: 4
; VGPRBlocks: 9
; NumSGPRsForWavesPerEU: 36
; NumVGPRsForWavesPerEU: 40
; Occupancy: 6
; WaveLimiterHint : 1
; COMPUTE_PGM_RSRC2:SCRATCH_EN: 0
; COMPUTE_PGM_RSRC2:USER_SGPR: 6
; COMPUTE_PGM_RSRC2:TRAP_HANDLER: 0
; COMPUTE_PGM_RSRC2:TGID_X_EN: 1
; COMPUTE_PGM_RSRC2:TGID_Y_EN: 0
; COMPUTE_PGM_RSRC2:TGID_Z_EN: 1
; COMPUTE_PGM_RSRC2:TIDIG_COMP_CNT: 1
	.section	.text._ZL23rocblas_trmm_rTx_kernelILi16ELb0E19rocblas_complex_numIfES1_KPKS1_KPS1_Ev13rocblas_fill_17rocblas_diagonal_iiT2_lPT3_llSB_llPT4_lli,"axG",@progbits,_ZL23rocblas_trmm_rTx_kernelILi16ELb0E19rocblas_complex_numIfES1_KPKS1_KPS1_Ev13rocblas_fill_17rocblas_diagonal_iiT2_lPT3_llSB_llPT4_lli,comdat
	.globl	_ZL23rocblas_trmm_rTx_kernelILi16ELb0E19rocblas_complex_numIfES1_KPKS1_KPS1_Ev13rocblas_fill_17rocblas_diagonal_iiT2_lPT3_llSB_llPT4_lli ; -- Begin function _ZL23rocblas_trmm_rTx_kernelILi16ELb0E19rocblas_complex_numIfES1_KPKS1_KPS1_Ev13rocblas_fill_17rocblas_diagonal_iiT2_lPT3_llSB_llPT4_lli
	.p2align	8
	.type	_ZL23rocblas_trmm_rTx_kernelILi16ELb0E19rocblas_complex_numIfES1_KPKS1_KPS1_Ev13rocblas_fill_17rocblas_diagonal_iiT2_lPT3_llSB_llPT4_lli,@function
_ZL23rocblas_trmm_rTx_kernelILi16ELb0E19rocblas_complex_numIfES1_KPKS1_KPS1_Ev13rocblas_fill_17rocblas_diagonal_iiT2_lPT3_llSB_llPT4_lli: ; @_ZL23rocblas_trmm_rTx_kernelILi16ELb0E19rocblas_complex_numIfES1_KPKS1_KPS1_Ev13rocblas_fill_17rocblas_diagonal_iiT2_lPT3_llSB_llPT4_lli
; %bb.0:
	s_load_dwordx2 s[2:3], s[4:5], 0x10
	s_mov_b32 s1, 0
	s_waitcnt lgkmcnt(0)
	v_cmp_neq_f32_e64 s[8:9], s2, 0
	v_cmp_neq_f32_e64 s[10:11], s3, 0
	s_or_b64 s[8:9], s[8:9], s[10:11]
	s_andn2_b64 vcc, exec, s[8:9]
	s_cbranch_vccnz .LBB177_15
; %bb.1:
	s_load_dwordx16 s[8:23], s[4:5], 0x20
	s_load_dwordx4 s[24:27], s[4:5], 0x0
	s_mov_b32 s0, s7
	s_lshl_b64 s[30:31], s[0:1], 3
	s_mov_b32 s0, s1
	s_waitcnt lgkmcnt(0)
	s_add_u32 s14, s14, s30
	s_addc_u32 s15, s15, s31
	s_load_dwordx2 s[28:29], s[14:15], 0x0
	s_add_u32 s14, s20, s30
	s_addc_u32 s15, s21, s31
	s_load_dwordx2 s[14:15], s[14:15], 0x0
	v_mov_b32_e32 v5, s1
	v_lshlrev_b32_e32 v2, 4, v1
	v_mov_b32_e32 v4, s0
	v_cmp_gt_i32_e32 vcc, s27, v1
	v_cmp_gt_i32_e64 s[0:1], s27, v0
	v_add_lshl_u32 v3, v2, v0, 3
	s_and_b64 s[0:1], vcc, s[0:1]
	v_lshlrev_b32_e32 v2, 3, v0
	ds_write2st64_b64 v3, v[4:5], v[4:5] offset1:4
	s_and_saveexec_b64 s[20:21], s[0:1]
	s_cbranch_execz .LBB177_3
; %bb.2:
	v_mad_u64_u32 v[4:5], s[0:1], s10, v1, 0
	s_add_u32 s0, s8, s30
	s_addc_u32 s1, s9, s31
	s_load_dwordx2 s[0:1], s[0:1], 0x0
	v_mad_u64_u32 v[5:6], s[8:9], s11, v1, v[5:6]
	s_lshl_b64 s[8:9], s[12:13], 3
	s_waitcnt lgkmcnt(0)
	s_add_u32 s0, s0, s8
	v_lshlrev_b64 v[4:5], 3, v[4:5]
	s_addc_u32 s1, s1, s9
	v_mov_b32_e32 v6, s1
	v_add_co_u32_e64 v4, s[0:1], s0, v4
	v_addc_co_u32_e64 v5, s[0:1], v6, v5, s[0:1]
	v_add_co_u32_e64 v4, s[0:1], v4, v2
	v_addc_co_u32_e64 v5, s[0:1], 0, v5, s[0:1]
	flat_load_dwordx2 v[4:5], v[4:5]
	s_waitcnt vmcnt(0) lgkmcnt(0)
	ds_write_b64 v3, v[4:5]
.LBB177_3:
	s_or_b64 exec, exec, s[20:21]
	s_add_i32 s0, s26, -1
	s_ashr_i32 s1, s0, 31
	s_lshr_b32 s1, s1, 28
	s_add_i32 s0, s0, s1
	s_ashr_i32 s1, s0, 4
	s_and_b32 s0, s0, -16
	s_sub_i32 s0, s26, s0
	s_cmp_ge_i32 s6, s1
	s_cselect_b32 s0, s0, 16
	s_lshl_b32 s6, s6, 4
	v_cmp_gt_i32_e64 s[0:1], s0, v0
	s_ashr_i32 s7, s6, 31
	s_and_b64 s[0:1], vcc, s[0:1]
	s_and_saveexec_b64 s[8:9], s[0:1]
	s_cbranch_execz .LBB177_5
; %bb.4:
	v_mad_u64_u32 v[4:5], s[10:11], s16, v1, 0
	s_lshl_b64 s[10:11], s[18:19], 3
	s_waitcnt lgkmcnt(0)
	s_add_u32 s12, s28, s10
	s_addc_u32 s13, s29, s11
	v_mad_u64_u32 v[5:6], s[10:11], s17, v1, v[5:6]
	s_lshl_b64 s[10:11], s[6:7], 3
	s_add_u32 s10, s12, s10
	v_lshlrev_b64 v[4:5], 3, v[4:5]
	s_addc_u32 s11, s13, s11
	v_mov_b32_e32 v6, s11
	v_add_co_u32_e32 v4, vcc, s10, v4
	v_addc_co_u32_e32 v5, vcc, v6, v5, vcc
	v_add_co_u32_e32 v4, vcc, v4, v2
	v_addc_co_u32_e32 v5, vcc, 0, v5, vcc
	flat_load_dwordx2 v[4:5], v[4:5]
	v_add_u32_e32 v6, 0x800, v3
	s_waitcnt vmcnt(0) lgkmcnt(0)
	ds_write_b64 v6, v[4:5]
.LBB177_5:
	s_or_b64 exec, exec, s[8:9]
	s_cmpk_eq_i32 s25, 0x84
	s_cselect_b64 s[8:9], -1, 0
	v_cmp_eq_u32_e32 vcc, v1, v0
	s_and_b64 s[10:11], vcc, s[8:9]
	s_and_saveexec_b64 s[8:9], s[10:11]
; %bb.6:
	v_mov_b32_e32 v4, 1.0
	v_mov_b32_e32 v5, 0
	ds_write_b64 v3, v[4:5]
; %bb.7:
	s_or_b64 exec, exec, s[8:9]
	s_cmpk_lg_i32 s24, 0x79
	s_cbranch_scc0 .LBB177_9
; %bb.8:
	v_cmp_lt_u32_e32 vcc, v0, v1
	s_and_b64 s[8:9], vcc, exec
	s_cbranch_execz .LBB177_10
	s_branch .LBB177_11
.LBB177_9:
	s_mov_b64 s[8:9], 0
.LBB177_10:
	v_cmp_gt_u32_e32 vcc, v0, v1
	s_andn2_b64 s[8:9], s[8:9], exec
	s_and_b64 s[10:11], vcc, exec
	s_or_b64 s[8:9], s[8:9], s[10:11]
.LBB177_11:
	s_and_saveexec_b64 s[10:11], s[8:9]
; %bb.12:
	v_mov_b32_e32 v4, 0
	v_mov_b32_e32 v5, v4
	ds_write_b64 v3, v[4:5]
; %bb.13:
	s_or_b64 exec, exec, s[10:11]
	s_waitcnt lgkmcnt(0)
	s_barrier
	s_and_saveexec_b64 s[8:9], s[0:1]
	s_cbranch_execz .LBB177_15
; %bb.14:
	v_lshlrev_b32_e32 v0, 3, v1
	v_add_u32_e32 v19, 0x800, v2
	ds_read2_b64 v[3:6], v0 offset1:16
	ds_read2_b64 v[7:10], v19 offset1:16
	ds_read2_b64 v[11:14], v0 offset0:32 offset1:48
	ds_read2_b64 v[15:18], v19 offset0:32 offset1:48
	s_load_dwordx2 s[0:1], s[4:5], 0x60
	s_waitcnt lgkmcnt(0)
	v_mul_f32_e32 v20, v3, v8
	v_fmac_f32_e32 v20, v4, v7
	v_mul_f32_e32 v4, v4, v8
	v_mul_f32_e32 v21, v5, v10
	v_fma_f32 v22, v3, v7, -v4
	v_mul_f32_e32 v3, v6, v10
	v_fmac_f32_e32 v21, v6, v9
	v_fma_f32 v23, v5, v9, -v3
	ds_read2_b64 v[3:6], v0 offset0:64 offset1:80
	ds_read2_b64 v[7:10], v19 offset0:64 offset1:80
	v_mul_f32_e32 v24, v11, v16
	v_fmac_f32_e32 v24, v12, v15
	v_mul_f32_e32 v12, v12, v16
	v_mul_f32_e32 v25, v13, v18
	v_fma_f32 v26, v11, v15, -v12
	v_mul_f32_e32 v11, v14, v18
	v_fmac_f32_e32 v25, v14, v17
	v_fma_f32 v27, v13, v17, -v11
	s_waitcnt lgkmcnt(0)
	v_mul_f32_e32 v28, v3, v8
	ds_read2_b64 v[11:14], v0 offset0:96 offset1:112
	ds_read2_b64 v[15:18], v19 offset0:96 offset1:112
	v_fmac_f32_e32 v28, v4, v7
	v_mul_f32_e32 v4, v4, v8
	v_mul_f32_e32 v29, v5, v10
	v_fma_f32 v30, v3, v7, -v4
	v_mul_f32_e32 v3, v6, v10
	v_fmac_f32_e32 v29, v6, v9
	v_fma_f32 v31, v5, v9, -v3
	ds_read2_b64 v[3:6], v0 offset0:128 offset1:144
	ds_read2_b64 v[7:10], v19 offset0:128 offset1:144
	s_waitcnt lgkmcnt(2)
	v_mul_f32_e32 v32, v11, v16
	v_fmac_f32_e32 v32, v12, v15
	v_mul_f32_e32 v12, v12, v16
	v_fma_f32 v11, v11, v15, -v12
	v_mul_f32_e32 v12, v14, v18
	v_mul_f32_e32 v33, v13, v18
	v_fma_f32 v12, v13, v17, -v12
	s_waitcnt lgkmcnt(0)
	v_mul_f32_e32 v13, v3, v8
	v_fmac_f32_e32 v13, v4, v7
	v_mul_f32_e32 v4, v4, v8
	v_fmac_f32_e32 v33, v14, v17
	v_mul_f32_e32 v14, v5, v10
	v_fma_f32 v15, v3, v7, -v4
	v_mul_f32_e32 v3, v6, v10
	v_fmac_f32_e32 v14, v6, v9
	v_fma_f32 v16, v5, v9, -v3
	ds_read2_b64 v[3:6], v0 offset0:160 offset1:176
	ds_read2_b64 v[7:10], v19 offset0:160 offset1:176
	s_lshl_b64 s[0:1], s[0:1], 3
	s_add_u32 s4, s14, s0
	s_addc_u32 s5, s15, s1
	s_lshl_b64 s[0:1], s[6:7], 3
	s_waitcnt lgkmcnt(0)
	v_mul_f32_e32 v17, v3, v8
	v_fmac_f32_e32 v17, v4, v7
	v_mul_f32_e32 v4, v4, v8
	v_mul_f32_e32 v18, v5, v10
	v_fma_f32 v34, v3, v7, -v4
	v_mul_f32_e32 v3, v6, v10
	v_fmac_f32_e32 v18, v6, v9
	v_fma_f32 v35, v5, v9, -v3
	ds_read2_b64 v[3:6], v0 offset0:192 offset1:208
	ds_read2_b64 v[7:10], v19 offset0:192 offset1:208
	s_add_u32 s4, s4, s0
	s_addc_u32 s5, s5, s1
	s_waitcnt lgkmcnt(0)
	v_mul_f32_e32 v36, v3, v8
	v_fmac_f32_e32 v36, v4, v7
	v_mul_f32_e32 v4, v4, v8
	v_fma_f32 v38, v3, v7, -v4
	v_mul_f32_e32 v3, v6, v10
	v_fma_f32 v39, v5, v9, -v3
	v_add_f32_e32 v3, 0, v20
	v_add_f32_e32 v3, v3, v21
	;; [unrolled: 1-line block ×8, first 2 shown]
	v_mul_f32_e32 v37, v5, v10
	v_add_f32_e32 v3, v3, v13
	v_fmac_f32_e32 v37, v6, v9
	v_add_f32_e32 v13, v3, v14
	ds_read2_b64 v[3:6], v0 offset0:224 offset1:240
	ds_read2_b64 v[7:10], v19 offset0:224 offset1:240
	v_add_f32_e32 v0, v13, v17
	v_add_f32_e32 v0, v0, v18
	;; [unrolled: 1-line block ×4, first 2 shown]
	s_waitcnt lgkmcnt(0)
	v_mul_f32_e32 v13, v3, v8
	v_fmac_f32_e32 v13, v4, v7
	v_add_f32_e32 v0, v0, v13
	v_mul_f32_e32 v13, v5, v10
	v_fmac_f32_e32 v13, v6, v9
	v_add_f32_e32 v13, v0, v13
	v_add_f32_e32 v0, 0, v22
	;; [unrolled: 1-line block ×14, first 2 shown]
	v_mul_f32_e32 v4, v4, v8
	v_add_f32_e32 v0, v0, v39
	v_fma_f32 v3, v3, v7, -v4
	v_add_f32_e32 v0, v0, v3
	v_mad_u64_u32 v[3:4], s[0:1], s22, v1, 0
	v_mul_f32_e32 v6, v6, v10
	v_fma_f32 v5, v5, v9, -v6
	v_add_f32_e32 v5, v0, v5
	v_mov_b32_e32 v0, v4
	v_mad_u64_u32 v[0:1], s[0:1], s23, v1, v[0:1]
	v_mul_f32_e32 v6, s2, v13
	v_mul_f32_e32 v1, s3, v13
	v_mov_b32_e32 v4, v0
	v_fmac_f32_e32 v6, s3, v5
	v_fma_f32 v5, s2, v5, -v1
	v_lshlrev_b64 v[0:1], 3, v[3:4]
	v_mov_b32_e32 v3, s5
	v_add_co_u32_e32 v0, vcc, s4, v0
	v_addc_co_u32_e32 v1, vcc, v3, v1, vcc
	v_add_co_u32_e32 v0, vcc, v0, v2
	v_addc_co_u32_e32 v1, vcc, 0, v1, vcc
	flat_store_dwordx2 v[0:1], v[5:6]
.LBB177_15:
	s_endpgm
	.section	.rodata,"a",@progbits
	.p2align	6, 0x0
	.amdhsa_kernel _ZL23rocblas_trmm_rTx_kernelILi16ELb0E19rocblas_complex_numIfES1_KPKS1_KPS1_Ev13rocblas_fill_17rocblas_diagonal_iiT2_lPT3_llSB_llPT4_lli
		.amdhsa_group_segment_fixed_size 4096
		.amdhsa_private_segment_fixed_size 0
		.amdhsa_kernarg_size 108
		.amdhsa_user_sgpr_count 6
		.amdhsa_user_sgpr_private_segment_buffer 1
		.amdhsa_user_sgpr_dispatch_ptr 0
		.amdhsa_user_sgpr_queue_ptr 0
		.amdhsa_user_sgpr_kernarg_segment_ptr 1
		.amdhsa_user_sgpr_dispatch_id 0
		.amdhsa_user_sgpr_flat_scratch_init 0
		.amdhsa_user_sgpr_private_segment_size 0
		.amdhsa_uses_dynamic_stack 0
		.amdhsa_system_sgpr_private_segment_wavefront_offset 0
		.amdhsa_system_sgpr_workgroup_id_x 1
		.amdhsa_system_sgpr_workgroup_id_y 0
		.amdhsa_system_sgpr_workgroup_id_z 1
		.amdhsa_system_sgpr_workgroup_info 0
		.amdhsa_system_vgpr_workitem_id 1
		.amdhsa_next_free_vgpr 40
		.amdhsa_next_free_sgpr 32
		.amdhsa_reserve_vcc 1
		.amdhsa_reserve_flat_scratch 0
		.amdhsa_float_round_mode_32 0
		.amdhsa_float_round_mode_16_64 0
		.amdhsa_float_denorm_mode_32 3
		.amdhsa_float_denorm_mode_16_64 3
		.amdhsa_dx10_clamp 1
		.amdhsa_ieee_mode 1
		.amdhsa_fp16_overflow 0
		.amdhsa_exception_fp_ieee_invalid_op 0
		.amdhsa_exception_fp_denorm_src 0
		.amdhsa_exception_fp_ieee_div_zero 0
		.amdhsa_exception_fp_ieee_overflow 0
		.amdhsa_exception_fp_ieee_underflow 0
		.amdhsa_exception_fp_ieee_inexact 0
		.amdhsa_exception_int_div_zero 0
	.end_amdhsa_kernel
	.section	.text._ZL23rocblas_trmm_rTx_kernelILi16ELb0E19rocblas_complex_numIfES1_KPKS1_KPS1_Ev13rocblas_fill_17rocblas_diagonal_iiT2_lPT3_llSB_llPT4_lli,"axG",@progbits,_ZL23rocblas_trmm_rTx_kernelILi16ELb0E19rocblas_complex_numIfES1_KPKS1_KPS1_Ev13rocblas_fill_17rocblas_diagonal_iiT2_lPT3_llSB_llPT4_lli,comdat
.Lfunc_end177:
	.size	_ZL23rocblas_trmm_rTx_kernelILi16ELb0E19rocblas_complex_numIfES1_KPKS1_KPS1_Ev13rocblas_fill_17rocblas_diagonal_iiT2_lPT3_llSB_llPT4_lli, .Lfunc_end177-_ZL23rocblas_trmm_rTx_kernelILi16ELb0E19rocblas_complex_numIfES1_KPKS1_KPS1_Ev13rocblas_fill_17rocblas_diagonal_iiT2_lPT3_llSB_llPT4_lli
                                        ; -- End function
	.set _ZL23rocblas_trmm_rTx_kernelILi16ELb0E19rocblas_complex_numIfES1_KPKS1_KPS1_Ev13rocblas_fill_17rocblas_diagonal_iiT2_lPT3_llSB_llPT4_lli.num_vgpr, 40
	.set _ZL23rocblas_trmm_rTx_kernelILi16ELb0E19rocblas_complex_numIfES1_KPKS1_KPS1_Ev13rocblas_fill_17rocblas_diagonal_iiT2_lPT3_llSB_llPT4_lli.num_agpr, 0
	.set _ZL23rocblas_trmm_rTx_kernelILi16ELb0E19rocblas_complex_numIfES1_KPKS1_KPS1_Ev13rocblas_fill_17rocblas_diagonal_iiT2_lPT3_llSB_llPT4_lli.numbered_sgpr, 32
	.set _ZL23rocblas_trmm_rTx_kernelILi16ELb0E19rocblas_complex_numIfES1_KPKS1_KPS1_Ev13rocblas_fill_17rocblas_diagonal_iiT2_lPT3_llSB_llPT4_lli.num_named_barrier, 0
	.set _ZL23rocblas_trmm_rTx_kernelILi16ELb0E19rocblas_complex_numIfES1_KPKS1_KPS1_Ev13rocblas_fill_17rocblas_diagonal_iiT2_lPT3_llSB_llPT4_lli.private_seg_size, 0
	.set _ZL23rocblas_trmm_rTx_kernelILi16ELb0E19rocblas_complex_numIfES1_KPKS1_KPS1_Ev13rocblas_fill_17rocblas_diagonal_iiT2_lPT3_llSB_llPT4_lli.uses_vcc, 1
	.set _ZL23rocblas_trmm_rTx_kernelILi16ELb0E19rocblas_complex_numIfES1_KPKS1_KPS1_Ev13rocblas_fill_17rocblas_diagonal_iiT2_lPT3_llSB_llPT4_lli.uses_flat_scratch, 0
	.set _ZL23rocblas_trmm_rTx_kernelILi16ELb0E19rocblas_complex_numIfES1_KPKS1_KPS1_Ev13rocblas_fill_17rocblas_diagonal_iiT2_lPT3_llSB_llPT4_lli.has_dyn_sized_stack, 0
	.set _ZL23rocblas_trmm_rTx_kernelILi16ELb0E19rocblas_complex_numIfES1_KPKS1_KPS1_Ev13rocblas_fill_17rocblas_diagonal_iiT2_lPT3_llSB_llPT4_lli.has_recursion, 0
	.set _ZL23rocblas_trmm_rTx_kernelILi16ELb0E19rocblas_complex_numIfES1_KPKS1_KPS1_Ev13rocblas_fill_17rocblas_diagonal_iiT2_lPT3_llSB_llPT4_lli.has_indirect_call, 0
	.section	.AMDGPU.csdata,"",@progbits
; Kernel info:
; codeLenInByte = 1304
; TotalNumSgprs: 36
; NumVgprs: 40
; ScratchSize: 0
; MemoryBound: 0
; FloatMode: 240
; IeeeMode: 1
; LDSByteSize: 4096 bytes/workgroup (compile time only)
; SGPRBlocks: 4
; VGPRBlocks: 9
; NumSGPRsForWavesPerEU: 36
; NumVGPRsForWavesPerEU: 40
; Occupancy: 6
; WaveLimiterHint : 1
; COMPUTE_PGM_RSRC2:SCRATCH_EN: 0
; COMPUTE_PGM_RSRC2:USER_SGPR: 6
; COMPUTE_PGM_RSRC2:TRAP_HANDLER: 0
; COMPUTE_PGM_RSRC2:TGID_X_EN: 1
; COMPUTE_PGM_RSRC2:TGID_Y_EN: 0
; COMPUTE_PGM_RSRC2:TGID_Z_EN: 1
; COMPUTE_PGM_RSRC2:TIDIG_COMP_CNT: 1
	.section	.text._ZL23rocblas_trmm_rTx_kernelILi16ELb1E19rocblas_complex_numIfEPKS1_KS3_KPS1_Ev13rocblas_fill_17rocblas_diagonal_iiT2_lPT3_llSB_llPT4_lli,"axG",@progbits,_ZL23rocblas_trmm_rTx_kernelILi16ELb1E19rocblas_complex_numIfEPKS1_KS3_KPS1_Ev13rocblas_fill_17rocblas_diagonal_iiT2_lPT3_llSB_llPT4_lli,comdat
	.globl	_ZL23rocblas_trmm_rTx_kernelILi16ELb1E19rocblas_complex_numIfEPKS1_KS3_KPS1_Ev13rocblas_fill_17rocblas_diagonal_iiT2_lPT3_llSB_llPT4_lli ; -- Begin function _ZL23rocblas_trmm_rTx_kernelILi16ELb1E19rocblas_complex_numIfEPKS1_KS3_KPS1_Ev13rocblas_fill_17rocblas_diagonal_iiT2_lPT3_llSB_llPT4_lli
	.p2align	8
	.type	_ZL23rocblas_trmm_rTx_kernelILi16ELb1E19rocblas_complex_numIfEPKS1_KS3_KPS1_Ev13rocblas_fill_17rocblas_diagonal_iiT2_lPT3_llSB_llPT4_lli,@function
_ZL23rocblas_trmm_rTx_kernelILi16ELb1E19rocblas_complex_numIfEPKS1_KS3_KPS1_Ev13rocblas_fill_17rocblas_diagonal_iiT2_lPT3_llSB_llPT4_lli: ; @_ZL23rocblas_trmm_rTx_kernelILi16ELb1E19rocblas_complex_numIfEPKS1_KS3_KPS1_Ev13rocblas_fill_17rocblas_diagonal_iiT2_lPT3_llSB_llPT4_lli
; %bb.0:
	s_load_dwordx16 s[8:23], s[4:5], 0x10
	s_mov_b32 s29, 0
	s_waitcnt lgkmcnt(0)
	s_mul_i32 s0, s11, s7
	s_mul_hi_u32 s1, s10, s7
	s_add_i32 s1, s1, s0
	s_mul_i32 s0, s10, s7
	s_lshl_b64 s[0:1], s[0:1], 3
	s_add_u32 s0, s8, s0
	s_addc_u32 s1, s9, s1
	s_load_dwordx2 s[24:25], s[0:1], 0x0
	s_waitcnt lgkmcnt(0)
	v_cmp_neq_f32_e64 s[0:1], s24, 0
	v_cmp_neq_f32_e64 s[2:3], s25, 0
	s_or_b64 s[0:1], s[0:1], s[2:3]
	s_andn2_b64 vcc, exec, s[0:1]
	s_cbranch_vccnz .LBB178_15
; %bb.1:
	s_load_dwordx4 s[8:11], s[4:5], 0x0
	s_load_dwordx4 s[0:3], s[4:5], 0x50
	s_mov_b32 s28, s7
	s_lshl_b64 s[30:31], s[28:29], 3
	s_add_u32 s18, s18, s30
	s_addc_u32 s19, s19, s31
	s_waitcnt lgkmcnt(0)
	s_add_u32 s0, s0, s30
	s_addc_u32 s1, s1, s31
	s_load_dwordx2 s[26:27], s[18:19], 0x0
	s_mov_b32 s28, s29
	s_load_dwordx2 s[18:19], s[0:1], 0x0
	v_lshlrev_b32_e32 v2, 4, v1
	v_mov_b32_e32 v4, s28
	v_cmp_gt_i32_e32 vcc, s11, v1
	v_cmp_gt_i32_e64 s[0:1], s11, v0
	v_add_lshl_u32 v3, v2, v0, 3
	v_mov_b32_e32 v5, s29
	s_and_b64 s[0:1], vcc, s[0:1]
	v_lshlrev_b32_e32 v2, 3, v0
	ds_write2st64_b64 v3, v[4:5], v[4:5] offset1:4
	s_and_saveexec_b64 s[28:29], s[0:1]
	s_cbranch_execz .LBB178_3
; %bb.2:
	v_mad_u64_u32 v[4:5], s[0:1], s14, v1, 0
	s_add_u32 s0, s12, s30
	s_addc_u32 s1, s13, s31
	s_load_dwordx2 s[0:1], s[0:1], 0x0
	v_mad_u64_u32 v[5:6], s[12:13], s15, v1, v[5:6]
	s_lshl_b64 s[12:13], s[16:17], 3
	s_waitcnt lgkmcnt(0)
	s_add_u32 s0, s0, s12
	v_lshlrev_b64 v[4:5], 3, v[4:5]
	s_addc_u32 s1, s1, s13
	v_mov_b32_e32 v6, s1
	v_add_co_u32_e64 v4, s[0:1], s0, v4
	v_addc_co_u32_e64 v5, s[0:1], v6, v5, s[0:1]
	v_add_co_u32_e64 v4, s[0:1], v4, v2
	v_addc_co_u32_e64 v5, s[0:1], 0, v5, s[0:1]
	flat_load_dwordx2 v[4:5], v[4:5]
	s_waitcnt vmcnt(0) lgkmcnt(0)
	v_xor_b32_e32 v5, 0x80000000, v5
	ds_write_b64 v3, v[4:5]
.LBB178_3:
	s_or_b64 exec, exec, s[28:29]
	s_add_i32 s0, s10, -1
	s_ashr_i32 s1, s0, 31
	s_lshr_b32 s1, s1, 28
	s_add_i32 s0, s0, s1
	s_ashr_i32 s1, s0, 4
	s_and_b32 s0, s0, -16
	s_sub_i32 s0, s10, s0
	s_cmp_ge_i32 s6, s1
	s_cselect_b32 s0, s0, 16
	s_lshl_b32 s6, s6, 4
	v_cmp_gt_i32_e64 s[0:1], s0, v0
	s_ashr_i32 s7, s6, 31
	s_and_b64 s[0:1], vcc, s[0:1]
	s_and_saveexec_b64 s[10:11], s[0:1]
	s_cbranch_execz .LBB178_5
; %bb.4:
	v_mad_u64_u32 v[4:5], s[12:13], s20, v1, 0
	s_lshl_b64 s[12:13], s[22:23], 3
	s_waitcnt lgkmcnt(0)
	s_add_u32 s14, s26, s12
	s_addc_u32 s15, s27, s13
	v_mad_u64_u32 v[5:6], s[12:13], s21, v1, v[5:6]
	s_lshl_b64 s[12:13], s[6:7], 3
	s_add_u32 s12, s14, s12
	v_lshlrev_b64 v[4:5], 3, v[4:5]
	s_addc_u32 s13, s15, s13
	v_mov_b32_e32 v6, s13
	v_add_co_u32_e32 v4, vcc, s12, v4
	v_addc_co_u32_e32 v5, vcc, v6, v5, vcc
	v_add_co_u32_e32 v4, vcc, v4, v2
	v_addc_co_u32_e32 v5, vcc, 0, v5, vcc
	flat_load_dwordx2 v[4:5], v[4:5]
	v_add_u32_e32 v6, 0x800, v3
	s_waitcnt vmcnt(0) lgkmcnt(0)
	ds_write_b64 v6, v[4:5]
.LBB178_5:
	s_or_b64 exec, exec, s[10:11]
	s_cmpk_eq_i32 s9, 0x84
	s_cselect_b64 s[10:11], -1, 0
	v_cmp_eq_u32_e32 vcc, v1, v0
	s_and_b64 s[12:13], vcc, s[10:11]
	s_and_saveexec_b64 s[10:11], s[12:13]
; %bb.6:
	v_mov_b32_e32 v4, 1.0
	v_mov_b32_e32 v5, 0
	ds_write_b64 v3, v[4:5]
; %bb.7:
	s_or_b64 exec, exec, s[10:11]
	s_cmpk_lg_i32 s8, 0x79
	s_cbranch_scc0 .LBB178_9
; %bb.8:
	v_cmp_lt_u32_e32 vcc, v0, v1
	s_and_b64 s[8:9], vcc, exec
	s_cbranch_execz .LBB178_10
	s_branch .LBB178_11
.LBB178_9:
	s_mov_b64 s[8:9], 0
.LBB178_10:
	v_cmp_gt_u32_e32 vcc, v0, v1
	s_andn2_b64 s[8:9], s[8:9], exec
	s_and_b64 s[10:11], vcc, exec
	s_or_b64 s[8:9], s[8:9], s[10:11]
.LBB178_11:
	s_and_saveexec_b64 s[10:11], s[8:9]
; %bb.12:
	v_mov_b32_e32 v4, 0
	v_mov_b32_e32 v5, v4
	ds_write_b64 v3, v[4:5]
; %bb.13:
	s_or_b64 exec, exec, s[10:11]
	s_waitcnt lgkmcnt(0)
	s_barrier
	s_and_saveexec_b64 s[8:9], s[0:1]
	s_cbranch_execz .LBB178_15
; %bb.14:
	v_lshlrev_b32_e32 v0, 3, v1
	v_add_u32_e32 v19, 0x800, v2
	ds_read2_b64 v[3:6], v0 offset1:16
	ds_read2_b64 v[7:10], v19 offset1:16
	ds_read2_b64 v[11:14], v0 offset0:32 offset1:48
	ds_read2_b64 v[15:18], v19 offset0:32 offset1:48
	s_load_dwordx2 s[0:1], s[4:5], 0x60
	s_waitcnt lgkmcnt(0)
	v_mul_f32_e32 v20, v3, v8
	v_fmac_f32_e32 v20, v4, v7
	v_mul_f32_e32 v4, v4, v8
	v_mul_f32_e32 v21, v5, v10
	v_fma_f32 v22, v3, v7, -v4
	v_mul_f32_e32 v3, v6, v10
	v_fmac_f32_e32 v21, v6, v9
	v_fma_f32 v23, v5, v9, -v3
	ds_read2_b64 v[3:6], v0 offset0:64 offset1:80
	ds_read2_b64 v[7:10], v19 offset0:64 offset1:80
	v_mul_f32_e32 v24, v11, v16
	v_fmac_f32_e32 v24, v12, v15
	v_mul_f32_e32 v12, v12, v16
	v_mul_f32_e32 v25, v13, v18
	v_fma_f32 v26, v11, v15, -v12
	v_mul_f32_e32 v11, v14, v18
	v_fmac_f32_e32 v25, v14, v17
	v_fma_f32 v27, v13, v17, -v11
	s_waitcnt lgkmcnt(0)
	v_mul_f32_e32 v28, v3, v8
	ds_read2_b64 v[11:14], v0 offset0:96 offset1:112
	ds_read2_b64 v[15:18], v19 offset0:96 offset1:112
	v_fmac_f32_e32 v28, v4, v7
	v_mul_f32_e32 v4, v4, v8
	v_mul_f32_e32 v29, v5, v10
	v_fma_f32 v30, v3, v7, -v4
	v_mul_f32_e32 v3, v6, v10
	v_fmac_f32_e32 v29, v6, v9
	v_fma_f32 v31, v5, v9, -v3
	ds_read2_b64 v[3:6], v0 offset0:128 offset1:144
	ds_read2_b64 v[7:10], v19 offset0:128 offset1:144
	s_waitcnt lgkmcnt(2)
	v_mul_f32_e32 v32, v11, v16
	v_fmac_f32_e32 v32, v12, v15
	v_mul_f32_e32 v12, v12, v16
	v_fma_f32 v11, v11, v15, -v12
	v_mul_f32_e32 v12, v14, v18
	v_mul_f32_e32 v33, v13, v18
	v_fma_f32 v12, v13, v17, -v12
	s_waitcnt lgkmcnt(0)
	v_mul_f32_e32 v13, v3, v8
	v_fmac_f32_e32 v13, v4, v7
	v_mul_f32_e32 v4, v4, v8
	v_fmac_f32_e32 v33, v14, v17
	v_mul_f32_e32 v14, v5, v10
	v_fma_f32 v15, v3, v7, -v4
	v_mul_f32_e32 v3, v6, v10
	v_fmac_f32_e32 v14, v6, v9
	v_fma_f32 v16, v5, v9, -v3
	ds_read2_b64 v[3:6], v0 offset0:160 offset1:176
	ds_read2_b64 v[7:10], v19 offset0:160 offset1:176
	s_lshl_b64 s[0:1], s[0:1], 3
	s_add_u32 s4, s18, s0
	s_addc_u32 s5, s19, s1
	s_lshl_b64 s[0:1], s[6:7], 3
	s_waitcnt lgkmcnt(0)
	v_mul_f32_e32 v17, v3, v8
	v_fmac_f32_e32 v17, v4, v7
	v_mul_f32_e32 v4, v4, v8
	v_mul_f32_e32 v18, v5, v10
	v_fma_f32 v34, v3, v7, -v4
	v_mul_f32_e32 v3, v6, v10
	v_fmac_f32_e32 v18, v6, v9
	v_fma_f32 v35, v5, v9, -v3
	ds_read2_b64 v[3:6], v0 offset0:192 offset1:208
	ds_read2_b64 v[7:10], v19 offset0:192 offset1:208
	s_add_u32 s4, s4, s0
	s_addc_u32 s5, s5, s1
	s_waitcnt lgkmcnt(0)
	v_mul_f32_e32 v36, v3, v8
	v_fmac_f32_e32 v36, v4, v7
	v_mul_f32_e32 v4, v4, v8
	v_fma_f32 v38, v3, v7, -v4
	v_mul_f32_e32 v3, v6, v10
	v_fma_f32 v39, v5, v9, -v3
	v_add_f32_e32 v3, 0, v20
	v_add_f32_e32 v3, v3, v21
	;; [unrolled: 1-line block ×8, first 2 shown]
	v_mul_f32_e32 v37, v5, v10
	v_add_f32_e32 v3, v3, v13
	v_fmac_f32_e32 v37, v6, v9
	v_add_f32_e32 v13, v3, v14
	ds_read2_b64 v[3:6], v0 offset0:224 offset1:240
	ds_read2_b64 v[7:10], v19 offset0:224 offset1:240
	v_add_f32_e32 v0, v13, v17
	v_add_f32_e32 v0, v0, v18
	;; [unrolled: 1-line block ×4, first 2 shown]
	s_waitcnt lgkmcnt(0)
	v_mul_f32_e32 v13, v3, v8
	v_fmac_f32_e32 v13, v4, v7
	v_add_f32_e32 v0, v0, v13
	v_mul_f32_e32 v13, v5, v10
	v_fmac_f32_e32 v13, v6, v9
	v_add_f32_e32 v13, v0, v13
	v_add_f32_e32 v0, 0, v22
	;; [unrolled: 1-line block ×14, first 2 shown]
	v_mul_f32_e32 v4, v4, v8
	v_add_f32_e32 v0, v0, v39
	v_fma_f32 v3, v3, v7, -v4
	v_add_f32_e32 v0, v0, v3
	v_mad_u64_u32 v[3:4], s[0:1], s2, v1, 0
	v_mul_f32_e32 v6, v6, v10
	v_fma_f32 v5, v5, v9, -v6
	v_add_f32_e32 v5, v0, v5
	v_mov_b32_e32 v0, v4
	v_mad_u64_u32 v[0:1], s[0:1], s3, v1, v[0:1]
	v_mul_f32_e32 v6, s24, v13
	v_mul_f32_e32 v1, s25, v13
	v_mov_b32_e32 v4, v0
	v_fmac_f32_e32 v6, s25, v5
	v_fma_f32 v5, s24, v5, -v1
	v_lshlrev_b64 v[0:1], 3, v[3:4]
	v_mov_b32_e32 v3, s5
	v_add_co_u32_e32 v0, vcc, s4, v0
	v_addc_co_u32_e32 v1, vcc, v3, v1, vcc
	v_add_co_u32_e32 v0, vcc, v0, v2
	v_addc_co_u32_e32 v1, vcc, 0, v1, vcc
	flat_store_dwordx2 v[0:1], v[5:6]
.LBB178_15:
	s_endpgm
	.section	.rodata,"a",@progbits
	.p2align	6, 0x0
	.amdhsa_kernel _ZL23rocblas_trmm_rTx_kernelILi16ELb1E19rocblas_complex_numIfEPKS1_KS3_KPS1_Ev13rocblas_fill_17rocblas_diagonal_iiT2_lPT3_llSB_llPT4_lli
		.amdhsa_group_segment_fixed_size 4096
		.amdhsa_private_segment_fixed_size 0
		.amdhsa_kernarg_size 108
		.amdhsa_user_sgpr_count 6
		.amdhsa_user_sgpr_private_segment_buffer 1
		.amdhsa_user_sgpr_dispatch_ptr 0
		.amdhsa_user_sgpr_queue_ptr 0
		.amdhsa_user_sgpr_kernarg_segment_ptr 1
		.amdhsa_user_sgpr_dispatch_id 0
		.amdhsa_user_sgpr_flat_scratch_init 0
		.amdhsa_user_sgpr_private_segment_size 0
		.amdhsa_uses_dynamic_stack 0
		.amdhsa_system_sgpr_private_segment_wavefront_offset 0
		.amdhsa_system_sgpr_workgroup_id_x 1
		.amdhsa_system_sgpr_workgroup_id_y 0
		.amdhsa_system_sgpr_workgroup_id_z 1
		.amdhsa_system_sgpr_workgroup_info 0
		.amdhsa_system_vgpr_workitem_id 1
		.amdhsa_next_free_vgpr 40
		.amdhsa_next_free_sgpr 32
		.amdhsa_reserve_vcc 1
		.amdhsa_reserve_flat_scratch 0
		.amdhsa_float_round_mode_32 0
		.amdhsa_float_round_mode_16_64 0
		.amdhsa_float_denorm_mode_32 3
		.amdhsa_float_denorm_mode_16_64 3
		.amdhsa_dx10_clamp 1
		.amdhsa_ieee_mode 1
		.amdhsa_fp16_overflow 0
		.amdhsa_exception_fp_ieee_invalid_op 0
		.amdhsa_exception_fp_denorm_src 0
		.amdhsa_exception_fp_ieee_div_zero 0
		.amdhsa_exception_fp_ieee_overflow 0
		.amdhsa_exception_fp_ieee_underflow 0
		.amdhsa_exception_fp_ieee_inexact 0
		.amdhsa_exception_int_div_zero 0
	.end_amdhsa_kernel
	.section	.text._ZL23rocblas_trmm_rTx_kernelILi16ELb1E19rocblas_complex_numIfEPKS1_KS3_KPS1_Ev13rocblas_fill_17rocblas_diagonal_iiT2_lPT3_llSB_llPT4_lli,"axG",@progbits,_ZL23rocblas_trmm_rTx_kernelILi16ELb1E19rocblas_complex_numIfEPKS1_KS3_KPS1_Ev13rocblas_fill_17rocblas_diagonal_iiT2_lPT3_llSB_llPT4_lli,comdat
.Lfunc_end178:
	.size	_ZL23rocblas_trmm_rTx_kernelILi16ELb1E19rocblas_complex_numIfEPKS1_KS3_KPS1_Ev13rocblas_fill_17rocblas_diagonal_iiT2_lPT3_llSB_llPT4_lli, .Lfunc_end178-_ZL23rocblas_trmm_rTx_kernelILi16ELb1E19rocblas_complex_numIfEPKS1_KS3_KPS1_Ev13rocblas_fill_17rocblas_diagonal_iiT2_lPT3_llSB_llPT4_lli
                                        ; -- End function
	.set _ZL23rocblas_trmm_rTx_kernelILi16ELb1E19rocblas_complex_numIfEPKS1_KS3_KPS1_Ev13rocblas_fill_17rocblas_diagonal_iiT2_lPT3_llSB_llPT4_lli.num_vgpr, 40
	.set _ZL23rocblas_trmm_rTx_kernelILi16ELb1E19rocblas_complex_numIfEPKS1_KS3_KPS1_Ev13rocblas_fill_17rocblas_diagonal_iiT2_lPT3_llSB_llPT4_lli.num_agpr, 0
	.set _ZL23rocblas_trmm_rTx_kernelILi16ELb1E19rocblas_complex_numIfEPKS1_KS3_KPS1_Ev13rocblas_fill_17rocblas_diagonal_iiT2_lPT3_llSB_llPT4_lli.numbered_sgpr, 32
	.set _ZL23rocblas_trmm_rTx_kernelILi16ELb1E19rocblas_complex_numIfEPKS1_KS3_KPS1_Ev13rocblas_fill_17rocblas_diagonal_iiT2_lPT3_llSB_llPT4_lli.num_named_barrier, 0
	.set _ZL23rocblas_trmm_rTx_kernelILi16ELb1E19rocblas_complex_numIfEPKS1_KS3_KPS1_Ev13rocblas_fill_17rocblas_diagonal_iiT2_lPT3_llSB_llPT4_lli.private_seg_size, 0
	.set _ZL23rocblas_trmm_rTx_kernelILi16ELb1E19rocblas_complex_numIfEPKS1_KS3_KPS1_Ev13rocblas_fill_17rocblas_diagonal_iiT2_lPT3_llSB_llPT4_lli.uses_vcc, 1
	.set _ZL23rocblas_trmm_rTx_kernelILi16ELb1E19rocblas_complex_numIfEPKS1_KS3_KPS1_Ev13rocblas_fill_17rocblas_diagonal_iiT2_lPT3_llSB_llPT4_lli.uses_flat_scratch, 0
	.set _ZL23rocblas_trmm_rTx_kernelILi16ELb1E19rocblas_complex_numIfEPKS1_KS3_KPS1_Ev13rocblas_fill_17rocblas_diagonal_iiT2_lPT3_llSB_llPT4_lli.has_dyn_sized_stack, 0
	.set _ZL23rocblas_trmm_rTx_kernelILi16ELb1E19rocblas_complex_numIfEPKS1_KS3_KPS1_Ev13rocblas_fill_17rocblas_diagonal_iiT2_lPT3_llSB_llPT4_lli.has_recursion, 0
	.set _ZL23rocblas_trmm_rTx_kernelILi16ELb1E19rocblas_complex_numIfEPKS1_KS3_KPS1_Ev13rocblas_fill_17rocblas_diagonal_iiT2_lPT3_llSB_llPT4_lli.has_indirect_call, 0
	.section	.AMDGPU.csdata,"",@progbits
; Kernel info:
; codeLenInByte = 1352
; TotalNumSgprs: 36
; NumVgprs: 40
; ScratchSize: 0
; MemoryBound: 0
; FloatMode: 240
; IeeeMode: 1
; LDSByteSize: 4096 bytes/workgroup (compile time only)
; SGPRBlocks: 4
; VGPRBlocks: 9
; NumSGPRsForWavesPerEU: 36
; NumVGPRsForWavesPerEU: 40
; Occupancy: 6
; WaveLimiterHint : 1
; COMPUTE_PGM_RSRC2:SCRATCH_EN: 0
; COMPUTE_PGM_RSRC2:USER_SGPR: 6
; COMPUTE_PGM_RSRC2:TRAP_HANDLER: 0
; COMPUTE_PGM_RSRC2:TGID_X_EN: 1
; COMPUTE_PGM_RSRC2:TGID_Y_EN: 0
; COMPUTE_PGM_RSRC2:TGID_Z_EN: 1
; COMPUTE_PGM_RSRC2:TIDIG_COMP_CNT: 1
	.section	.text._ZL23rocblas_trmm_rTx_kernelILi16ELb1E19rocblas_complex_numIfES1_KPKS1_KPS1_Ev13rocblas_fill_17rocblas_diagonal_iiT2_lPT3_llSB_llPT4_lli,"axG",@progbits,_ZL23rocblas_trmm_rTx_kernelILi16ELb1E19rocblas_complex_numIfES1_KPKS1_KPS1_Ev13rocblas_fill_17rocblas_diagonal_iiT2_lPT3_llSB_llPT4_lli,comdat
	.globl	_ZL23rocblas_trmm_rTx_kernelILi16ELb1E19rocblas_complex_numIfES1_KPKS1_KPS1_Ev13rocblas_fill_17rocblas_diagonal_iiT2_lPT3_llSB_llPT4_lli ; -- Begin function _ZL23rocblas_trmm_rTx_kernelILi16ELb1E19rocblas_complex_numIfES1_KPKS1_KPS1_Ev13rocblas_fill_17rocblas_diagonal_iiT2_lPT3_llSB_llPT4_lli
	.p2align	8
	.type	_ZL23rocblas_trmm_rTx_kernelILi16ELb1E19rocblas_complex_numIfES1_KPKS1_KPS1_Ev13rocblas_fill_17rocblas_diagonal_iiT2_lPT3_llSB_llPT4_lli,@function
_ZL23rocblas_trmm_rTx_kernelILi16ELb1E19rocblas_complex_numIfES1_KPKS1_KPS1_Ev13rocblas_fill_17rocblas_diagonal_iiT2_lPT3_llSB_llPT4_lli: ; @_ZL23rocblas_trmm_rTx_kernelILi16ELb1E19rocblas_complex_numIfES1_KPKS1_KPS1_Ev13rocblas_fill_17rocblas_diagonal_iiT2_lPT3_llSB_llPT4_lli
; %bb.0:
	s_load_dwordx2 s[2:3], s[4:5], 0x10
	s_mov_b32 s1, 0
	s_waitcnt lgkmcnt(0)
	v_cmp_neq_f32_e64 s[8:9], s2, 0
	v_cmp_neq_f32_e64 s[10:11], s3, 0
	s_or_b64 s[8:9], s[8:9], s[10:11]
	s_andn2_b64 vcc, exec, s[8:9]
	s_cbranch_vccnz .LBB179_15
; %bb.1:
	s_load_dwordx16 s[8:23], s[4:5], 0x20
	s_load_dwordx4 s[24:27], s[4:5], 0x0
	s_mov_b32 s0, s7
	s_lshl_b64 s[30:31], s[0:1], 3
	s_mov_b32 s0, s1
	s_waitcnt lgkmcnt(0)
	s_add_u32 s14, s14, s30
	s_addc_u32 s15, s15, s31
	s_load_dwordx2 s[28:29], s[14:15], 0x0
	s_add_u32 s14, s20, s30
	s_addc_u32 s15, s21, s31
	s_load_dwordx2 s[14:15], s[14:15], 0x0
	v_mov_b32_e32 v5, s1
	v_lshlrev_b32_e32 v2, 4, v1
	v_mov_b32_e32 v4, s0
	v_cmp_gt_i32_e32 vcc, s27, v1
	v_cmp_gt_i32_e64 s[0:1], s27, v0
	v_add_lshl_u32 v3, v2, v0, 3
	s_and_b64 s[0:1], vcc, s[0:1]
	v_lshlrev_b32_e32 v2, 3, v0
	ds_write2st64_b64 v3, v[4:5], v[4:5] offset1:4
	s_and_saveexec_b64 s[20:21], s[0:1]
	s_cbranch_execz .LBB179_3
; %bb.2:
	v_mad_u64_u32 v[4:5], s[0:1], s10, v1, 0
	s_add_u32 s0, s8, s30
	s_addc_u32 s1, s9, s31
	s_load_dwordx2 s[0:1], s[0:1], 0x0
	v_mad_u64_u32 v[5:6], s[8:9], s11, v1, v[5:6]
	s_lshl_b64 s[8:9], s[12:13], 3
	s_waitcnt lgkmcnt(0)
	s_add_u32 s0, s0, s8
	v_lshlrev_b64 v[4:5], 3, v[4:5]
	s_addc_u32 s1, s1, s9
	v_mov_b32_e32 v6, s1
	v_add_co_u32_e64 v4, s[0:1], s0, v4
	v_addc_co_u32_e64 v5, s[0:1], v6, v5, s[0:1]
	v_add_co_u32_e64 v4, s[0:1], v4, v2
	v_addc_co_u32_e64 v5, s[0:1], 0, v5, s[0:1]
	flat_load_dwordx2 v[4:5], v[4:5]
	s_waitcnt vmcnt(0) lgkmcnt(0)
	v_xor_b32_e32 v5, 0x80000000, v5
	ds_write_b64 v3, v[4:5]
.LBB179_3:
	s_or_b64 exec, exec, s[20:21]
	s_add_i32 s0, s26, -1
	s_ashr_i32 s1, s0, 31
	s_lshr_b32 s1, s1, 28
	s_add_i32 s0, s0, s1
	s_ashr_i32 s1, s0, 4
	s_and_b32 s0, s0, -16
	s_sub_i32 s0, s26, s0
	s_cmp_ge_i32 s6, s1
	s_cselect_b32 s0, s0, 16
	s_lshl_b32 s6, s6, 4
	v_cmp_gt_i32_e64 s[0:1], s0, v0
	s_ashr_i32 s7, s6, 31
	s_and_b64 s[0:1], vcc, s[0:1]
	s_and_saveexec_b64 s[8:9], s[0:1]
	s_cbranch_execz .LBB179_5
; %bb.4:
	v_mad_u64_u32 v[4:5], s[10:11], s16, v1, 0
	s_lshl_b64 s[10:11], s[18:19], 3
	s_waitcnt lgkmcnt(0)
	s_add_u32 s12, s28, s10
	s_addc_u32 s13, s29, s11
	v_mad_u64_u32 v[5:6], s[10:11], s17, v1, v[5:6]
	s_lshl_b64 s[10:11], s[6:7], 3
	s_add_u32 s10, s12, s10
	v_lshlrev_b64 v[4:5], 3, v[4:5]
	s_addc_u32 s11, s13, s11
	v_mov_b32_e32 v6, s11
	v_add_co_u32_e32 v4, vcc, s10, v4
	v_addc_co_u32_e32 v5, vcc, v6, v5, vcc
	v_add_co_u32_e32 v4, vcc, v4, v2
	v_addc_co_u32_e32 v5, vcc, 0, v5, vcc
	flat_load_dwordx2 v[4:5], v[4:5]
	v_add_u32_e32 v6, 0x800, v3
	s_waitcnt vmcnt(0) lgkmcnt(0)
	ds_write_b64 v6, v[4:5]
.LBB179_5:
	s_or_b64 exec, exec, s[8:9]
	s_cmpk_eq_i32 s25, 0x84
	s_cselect_b64 s[8:9], -1, 0
	v_cmp_eq_u32_e32 vcc, v1, v0
	s_and_b64 s[10:11], vcc, s[8:9]
	s_and_saveexec_b64 s[8:9], s[10:11]
; %bb.6:
	v_mov_b32_e32 v4, 1.0
	v_mov_b32_e32 v5, 0
	ds_write_b64 v3, v[4:5]
; %bb.7:
	s_or_b64 exec, exec, s[8:9]
	s_cmpk_lg_i32 s24, 0x79
	s_cbranch_scc0 .LBB179_9
; %bb.8:
	v_cmp_lt_u32_e32 vcc, v0, v1
	s_and_b64 s[8:9], vcc, exec
	s_cbranch_execz .LBB179_10
	s_branch .LBB179_11
.LBB179_9:
	s_mov_b64 s[8:9], 0
.LBB179_10:
	v_cmp_gt_u32_e32 vcc, v0, v1
	s_andn2_b64 s[8:9], s[8:9], exec
	s_and_b64 s[10:11], vcc, exec
	s_or_b64 s[8:9], s[8:9], s[10:11]
.LBB179_11:
	s_and_saveexec_b64 s[10:11], s[8:9]
; %bb.12:
	v_mov_b32_e32 v4, 0
	v_mov_b32_e32 v5, v4
	ds_write_b64 v3, v[4:5]
; %bb.13:
	s_or_b64 exec, exec, s[10:11]
	s_waitcnt lgkmcnt(0)
	s_barrier
	s_and_saveexec_b64 s[8:9], s[0:1]
	s_cbranch_execz .LBB179_15
; %bb.14:
	v_lshlrev_b32_e32 v0, 3, v1
	v_add_u32_e32 v19, 0x800, v2
	ds_read2_b64 v[3:6], v0 offset1:16
	ds_read2_b64 v[7:10], v19 offset1:16
	ds_read2_b64 v[11:14], v0 offset0:32 offset1:48
	ds_read2_b64 v[15:18], v19 offset0:32 offset1:48
	s_load_dwordx2 s[0:1], s[4:5], 0x60
	s_waitcnt lgkmcnt(0)
	v_mul_f32_e32 v20, v3, v8
	v_fmac_f32_e32 v20, v4, v7
	v_mul_f32_e32 v4, v4, v8
	v_mul_f32_e32 v21, v5, v10
	v_fma_f32 v22, v3, v7, -v4
	v_mul_f32_e32 v3, v6, v10
	v_fmac_f32_e32 v21, v6, v9
	v_fma_f32 v23, v5, v9, -v3
	ds_read2_b64 v[3:6], v0 offset0:64 offset1:80
	ds_read2_b64 v[7:10], v19 offset0:64 offset1:80
	v_mul_f32_e32 v24, v11, v16
	v_fmac_f32_e32 v24, v12, v15
	v_mul_f32_e32 v12, v12, v16
	v_mul_f32_e32 v25, v13, v18
	v_fma_f32 v26, v11, v15, -v12
	v_mul_f32_e32 v11, v14, v18
	v_fmac_f32_e32 v25, v14, v17
	v_fma_f32 v27, v13, v17, -v11
	s_waitcnt lgkmcnt(0)
	v_mul_f32_e32 v28, v3, v8
	ds_read2_b64 v[11:14], v0 offset0:96 offset1:112
	ds_read2_b64 v[15:18], v19 offset0:96 offset1:112
	v_fmac_f32_e32 v28, v4, v7
	v_mul_f32_e32 v4, v4, v8
	v_mul_f32_e32 v29, v5, v10
	v_fma_f32 v30, v3, v7, -v4
	v_mul_f32_e32 v3, v6, v10
	v_fmac_f32_e32 v29, v6, v9
	v_fma_f32 v31, v5, v9, -v3
	ds_read2_b64 v[3:6], v0 offset0:128 offset1:144
	ds_read2_b64 v[7:10], v19 offset0:128 offset1:144
	s_waitcnt lgkmcnt(2)
	v_mul_f32_e32 v32, v11, v16
	v_fmac_f32_e32 v32, v12, v15
	v_mul_f32_e32 v12, v12, v16
	v_fma_f32 v11, v11, v15, -v12
	v_mul_f32_e32 v12, v14, v18
	v_mul_f32_e32 v33, v13, v18
	v_fma_f32 v12, v13, v17, -v12
	s_waitcnt lgkmcnt(0)
	v_mul_f32_e32 v13, v3, v8
	v_fmac_f32_e32 v13, v4, v7
	v_mul_f32_e32 v4, v4, v8
	v_fmac_f32_e32 v33, v14, v17
	v_mul_f32_e32 v14, v5, v10
	v_fma_f32 v15, v3, v7, -v4
	v_mul_f32_e32 v3, v6, v10
	v_fmac_f32_e32 v14, v6, v9
	v_fma_f32 v16, v5, v9, -v3
	ds_read2_b64 v[3:6], v0 offset0:160 offset1:176
	ds_read2_b64 v[7:10], v19 offset0:160 offset1:176
	s_lshl_b64 s[0:1], s[0:1], 3
	s_add_u32 s4, s14, s0
	s_addc_u32 s5, s15, s1
	s_lshl_b64 s[0:1], s[6:7], 3
	s_waitcnt lgkmcnt(0)
	v_mul_f32_e32 v17, v3, v8
	v_fmac_f32_e32 v17, v4, v7
	v_mul_f32_e32 v4, v4, v8
	v_mul_f32_e32 v18, v5, v10
	v_fma_f32 v34, v3, v7, -v4
	v_mul_f32_e32 v3, v6, v10
	v_fmac_f32_e32 v18, v6, v9
	v_fma_f32 v35, v5, v9, -v3
	ds_read2_b64 v[3:6], v0 offset0:192 offset1:208
	ds_read2_b64 v[7:10], v19 offset0:192 offset1:208
	s_add_u32 s4, s4, s0
	s_addc_u32 s5, s5, s1
	s_waitcnt lgkmcnt(0)
	v_mul_f32_e32 v36, v3, v8
	v_fmac_f32_e32 v36, v4, v7
	v_mul_f32_e32 v4, v4, v8
	v_fma_f32 v38, v3, v7, -v4
	v_mul_f32_e32 v3, v6, v10
	v_fma_f32 v39, v5, v9, -v3
	v_add_f32_e32 v3, 0, v20
	v_add_f32_e32 v3, v3, v21
	;; [unrolled: 1-line block ×8, first 2 shown]
	v_mul_f32_e32 v37, v5, v10
	v_add_f32_e32 v3, v3, v13
	v_fmac_f32_e32 v37, v6, v9
	v_add_f32_e32 v13, v3, v14
	ds_read2_b64 v[3:6], v0 offset0:224 offset1:240
	ds_read2_b64 v[7:10], v19 offset0:224 offset1:240
	v_add_f32_e32 v0, v13, v17
	v_add_f32_e32 v0, v0, v18
	;; [unrolled: 1-line block ×4, first 2 shown]
	s_waitcnt lgkmcnt(0)
	v_mul_f32_e32 v13, v3, v8
	v_fmac_f32_e32 v13, v4, v7
	v_add_f32_e32 v0, v0, v13
	v_mul_f32_e32 v13, v5, v10
	v_fmac_f32_e32 v13, v6, v9
	v_add_f32_e32 v13, v0, v13
	v_add_f32_e32 v0, 0, v22
	;; [unrolled: 1-line block ×14, first 2 shown]
	v_mul_f32_e32 v4, v4, v8
	v_add_f32_e32 v0, v0, v39
	v_fma_f32 v3, v3, v7, -v4
	v_add_f32_e32 v0, v0, v3
	v_mad_u64_u32 v[3:4], s[0:1], s22, v1, 0
	v_mul_f32_e32 v6, v6, v10
	v_fma_f32 v5, v5, v9, -v6
	v_add_f32_e32 v5, v0, v5
	v_mov_b32_e32 v0, v4
	v_mad_u64_u32 v[0:1], s[0:1], s23, v1, v[0:1]
	v_mul_f32_e32 v6, s2, v13
	v_mul_f32_e32 v1, s3, v13
	v_mov_b32_e32 v4, v0
	v_fmac_f32_e32 v6, s3, v5
	v_fma_f32 v5, s2, v5, -v1
	v_lshlrev_b64 v[0:1], 3, v[3:4]
	v_mov_b32_e32 v3, s5
	v_add_co_u32_e32 v0, vcc, s4, v0
	v_addc_co_u32_e32 v1, vcc, v3, v1, vcc
	v_add_co_u32_e32 v0, vcc, v0, v2
	v_addc_co_u32_e32 v1, vcc, 0, v1, vcc
	flat_store_dwordx2 v[0:1], v[5:6]
.LBB179_15:
	s_endpgm
	.section	.rodata,"a",@progbits
	.p2align	6, 0x0
	.amdhsa_kernel _ZL23rocblas_trmm_rTx_kernelILi16ELb1E19rocblas_complex_numIfES1_KPKS1_KPS1_Ev13rocblas_fill_17rocblas_diagonal_iiT2_lPT3_llSB_llPT4_lli
		.amdhsa_group_segment_fixed_size 4096
		.amdhsa_private_segment_fixed_size 0
		.amdhsa_kernarg_size 108
		.amdhsa_user_sgpr_count 6
		.amdhsa_user_sgpr_private_segment_buffer 1
		.amdhsa_user_sgpr_dispatch_ptr 0
		.amdhsa_user_sgpr_queue_ptr 0
		.amdhsa_user_sgpr_kernarg_segment_ptr 1
		.amdhsa_user_sgpr_dispatch_id 0
		.amdhsa_user_sgpr_flat_scratch_init 0
		.amdhsa_user_sgpr_private_segment_size 0
		.amdhsa_uses_dynamic_stack 0
		.amdhsa_system_sgpr_private_segment_wavefront_offset 0
		.amdhsa_system_sgpr_workgroup_id_x 1
		.amdhsa_system_sgpr_workgroup_id_y 0
		.amdhsa_system_sgpr_workgroup_id_z 1
		.amdhsa_system_sgpr_workgroup_info 0
		.amdhsa_system_vgpr_workitem_id 1
		.amdhsa_next_free_vgpr 40
		.amdhsa_next_free_sgpr 32
		.amdhsa_reserve_vcc 1
		.amdhsa_reserve_flat_scratch 0
		.amdhsa_float_round_mode_32 0
		.amdhsa_float_round_mode_16_64 0
		.amdhsa_float_denorm_mode_32 3
		.amdhsa_float_denorm_mode_16_64 3
		.amdhsa_dx10_clamp 1
		.amdhsa_ieee_mode 1
		.amdhsa_fp16_overflow 0
		.amdhsa_exception_fp_ieee_invalid_op 0
		.amdhsa_exception_fp_denorm_src 0
		.amdhsa_exception_fp_ieee_div_zero 0
		.amdhsa_exception_fp_ieee_overflow 0
		.amdhsa_exception_fp_ieee_underflow 0
		.amdhsa_exception_fp_ieee_inexact 0
		.amdhsa_exception_int_div_zero 0
	.end_amdhsa_kernel
	.section	.text._ZL23rocblas_trmm_rTx_kernelILi16ELb1E19rocblas_complex_numIfES1_KPKS1_KPS1_Ev13rocblas_fill_17rocblas_diagonal_iiT2_lPT3_llSB_llPT4_lli,"axG",@progbits,_ZL23rocblas_trmm_rTx_kernelILi16ELb1E19rocblas_complex_numIfES1_KPKS1_KPS1_Ev13rocblas_fill_17rocblas_diagonal_iiT2_lPT3_llSB_llPT4_lli,comdat
.Lfunc_end179:
	.size	_ZL23rocblas_trmm_rTx_kernelILi16ELb1E19rocblas_complex_numIfES1_KPKS1_KPS1_Ev13rocblas_fill_17rocblas_diagonal_iiT2_lPT3_llSB_llPT4_lli, .Lfunc_end179-_ZL23rocblas_trmm_rTx_kernelILi16ELb1E19rocblas_complex_numIfES1_KPKS1_KPS1_Ev13rocblas_fill_17rocblas_diagonal_iiT2_lPT3_llSB_llPT4_lli
                                        ; -- End function
	.set _ZL23rocblas_trmm_rTx_kernelILi16ELb1E19rocblas_complex_numIfES1_KPKS1_KPS1_Ev13rocblas_fill_17rocblas_diagonal_iiT2_lPT3_llSB_llPT4_lli.num_vgpr, 40
	.set _ZL23rocblas_trmm_rTx_kernelILi16ELb1E19rocblas_complex_numIfES1_KPKS1_KPS1_Ev13rocblas_fill_17rocblas_diagonal_iiT2_lPT3_llSB_llPT4_lli.num_agpr, 0
	.set _ZL23rocblas_trmm_rTx_kernelILi16ELb1E19rocblas_complex_numIfES1_KPKS1_KPS1_Ev13rocblas_fill_17rocblas_diagonal_iiT2_lPT3_llSB_llPT4_lli.numbered_sgpr, 32
	.set _ZL23rocblas_trmm_rTx_kernelILi16ELb1E19rocblas_complex_numIfES1_KPKS1_KPS1_Ev13rocblas_fill_17rocblas_diagonal_iiT2_lPT3_llSB_llPT4_lli.num_named_barrier, 0
	.set _ZL23rocblas_trmm_rTx_kernelILi16ELb1E19rocblas_complex_numIfES1_KPKS1_KPS1_Ev13rocblas_fill_17rocblas_diagonal_iiT2_lPT3_llSB_llPT4_lli.private_seg_size, 0
	.set _ZL23rocblas_trmm_rTx_kernelILi16ELb1E19rocblas_complex_numIfES1_KPKS1_KPS1_Ev13rocblas_fill_17rocblas_diagonal_iiT2_lPT3_llSB_llPT4_lli.uses_vcc, 1
	.set _ZL23rocblas_trmm_rTx_kernelILi16ELb1E19rocblas_complex_numIfES1_KPKS1_KPS1_Ev13rocblas_fill_17rocblas_diagonal_iiT2_lPT3_llSB_llPT4_lli.uses_flat_scratch, 0
	.set _ZL23rocblas_trmm_rTx_kernelILi16ELb1E19rocblas_complex_numIfES1_KPKS1_KPS1_Ev13rocblas_fill_17rocblas_diagonal_iiT2_lPT3_llSB_llPT4_lli.has_dyn_sized_stack, 0
	.set _ZL23rocblas_trmm_rTx_kernelILi16ELb1E19rocblas_complex_numIfES1_KPKS1_KPS1_Ev13rocblas_fill_17rocblas_diagonal_iiT2_lPT3_llSB_llPT4_lli.has_recursion, 0
	.set _ZL23rocblas_trmm_rTx_kernelILi16ELb1E19rocblas_complex_numIfES1_KPKS1_KPS1_Ev13rocblas_fill_17rocblas_diagonal_iiT2_lPT3_llSB_llPT4_lli.has_indirect_call, 0
	.section	.AMDGPU.csdata,"",@progbits
; Kernel info:
; codeLenInByte = 1312
; TotalNumSgprs: 36
; NumVgprs: 40
; ScratchSize: 0
; MemoryBound: 0
; FloatMode: 240
; IeeeMode: 1
; LDSByteSize: 4096 bytes/workgroup (compile time only)
; SGPRBlocks: 4
; VGPRBlocks: 9
; NumSGPRsForWavesPerEU: 36
; NumVGPRsForWavesPerEU: 40
; Occupancy: 6
; WaveLimiterHint : 1
; COMPUTE_PGM_RSRC2:SCRATCH_EN: 0
; COMPUTE_PGM_RSRC2:USER_SGPR: 6
; COMPUTE_PGM_RSRC2:TRAP_HANDLER: 0
; COMPUTE_PGM_RSRC2:TGID_X_EN: 1
; COMPUTE_PGM_RSRC2:TGID_Y_EN: 0
; COMPUTE_PGM_RSRC2:TGID_Z_EN: 1
; COMPUTE_PGM_RSRC2:TIDIG_COMP_CNT: 1
	.section	.text._ZL23rocblas_trmm_lNx_kernelILi16E19rocblas_complex_numIdEPKS1_KS3_KPS1_Ev13rocblas_fill_17rocblas_diagonal_iiT1_lPT2_llSB_llPT3_lli,"axG",@progbits,_ZL23rocblas_trmm_lNx_kernelILi16E19rocblas_complex_numIdEPKS1_KS3_KPS1_Ev13rocblas_fill_17rocblas_diagonal_iiT1_lPT2_llSB_llPT3_lli,comdat
	.globl	_ZL23rocblas_trmm_lNx_kernelILi16E19rocblas_complex_numIdEPKS1_KS3_KPS1_Ev13rocblas_fill_17rocblas_diagonal_iiT1_lPT2_llSB_llPT3_lli ; -- Begin function _ZL23rocblas_trmm_lNx_kernelILi16E19rocblas_complex_numIdEPKS1_KS3_KPS1_Ev13rocblas_fill_17rocblas_diagonal_iiT1_lPT2_llSB_llPT3_lli
	.p2align	8
	.type	_ZL23rocblas_trmm_lNx_kernelILi16E19rocblas_complex_numIdEPKS1_KS3_KPS1_Ev13rocblas_fill_17rocblas_diagonal_iiT1_lPT2_llSB_llPT3_lli,@function
_ZL23rocblas_trmm_lNx_kernelILi16E19rocblas_complex_numIdEPKS1_KS3_KPS1_Ev13rocblas_fill_17rocblas_diagonal_iiT1_lPT2_llSB_llPT3_lli: ; @_ZL23rocblas_trmm_lNx_kernelILi16E19rocblas_complex_numIdEPKS1_KS3_KPS1_Ev13rocblas_fill_17rocblas_diagonal_iiT1_lPT2_llSB_llPT3_lli
; %bb.0:
	s_load_dwordx16 s[8:23], s[4:5], 0x10
	s_waitcnt lgkmcnt(0)
	s_mul_i32 s0, s11, s7
	s_mul_hi_u32 s1, s10, s7
	s_add_i32 s1, s1, s0
	s_mul_i32 s0, s10, s7
	s_lshl_b64 s[0:1], s[0:1], 4
	s_add_u32 s0, s8, s0
	s_addc_u32 s1, s9, s1
	s_load_dwordx4 s[8:11], s[0:1], 0x0
	s_waitcnt lgkmcnt(0)
	v_cmp_neq_f64_e64 s[0:1], s[8:9], 0
	v_cmp_neq_f64_e64 s[2:3], s[10:11], 0
	s_or_b64 s[0:1], s[0:1], s[2:3]
	s_andn2_b64 vcc, exec, s[0:1]
	s_cbranch_vccnz .LBB180_15
; %bb.1:
	s_load_dwordx4 s[24:27], s[4:5], 0x0
	s_load_dwordx4 s[0:3], s[4:5], 0x50
	s_mov_b32 s28, s7
	s_mov_b32 s29, 0
	s_lshl_b64 s[36:37], s[28:29], 3
	s_add_u32 s18, s18, s36
	s_addc_u32 s19, s19, s37
	s_waitcnt lgkmcnt(0)
	s_add_u32 s0, s0, s36
	s_addc_u32 s1, s1, s37
	s_load_dwordx2 s[34:35], s[18:19], 0x0
	s_mov_b32 s28, s29
	s_load_dwordx2 s[18:19], s[0:1], 0x0
	v_lshlrev_b32_e32 v3, 4, v1
	s_mov_b32 s30, s29
	s_mov_b32 s31, s29
	v_mov_b32_e32 v5, s28
	v_cmp_gt_i32_e64 s[0:1], s26, v1
	v_cmp_gt_i32_e32 vcc, s26, v0
	v_add_lshl_u32 v4, v3, v0, 4
	v_mov_b32_e32 v6, s29
	v_mov_b32_e32 v7, s30
	;; [unrolled: 1-line block ×3, first 2 shown]
	s_and_b64 s[0:1], s[0:1], vcc
	v_lshlrev_b32_e32 v2, 4, v0
	ds_write_b128 v4, v[5:8]
	ds_write_b128 v4, v[5:8] offset:4096
	s_and_saveexec_b64 s[28:29], s[0:1]
	s_cbranch_execz .LBB180_3
; %bb.2:
	v_mad_u64_u32 v[5:6], s[0:1], s14, v1, 0
	s_add_u32 s0, s12, s36
	s_addc_u32 s1, s13, s37
	s_load_dwordx2 s[0:1], s[0:1], 0x0
	v_mad_u64_u32 v[6:7], s[12:13], s15, v1, v[6:7]
	s_lshl_b64 s[12:13], s[16:17], 4
	s_waitcnt lgkmcnt(0)
	s_add_u32 s0, s0, s12
	v_lshlrev_b64 v[5:6], 4, v[5:6]
	s_addc_u32 s1, s1, s13
	v_mov_b32_e32 v7, s1
	v_add_co_u32_e64 v5, s[0:1], s0, v5
	v_addc_co_u32_e64 v6, s[0:1], v7, v6, s[0:1]
	v_add_co_u32_e64 v5, s[0:1], v5, v2
	v_addc_co_u32_e64 v6, s[0:1], 0, v6, s[0:1]
	flat_load_dwordx4 v[5:8], v[5:6]
	s_waitcnt vmcnt(0) lgkmcnt(0)
	ds_write2_b64 v4, v[5:6], v[7:8] offset1:1
.LBB180_3:
	s_or_b64 exec, exec, s[28:29]
	s_add_i32 s0, s27, -1
	s_ashr_i32 s1, s0, 31
	s_lshr_b32 s1, s1, 28
	s_add_i32 s0, s0, s1
	s_ashr_i32 s1, s0, 4
	s_and_b32 s0, s0, -16
	s_sub_i32 s0, s27, s0
	s_cmp_ge_i32 s6, s1
	s_cselect_b32 s0, s0, 16
	s_lshl_b32 s14, s6, 4
	v_cmp_gt_i32_e64 s[0:1], s0, v1
	s_ashr_i32 s15, s14, 31
	s_and_b64 s[0:1], vcc, s[0:1]
	s_and_saveexec_b64 s[6:7], s[0:1]
	s_cbranch_execz .LBB180_5
; %bb.4:
	s_lshl_b64 s[12:13], s[22:23], 4
	s_waitcnt lgkmcnt(0)
	s_add_u32 s22, s34, s12
	s_addc_u32 s23, s35, s13
	s_mul_i32 s12, s20, s15
	s_mul_hi_u32 s13, s20, s14
	s_add_i32 s16, s13, s12
	v_mad_u64_u32 v[5:6], s[12:13], s20, v1, 0
	s_mul_i32 s12, s21, s14
	s_add_i32 s13, s16, s12
	v_mad_u64_u32 v[6:7], s[16:17], s21, v1, v[6:7]
	s_mul_i32 s12, s20, s14
	s_lshl_b64 s[12:13], s[12:13], 4
	s_add_u32 s12, s22, s12
	v_lshlrev_b64 v[5:6], 4, v[5:6]
	s_addc_u32 s13, s23, s13
	v_mov_b32_e32 v7, s13
	v_add_co_u32_e32 v5, vcc, s12, v5
	v_addc_co_u32_e32 v6, vcc, v7, v6, vcc
	v_add_co_u32_e32 v5, vcc, v5, v2
	v_addc_co_u32_e32 v6, vcc, 0, v6, vcc
	flat_load_dwordx4 v[5:8], v[5:6]
	v_add_u32_e32 v9, 0x1000, v4
	s_waitcnt vmcnt(0) lgkmcnt(0)
	ds_write2_b64 v9, v[5:6], v[7:8] offset1:1
.LBB180_5:
	s_or_b64 exec, exec, s[6:7]
	s_cmpk_eq_i32 s25, 0x84
	s_cselect_b64 s[6:7], -1, 0
	v_cmp_eq_u32_e32 vcc, v1, v0
	s_and_b64 s[12:13], vcc, s[6:7]
	s_and_saveexec_b64 s[6:7], s[12:13]
; %bb.6:
	v_mov_b32_e32 v5, 0
	v_mov_b32_e32 v6, 0x3ff00000
	;; [unrolled: 1-line block ×4, first 2 shown]
	ds_write_b128 v4, v[5:8]
; %bb.7:
	s_or_b64 exec, exec, s[6:7]
	s_cmpk_lg_i32 s24, 0x79
	s_cbranch_scc0 .LBB180_9
; %bb.8:
	v_cmp_lt_u32_e32 vcc, v0, v1
	s_and_b64 s[6:7], vcc, exec
	s_cbranch_execz .LBB180_10
	s_branch .LBB180_11
.LBB180_9:
	s_mov_b64 s[6:7], 0
.LBB180_10:
	v_cmp_gt_u32_e32 vcc, v0, v1
	s_andn2_b64 s[6:7], s[6:7], exec
	s_and_b64 s[12:13], vcc, exec
	s_or_b64 s[6:7], s[6:7], s[12:13]
.LBB180_11:
	s_and_saveexec_b64 s[12:13], s[6:7]
; %bb.12:
	v_mov_b32_e32 v5, 0
	v_mov_b32_e32 v6, v5
	;; [unrolled: 1-line block ×4, first 2 shown]
	ds_write_b128 v4, v[5:8]
; %bb.13:
	s_or_b64 exec, exec, s[12:13]
	s_waitcnt lgkmcnt(0)
	s_barrier
	s_and_saveexec_b64 s[6:7], s[0:1]
	s_cbranch_execz .LBB180_15
; %bb.14:
	v_lshlrev_b32_e32 v0, 4, v3
	ds_read_b128 v[3:6], v0 offset:4096
	ds_read_b128 v[7:10], v2
	ds_read_b128 v[11:14], v2 offset:256
	ds_read_b128 v[15:18], v0 offset:4112
	;; [unrolled: 1-line block ×3, first 2 shown]
	s_load_dwordx2 s[0:1], s[4:5], 0x60
	s_waitcnt lgkmcnt(0)
	v_mul_f64 v[23:24], v[3:4], v[9:10]
	v_mul_f64 v[9:10], v[5:6], v[9:10]
	;; [unrolled: 1-line block ×4, first 2 shown]
	s_lshl_b64 s[0:1], s[0:1], 4
	s_mul_i32 s6, s2, s15
	s_mul_hi_u32 s7, s2, s14
	s_mul_i32 s12, s3, s14
	v_fma_f64 v[5:6], v[5:6], v[7:8], v[23:24]
	ds_read_b128 v[23:26], v2 offset:512
	ds_read_b128 v[27:30], v2 offset:768
	;; [unrolled: 1-line block ×3, first 2 shown]
	v_fma_f64 v[39:40], v[3:4], v[7:8], -v[9:10]
	v_fma_f64 v[17:18], v[17:18], v[11:12], v[35:36]
	s_waitcnt lgkmcnt(2)
	v_mul_f64 v[37:38], v[19:20], v[25:26]
	v_mul_f64 v[25:26], v[21:22], v[25:26]
	s_waitcnt lgkmcnt(0)
	v_mul_f64 v[41:42], v[31:32], v[29:30]
	v_fma_f64 v[43:44], v[15:16], v[11:12], -v[13:14]
	v_add_f64 v[35:36], v[5:6], 0
	ds_read_b128 v[3:6], v2 offset:1024
	ds_read_b128 v[7:10], v0 offset:4160
	v_mul_f64 v[29:30], v[33:34], v[29:30]
	v_fma_f64 v[21:22], v[21:22], v[23:24], v[37:38]
	v_add_f64 v[37:38], v[39:40], 0
	s_waitcnt lgkmcnt(0)
	v_mul_f64 v[39:40], v[7:8], v[5:6]
	v_fma_f64 v[45:46], v[19:20], v[23:24], -v[25:26]
	v_add_f64 v[35:36], v[35:36], v[17:18]
	v_fma_f64 v[33:34], v[33:34], v[27:28], v[41:42]
	ds_read_b128 v[11:14], v2 offset:1280
	ds_read_b128 v[15:18], v0 offset:4176
	v_mul_f64 v[5:6], v[9:10], v[5:6]
	v_add_f64 v[37:38], v[37:38], v[43:44]
	v_fma_f64 v[43:44], v[31:32], v[27:28], -v[29:30]
	s_waitcnt lgkmcnt(0)
	v_mul_f64 v[41:42], v[15:16], v[13:14]
	v_add_f64 v[35:36], v[35:36], v[21:22]
	v_fma_f64 v[9:10], v[9:10], v[3:4], v[39:40]
	ds_read_b128 v[19:22], v2 offset:1536
	ds_read_b128 v[23:26], v0 offset:4192
	v_mul_f64 v[13:14], v[17:18], v[13:14]
	v_add_f64 v[37:38], v[37:38], v[45:46]
	v_fma_f64 v[45:46], v[7:8], v[3:4], -v[5:6]
	s_waitcnt lgkmcnt(0)
	v_mul_f64 v[39:40], v[23:24], v[21:22]
	;; [unrolled: 9-line block ×9, first 2 shown]
	v_add_f64 v[35:36], v[35:36], v[25:26]
	v_fma_f64 v[9:10], v[9:10], v[3:4], v[39:40]
	ds_read_b128 v[19:22], v2 offset:3584
	ds_read_b128 v[23:26], v0 offset:4320
	v_mul_f64 v[13:14], v[17:18], v[13:14]
	v_fma_f64 v[3:4], v[7:8], v[3:4], -v[5:6]
	v_add_f64 v[37:38], v[37:38], v[45:46]
	s_waitcnt lgkmcnt(0)
	v_mul_f64 v[39:40], v[23:24], v[21:22]
	v_add_f64 v[35:36], v[35:36], v[33:34]
	v_fma_f64 v[5:6], v[17:18], v[11:12], v[41:42]
	ds_read_b128 v[27:30], v2 offset:3840
	ds_read_b128 v[31:34], v0 offset:4336
	v_mul_f64 v[17:18], v[25:26], v[21:22]
	v_fma_f64 v[11:12], v[15:16], v[11:12], -v[13:14]
	v_add_f64 v[7:8], v[37:38], v[43:44]
	s_waitcnt lgkmcnt(0)
	v_mul_f64 v[21:22], v[31:32], v[29:30]
	v_add_f64 v[9:10], v[35:36], v[9:10]
	v_fma_f64 v[13:14], v[25:26], v[19:20], v[39:40]
	v_fma_f64 v[15:16], v[23:24], v[19:20], -v[17:18]
	v_add_f64 v[3:4], v[7:8], v[3:4]
	v_mad_u64_u32 v[7:8], s[4:5], s2, v1, 0
	v_add_f64 v[5:6], v[9:10], v[5:6]
	v_mul_f64 v[9:10], v[33:34], v[29:30]
	v_fma_f64 v[17:18], v[33:34], v[27:28], v[21:22]
	v_mov_b32_e32 v0, v8
	v_mad_u64_u32 v[0:1], s[4:5], s3, v1, v[0:1]
	v_add_f64 v[3:4], v[3:4], v[11:12]
	s_add_u32 s4, s18, s0
	v_add_f64 v[5:6], v[5:6], v[13:14]
	v_fma_f64 v[8:9], v[31:32], v[27:28], -v[9:10]
	s_addc_u32 s5, s19, s1
	s_add_i32 s0, s7, s6
	s_mul_i32 s2, s2, s14
	s_add_i32 s3, s0, s12
	v_add_f64 v[3:4], v[3:4], v[15:16]
	s_lshl_b64 s[0:1], s[2:3], 4
	v_add_f64 v[5:6], v[5:6], v[17:18]
	s_add_u32 s0, s4, s0
	s_addc_u32 s1, s5, s1
	v_add_f64 v[3:4], v[3:4], v[8:9]
	v_mov_b32_e32 v8, v0
	v_mul_f64 v[9:10], s[8:9], v[5:6]
	v_mul_f64 v[11:12], s[10:11], v[5:6]
	v_lshlrev_b64 v[0:1], 4, v[7:8]
	v_mov_b32_e32 v7, s1
	v_add_co_u32_e32 v0, vcc, s0, v0
	v_addc_co_u32_e32 v1, vcc, v7, v1, vcc
	v_fma_f64 v[5:6], s[10:11], v[3:4], v[9:10]
	v_fma_f64 v[3:4], s[8:9], v[3:4], -v[11:12]
	v_add_co_u32_e32 v0, vcc, v0, v2
	v_addc_co_u32_e32 v1, vcc, 0, v1, vcc
	flat_store_dwordx4 v[0:1], v[3:6]
.LBB180_15:
	s_endpgm
	.section	.rodata,"a",@progbits
	.p2align	6, 0x0
	.amdhsa_kernel _ZL23rocblas_trmm_lNx_kernelILi16E19rocblas_complex_numIdEPKS1_KS3_KPS1_Ev13rocblas_fill_17rocblas_diagonal_iiT1_lPT2_llSB_llPT3_lli
		.amdhsa_group_segment_fixed_size 8192
		.amdhsa_private_segment_fixed_size 0
		.amdhsa_kernarg_size 108
		.amdhsa_user_sgpr_count 6
		.amdhsa_user_sgpr_private_segment_buffer 1
		.amdhsa_user_sgpr_dispatch_ptr 0
		.amdhsa_user_sgpr_queue_ptr 0
		.amdhsa_user_sgpr_kernarg_segment_ptr 1
		.amdhsa_user_sgpr_dispatch_id 0
		.amdhsa_user_sgpr_flat_scratch_init 0
		.amdhsa_user_sgpr_private_segment_size 0
		.amdhsa_uses_dynamic_stack 0
		.amdhsa_system_sgpr_private_segment_wavefront_offset 0
		.amdhsa_system_sgpr_workgroup_id_x 1
		.amdhsa_system_sgpr_workgroup_id_y 0
		.amdhsa_system_sgpr_workgroup_id_z 1
		.amdhsa_system_sgpr_workgroup_info 0
		.amdhsa_system_vgpr_workitem_id 1
		.amdhsa_next_free_vgpr 47
		.amdhsa_next_free_sgpr 61
		.amdhsa_reserve_vcc 1
		.amdhsa_reserve_flat_scratch 0
		.amdhsa_float_round_mode_32 0
		.amdhsa_float_round_mode_16_64 0
		.amdhsa_float_denorm_mode_32 3
		.amdhsa_float_denorm_mode_16_64 3
		.amdhsa_dx10_clamp 1
		.amdhsa_ieee_mode 1
		.amdhsa_fp16_overflow 0
		.amdhsa_exception_fp_ieee_invalid_op 0
		.amdhsa_exception_fp_denorm_src 0
		.amdhsa_exception_fp_ieee_div_zero 0
		.amdhsa_exception_fp_ieee_overflow 0
		.amdhsa_exception_fp_ieee_underflow 0
		.amdhsa_exception_fp_ieee_inexact 0
		.amdhsa_exception_int_div_zero 0
	.end_amdhsa_kernel
	.section	.text._ZL23rocblas_trmm_lNx_kernelILi16E19rocblas_complex_numIdEPKS1_KS3_KPS1_Ev13rocblas_fill_17rocblas_diagonal_iiT1_lPT2_llSB_llPT3_lli,"axG",@progbits,_ZL23rocblas_trmm_lNx_kernelILi16E19rocblas_complex_numIdEPKS1_KS3_KPS1_Ev13rocblas_fill_17rocblas_diagonal_iiT1_lPT2_llSB_llPT3_lli,comdat
.Lfunc_end180:
	.size	_ZL23rocblas_trmm_lNx_kernelILi16E19rocblas_complex_numIdEPKS1_KS3_KPS1_Ev13rocblas_fill_17rocblas_diagonal_iiT1_lPT2_llSB_llPT3_lli, .Lfunc_end180-_ZL23rocblas_trmm_lNx_kernelILi16E19rocblas_complex_numIdEPKS1_KS3_KPS1_Ev13rocblas_fill_17rocblas_diagonal_iiT1_lPT2_llSB_llPT3_lli
                                        ; -- End function
	.set _ZL23rocblas_trmm_lNx_kernelILi16E19rocblas_complex_numIdEPKS1_KS3_KPS1_Ev13rocblas_fill_17rocblas_diagonal_iiT1_lPT2_llSB_llPT3_lli.num_vgpr, 47
	.set _ZL23rocblas_trmm_lNx_kernelILi16E19rocblas_complex_numIdEPKS1_KS3_KPS1_Ev13rocblas_fill_17rocblas_diagonal_iiT1_lPT2_llSB_llPT3_lli.num_agpr, 0
	.set _ZL23rocblas_trmm_lNx_kernelILi16E19rocblas_complex_numIdEPKS1_KS3_KPS1_Ev13rocblas_fill_17rocblas_diagonal_iiT1_lPT2_llSB_llPT3_lli.numbered_sgpr, 38
	.set _ZL23rocblas_trmm_lNx_kernelILi16E19rocblas_complex_numIdEPKS1_KS3_KPS1_Ev13rocblas_fill_17rocblas_diagonal_iiT1_lPT2_llSB_llPT3_lli.num_named_barrier, 0
	.set _ZL23rocblas_trmm_lNx_kernelILi16E19rocblas_complex_numIdEPKS1_KS3_KPS1_Ev13rocblas_fill_17rocblas_diagonal_iiT1_lPT2_llSB_llPT3_lli.private_seg_size, 0
	.set _ZL23rocblas_trmm_lNx_kernelILi16E19rocblas_complex_numIdEPKS1_KS3_KPS1_Ev13rocblas_fill_17rocblas_diagonal_iiT1_lPT2_llSB_llPT3_lli.uses_vcc, 1
	.set _ZL23rocblas_trmm_lNx_kernelILi16E19rocblas_complex_numIdEPKS1_KS3_KPS1_Ev13rocblas_fill_17rocblas_diagonal_iiT1_lPT2_llSB_llPT3_lli.uses_flat_scratch, 0
	.set _ZL23rocblas_trmm_lNx_kernelILi16E19rocblas_complex_numIdEPKS1_KS3_KPS1_Ev13rocblas_fill_17rocblas_diagonal_iiT1_lPT2_llSB_llPT3_lli.has_dyn_sized_stack, 0
	.set _ZL23rocblas_trmm_lNx_kernelILi16E19rocblas_complex_numIdEPKS1_KS3_KPS1_Ev13rocblas_fill_17rocblas_diagonal_iiT1_lPT2_llSB_llPT3_lli.has_recursion, 0
	.set _ZL23rocblas_trmm_lNx_kernelILi16E19rocblas_complex_numIdEPKS1_KS3_KPS1_Ev13rocblas_fill_17rocblas_diagonal_iiT1_lPT2_llSB_llPT3_lli.has_indirect_call, 0
	.section	.AMDGPU.csdata,"",@progbits
; Kernel info:
; codeLenInByte = 1920
; TotalNumSgprs: 42
; NumVgprs: 47
; ScratchSize: 0
; MemoryBound: 0
; FloatMode: 240
; IeeeMode: 1
; LDSByteSize: 8192 bytes/workgroup (compile time only)
; SGPRBlocks: 8
; VGPRBlocks: 11
; NumSGPRsForWavesPerEU: 65
; NumVGPRsForWavesPerEU: 47
; Occupancy: 5
; WaveLimiterHint : 1
; COMPUTE_PGM_RSRC2:SCRATCH_EN: 0
; COMPUTE_PGM_RSRC2:USER_SGPR: 6
; COMPUTE_PGM_RSRC2:TRAP_HANDLER: 0
; COMPUTE_PGM_RSRC2:TGID_X_EN: 1
; COMPUTE_PGM_RSRC2:TGID_Y_EN: 0
; COMPUTE_PGM_RSRC2:TGID_Z_EN: 1
; COMPUTE_PGM_RSRC2:TIDIG_COMP_CNT: 1
	.section	.text._ZL23rocblas_trmm_lNx_kernelILi16E19rocblas_complex_numIdES1_KPKS1_KPS1_Ev13rocblas_fill_17rocblas_diagonal_iiT1_lPT2_llSB_llPT3_lli,"axG",@progbits,_ZL23rocblas_trmm_lNx_kernelILi16E19rocblas_complex_numIdES1_KPKS1_KPS1_Ev13rocblas_fill_17rocblas_diagonal_iiT1_lPT2_llSB_llPT3_lli,comdat
	.globl	_ZL23rocblas_trmm_lNx_kernelILi16E19rocblas_complex_numIdES1_KPKS1_KPS1_Ev13rocblas_fill_17rocblas_diagonal_iiT1_lPT2_llSB_llPT3_lli ; -- Begin function _ZL23rocblas_trmm_lNx_kernelILi16E19rocblas_complex_numIdES1_KPKS1_KPS1_Ev13rocblas_fill_17rocblas_diagonal_iiT1_lPT2_llSB_llPT3_lli
	.p2align	8
	.type	_ZL23rocblas_trmm_lNx_kernelILi16E19rocblas_complex_numIdES1_KPKS1_KPS1_Ev13rocblas_fill_17rocblas_diagonal_iiT1_lPT2_llSB_llPT3_lli,@function
_ZL23rocblas_trmm_lNx_kernelILi16E19rocblas_complex_numIdES1_KPKS1_KPS1_Ev13rocblas_fill_17rocblas_diagonal_iiT1_lPT2_llSB_llPT3_lli: ; @_ZL23rocblas_trmm_lNx_kernelILi16E19rocblas_complex_numIdES1_KPKS1_KPS1_Ev13rocblas_fill_17rocblas_diagonal_iiT1_lPT2_llSB_llPT3_lli
; %bb.0:
	s_load_dwordx4 s[24:27], s[4:5], 0x10
	s_waitcnt lgkmcnt(0)
	v_cmp_neq_f64_e64 s[2:3], s[24:25], 0
	v_cmp_neq_f64_e64 s[8:9], s[26:27], 0
	s_or_b64 s[2:3], s[2:3], s[8:9]
	s_andn2_b64 vcc, exec, s[2:3]
	s_cbranch_vccnz .LBB181_15
; %bb.1:
	s_load_dwordx16 s[8:23], s[4:5], 0x28
	s_load_dwordx4 s[28:31], s[4:5], 0x0
	s_mov_b32 s0, s7
	s_mov_b32 s1, 0
	s_lshl_b64 s[36:37], s[0:1], 3
	s_waitcnt lgkmcnt(0)
	s_add_u32 s2, s14, s36
	s_addc_u32 s3, s15, s37
	s_load_dwordx2 s[34:35], s[2:3], 0x0
	s_add_u32 s2, s20, s36
	s_addc_u32 s3, s21, s37
	s_load_dwordx2 s[14:15], s[2:3], 0x0
	s_mov_b32 s3, s1
	s_mov_b32 s0, s1
	;; [unrolled: 1-line block ×3, first 2 shown]
	v_mov_b32_e32 v8, s3
	v_lshlrev_b32_e32 v3, 4, v1
	v_mov_b32_e32 v7, s2
	v_mov_b32_e32 v6, s1
	;; [unrolled: 1-line block ×3, first 2 shown]
	v_cmp_gt_i32_e64 s[0:1], s30, v1
	v_cmp_gt_i32_e32 vcc, s30, v0
	v_add_lshl_u32 v4, v3, v0, 4
	s_and_b64 s[0:1], s[0:1], vcc
	v_lshlrev_b32_e32 v2, 4, v0
	ds_write_b128 v4, v[5:8]
	ds_write_b128 v4, v[5:8] offset:4096
	s_and_saveexec_b64 s[2:3], s[0:1]
	s_cbranch_execz .LBB181_3
; %bb.2:
	v_mad_u64_u32 v[5:6], s[0:1], s10, v1, 0
	s_add_u32 s0, s8, s36
	s_addc_u32 s1, s9, s37
	s_load_dwordx2 s[0:1], s[0:1], 0x0
	v_mad_u64_u32 v[6:7], s[8:9], s11, v1, v[6:7]
	s_lshl_b64 s[8:9], s[12:13], 4
	s_waitcnt lgkmcnt(0)
	s_add_u32 s0, s0, s8
	v_lshlrev_b64 v[5:6], 4, v[5:6]
	s_addc_u32 s1, s1, s9
	v_mov_b32_e32 v7, s1
	v_add_co_u32_e64 v5, s[0:1], s0, v5
	v_addc_co_u32_e64 v6, s[0:1], v7, v6, s[0:1]
	v_add_co_u32_e64 v5, s[0:1], v5, v2
	v_addc_co_u32_e64 v6, s[0:1], 0, v6, s[0:1]
	flat_load_dwordx4 v[5:8], v[5:6]
	s_waitcnt vmcnt(0) lgkmcnt(0)
	ds_write2_b64 v4, v[5:6], v[7:8] offset1:1
.LBB181_3:
	s_or_b64 exec, exec, s[2:3]
	s_add_i32 s0, s31, -1
	s_ashr_i32 s1, s0, 31
	s_lshr_b32 s1, s1, 28
	s_add_i32 s0, s0, s1
	s_ashr_i32 s1, s0, 4
	s_and_b32 s0, s0, -16
	s_sub_i32 s0, s31, s0
	s_cmp_ge_i32 s6, s1
	s_cselect_b32 s0, s0, 16
	s_lshl_b32 s8, s6, 4
	v_cmp_gt_i32_e64 s[0:1], s0, v1
	s_ashr_i32 s9, s8, 31
	s_and_b64 s[0:1], vcc, s[0:1]
	s_and_saveexec_b64 s[2:3], s[0:1]
	s_cbranch_execz .LBB181_5
; %bb.4:
	s_lshl_b64 s[6:7], s[18:19], 4
	s_waitcnt lgkmcnt(0)
	s_add_u32 s12, s34, s6
	s_addc_u32 s13, s35, s7
	s_mul_i32 s6, s16, s9
	s_mul_hi_u32 s7, s16, s8
	s_add_i32 s10, s7, s6
	v_mad_u64_u32 v[5:6], s[6:7], s16, v1, 0
	s_mul_i32 s6, s17, s8
	s_add_i32 s7, s10, s6
	v_mad_u64_u32 v[6:7], s[10:11], s17, v1, v[6:7]
	s_mul_i32 s6, s16, s8
	s_lshl_b64 s[6:7], s[6:7], 4
	s_add_u32 s6, s12, s6
	v_lshlrev_b64 v[5:6], 4, v[5:6]
	s_addc_u32 s7, s13, s7
	v_mov_b32_e32 v7, s7
	v_add_co_u32_e32 v5, vcc, s6, v5
	v_addc_co_u32_e32 v6, vcc, v7, v6, vcc
	v_add_co_u32_e32 v5, vcc, v5, v2
	v_addc_co_u32_e32 v6, vcc, 0, v6, vcc
	flat_load_dwordx4 v[5:8], v[5:6]
	v_add_u32_e32 v9, 0x1000, v4
	s_waitcnt vmcnt(0) lgkmcnt(0)
	ds_write2_b64 v9, v[5:6], v[7:8] offset1:1
.LBB181_5:
	s_or_b64 exec, exec, s[2:3]
	s_cmpk_eq_i32 s29, 0x84
	s_cselect_b64 s[2:3], -1, 0
	v_cmp_eq_u32_e32 vcc, v1, v0
	s_and_b64 s[6:7], vcc, s[2:3]
	s_and_saveexec_b64 s[2:3], s[6:7]
; %bb.6:
	v_mov_b32_e32 v5, 0
	v_mov_b32_e32 v6, 0x3ff00000
	;; [unrolled: 1-line block ×4, first 2 shown]
	ds_write_b128 v4, v[5:8]
; %bb.7:
	s_or_b64 exec, exec, s[2:3]
	s_cmpk_lg_i32 s28, 0x79
	s_cbranch_scc0 .LBB181_9
; %bb.8:
	v_cmp_lt_u32_e32 vcc, v0, v1
	s_and_b64 s[2:3], vcc, exec
	s_cbranch_execz .LBB181_10
	s_branch .LBB181_11
.LBB181_9:
	s_mov_b64 s[2:3], 0
.LBB181_10:
	v_cmp_gt_u32_e32 vcc, v0, v1
	s_andn2_b64 s[2:3], s[2:3], exec
	s_and_b64 s[6:7], vcc, exec
	s_or_b64 s[2:3], s[2:3], s[6:7]
.LBB181_11:
	s_and_saveexec_b64 s[6:7], s[2:3]
; %bb.12:
	v_mov_b32_e32 v5, 0
	v_mov_b32_e32 v6, v5
	;; [unrolled: 1-line block ×4, first 2 shown]
	ds_write_b128 v4, v[5:8]
; %bb.13:
	s_or_b64 exec, exec, s[6:7]
	s_waitcnt lgkmcnt(0)
	s_barrier
	s_and_saveexec_b64 s[2:3], s[0:1]
	s_cbranch_execz .LBB181_15
; %bb.14:
	v_lshlrev_b32_e32 v0, 4, v3
	ds_read_b128 v[3:6], v0 offset:4096
	ds_read_b128 v[7:10], v2
	ds_read_b128 v[11:14], v2 offset:256
	ds_read_b128 v[15:18], v0 offset:4112
	;; [unrolled: 1-line block ×3, first 2 shown]
	s_load_dwordx2 s[0:1], s[4:5], 0x68
	s_waitcnt lgkmcnt(0)
	v_mul_f64 v[23:24], v[3:4], v[9:10]
	v_mul_f64 v[9:10], v[5:6], v[9:10]
	;; [unrolled: 1-line block ×4, first 2 shown]
	s_lshl_b64 s[0:1], s[0:1], 4
	s_mul_i32 s6, s22, s9
	s_mul_i32 s7, s23, s8
	v_fma_f64 v[5:6], v[5:6], v[7:8], v[23:24]
	ds_read_b128 v[23:26], v2 offset:512
	ds_read_b128 v[27:30], v2 offset:768
	ds_read_b128 v[31:34], v0 offset:4144
	v_fma_f64 v[39:40], v[3:4], v[7:8], -v[9:10]
	v_fma_f64 v[17:18], v[17:18], v[11:12], v[35:36]
	s_waitcnt lgkmcnt(2)
	v_mul_f64 v[37:38], v[19:20], v[25:26]
	v_mul_f64 v[25:26], v[21:22], v[25:26]
	s_waitcnt lgkmcnt(0)
	v_mul_f64 v[41:42], v[31:32], v[29:30]
	v_fma_f64 v[43:44], v[15:16], v[11:12], -v[13:14]
	v_add_f64 v[35:36], v[5:6], 0
	ds_read_b128 v[3:6], v2 offset:1024
	ds_read_b128 v[7:10], v0 offset:4160
	v_mul_f64 v[29:30], v[33:34], v[29:30]
	v_fma_f64 v[21:22], v[21:22], v[23:24], v[37:38]
	v_add_f64 v[37:38], v[39:40], 0
	s_waitcnt lgkmcnt(0)
	v_mul_f64 v[39:40], v[7:8], v[5:6]
	v_fma_f64 v[45:46], v[19:20], v[23:24], -v[25:26]
	v_add_f64 v[35:36], v[35:36], v[17:18]
	v_fma_f64 v[33:34], v[33:34], v[27:28], v[41:42]
	ds_read_b128 v[11:14], v2 offset:1280
	ds_read_b128 v[15:18], v0 offset:4176
	v_mul_f64 v[5:6], v[9:10], v[5:6]
	v_add_f64 v[37:38], v[37:38], v[43:44]
	v_fma_f64 v[43:44], v[31:32], v[27:28], -v[29:30]
	s_waitcnt lgkmcnt(0)
	v_mul_f64 v[41:42], v[15:16], v[13:14]
	v_add_f64 v[35:36], v[35:36], v[21:22]
	v_fma_f64 v[9:10], v[9:10], v[3:4], v[39:40]
	ds_read_b128 v[19:22], v2 offset:1536
	ds_read_b128 v[23:26], v0 offset:4192
	v_mul_f64 v[13:14], v[17:18], v[13:14]
	v_add_f64 v[37:38], v[37:38], v[45:46]
	v_fma_f64 v[45:46], v[7:8], v[3:4], -v[5:6]
	s_waitcnt lgkmcnt(0)
	v_mul_f64 v[39:40], v[23:24], v[21:22]
	;; [unrolled: 9-line block ×9, first 2 shown]
	v_add_f64 v[35:36], v[35:36], v[25:26]
	v_fma_f64 v[9:10], v[9:10], v[3:4], v[39:40]
	ds_read_b128 v[19:22], v2 offset:3584
	ds_read_b128 v[23:26], v0 offset:4320
	v_mul_f64 v[13:14], v[17:18], v[13:14]
	v_fma_f64 v[3:4], v[7:8], v[3:4], -v[5:6]
	v_add_f64 v[37:38], v[37:38], v[45:46]
	s_waitcnt lgkmcnt(0)
	v_mul_f64 v[39:40], v[23:24], v[21:22]
	v_add_f64 v[35:36], v[35:36], v[33:34]
	v_fma_f64 v[5:6], v[17:18], v[11:12], v[41:42]
	ds_read_b128 v[27:30], v2 offset:3840
	ds_read_b128 v[31:34], v0 offset:4336
	v_mul_f64 v[17:18], v[25:26], v[21:22]
	v_fma_f64 v[11:12], v[15:16], v[11:12], -v[13:14]
	v_add_f64 v[7:8], v[37:38], v[43:44]
	s_waitcnt lgkmcnt(0)
	v_mul_f64 v[21:22], v[31:32], v[29:30]
	v_add_f64 v[9:10], v[35:36], v[9:10]
	v_fma_f64 v[13:14], v[25:26], v[19:20], v[39:40]
	v_fma_f64 v[15:16], v[23:24], v[19:20], -v[17:18]
	v_add_f64 v[3:4], v[7:8], v[3:4]
	v_mad_u64_u32 v[7:8], s[2:3], s22, v1, 0
	v_add_f64 v[5:6], v[9:10], v[5:6]
	v_mul_f64 v[9:10], v[33:34], v[29:30]
	v_fma_f64 v[17:18], v[33:34], v[27:28], v[21:22]
	v_mov_b32_e32 v0, v8
	v_mad_u64_u32 v[0:1], s[4:5], s23, v1, v[0:1]
	v_add_f64 v[3:4], v[3:4], v[11:12]
	s_mul_hi_u32 s3, s22, s8
	v_add_f64 v[5:6], v[5:6], v[13:14]
	v_fma_f64 v[8:9], v[31:32], v[27:28], -v[9:10]
	s_add_u32 s4, s14, s0
	s_addc_u32 s5, s15, s1
	s_add_i32 s0, s3, s6
	s_mul_i32 s2, s22, s8
	v_add_f64 v[3:4], v[3:4], v[15:16]
	s_add_i32 s3, s0, s7
	v_add_f64 v[5:6], v[5:6], v[17:18]
	s_lshl_b64 s[0:1], s[2:3], 4
	s_add_u32 s0, s4, s0
	s_addc_u32 s1, s5, s1
	v_add_f64 v[3:4], v[3:4], v[8:9]
	v_mov_b32_e32 v8, v0
	v_mul_f64 v[9:10], s[24:25], v[5:6]
	v_mul_f64 v[11:12], s[26:27], v[5:6]
	v_lshlrev_b64 v[0:1], 4, v[7:8]
	v_mov_b32_e32 v7, s1
	v_add_co_u32_e32 v0, vcc, s0, v0
	v_addc_co_u32_e32 v1, vcc, v7, v1, vcc
	v_fma_f64 v[5:6], s[26:27], v[3:4], v[9:10]
	v_fma_f64 v[3:4], s[24:25], v[3:4], -v[11:12]
	v_add_co_u32_e32 v0, vcc, v0, v2
	v_addc_co_u32_e32 v1, vcc, 0, v1, vcc
	flat_store_dwordx4 v[0:1], v[3:6]
.LBB181_15:
	s_endpgm
	.section	.rodata,"a",@progbits
	.p2align	6, 0x0
	.amdhsa_kernel _ZL23rocblas_trmm_lNx_kernelILi16E19rocblas_complex_numIdES1_KPKS1_KPS1_Ev13rocblas_fill_17rocblas_diagonal_iiT1_lPT2_llSB_llPT3_lli
		.amdhsa_group_segment_fixed_size 8192
		.amdhsa_private_segment_fixed_size 0
		.amdhsa_kernarg_size 116
		.amdhsa_user_sgpr_count 6
		.amdhsa_user_sgpr_private_segment_buffer 1
		.amdhsa_user_sgpr_dispatch_ptr 0
		.amdhsa_user_sgpr_queue_ptr 0
		.amdhsa_user_sgpr_kernarg_segment_ptr 1
		.amdhsa_user_sgpr_dispatch_id 0
		.amdhsa_user_sgpr_flat_scratch_init 0
		.amdhsa_user_sgpr_private_segment_size 0
		.amdhsa_uses_dynamic_stack 0
		.amdhsa_system_sgpr_private_segment_wavefront_offset 0
		.amdhsa_system_sgpr_workgroup_id_x 1
		.amdhsa_system_sgpr_workgroup_id_y 0
		.amdhsa_system_sgpr_workgroup_id_z 1
		.amdhsa_system_sgpr_workgroup_info 0
		.amdhsa_system_vgpr_workitem_id 1
		.amdhsa_next_free_vgpr 47
		.amdhsa_next_free_sgpr 61
		.amdhsa_reserve_vcc 1
		.amdhsa_reserve_flat_scratch 0
		.amdhsa_float_round_mode_32 0
		.amdhsa_float_round_mode_16_64 0
		.amdhsa_float_denorm_mode_32 3
		.amdhsa_float_denorm_mode_16_64 3
		.amdhsa_dx10_clamp 1
		.amdhsa_ieee_mode 1
		.amdhsa_fp16_overflow 0
		.amdhsa_exception_fp_ieee_invalid_op 0
		.amdhsa_exception_fp_denorm_src 0
		.amdhsa_exception_fp_ieee_div_zero 0
		.amdhsa_exception_fp_ieee_overflow 0
		.amdhsa_exception_fp_ieee_underflow 0
		.amdhsa_exception_fp_ieee_inexact 0
		.amdhsa_exception_int_div_zero 0
	.end_amdhsa_kernel
	.section	.text._ZL23rocblas_trmm_lNx_kernelILi16E19rocblas_complex_numIdES1_KPKS1_KPS1_Ev13rocblas_fill_17rocblas_diagonal_iiT1_lPT2_llSB_llPT3_lli,"axG",@progbits,_ZL23rocblas_trmm_lNx_kernelILi16E19rocblas_complex_numIdES1_KPKS1_KPS1_Ev13rocblas_fill_17rocblas_diagonal_iiT1_lPT2_llSB_llPT3_lli,comdat
.Lfunc_end181:
	.size	_ZL23rocblas_trmm_lNx_kernelILi16E19rocblas_complex_numIdES1_KPKS1_KPS1_Ev13rocblas_fill_17rocblas_diagonal_iiT1_lPT2_llSB_llPT3_lli, .Lfunc_end181-_ZL23rocblas_trmm_lNx_kernelILi16E19rocblas_complex_numIdES1_KPKS1_KPS1_Ev13rocblas_fill_17rocblas_diagonal_iiT1_lPT2_llSB_llPT3_lli
                                        ; -- End function
	.set _ZL23rocblas_trmm_lNx_kernelILi16E19rocblas_complex_numIdES1_KPKS1_KPS1_Ev13rocblas_fill_17rocblas_diagonal_iiT1_lPT2_llSB_llPT3_lli.num_vgpr, 47
	.set _ZL23rocblas_trmm_lNx_kernelILi16E19rocblas_complex_numIdES1_KPKS1_KPS1_Ev13rocblas_fill_17rocblas_diagonal_iiT1_lPT2_llSB_llPT3_lli.num_agpr, 0
	.set _ZL23rocblas_trmm_lNx_kernelILi16E19rocblas_complex_numIdES1_KPKS1_KPS1_Ev13rocblas_fill_17rocblas_diagonal_iiT1_lPT2_llSB_llPT3_lli.numbered_sgpr, 38
	.set _ZL23rocblas_trmm_lNx_kernelILi16E19rocblas_complex_numIdES1_KPKS1_KPS1_Ev13rocblas_fill_17rocblas_diagonal_iiT1_lPT2_llSB_llPT3_lli.num_named_barrier, 0
	.set _ZL23rocblas_trmm_lNx_kernelILi16E19rocblas_complex_numIdES1_KPKS1_KPS1_Ev13rocblas_fill_17rocblas_diagonal_iiT1_lPT2_llSB_llPT3_lli.private_seg_size, 0
	.set _ZL23rocblas_trmm_lNx_kernelILi16E19rocblas_complex_numIdES1_KPKS1_KPS1_Ev13rocblas_fill_17rocblas_diagonal_iiT1_lPT2_llSB_llPT3_lli.uses_vcc, 1
	.set _ZL23rocblas_trmm_lNx_kernelILi16E19rocblas_complex_numIdES1_KPKS1_KPS1_Ev13rocblas_fill_17rocblas_diagonal_iiT1_lPT2_llSB_llPT3_lli.uses_flat_scratch, 0
	.set _ZL23rocblas_trmm_lNx_kernelILi16E19rocblas_complex_numIdES1_KPKS1_KPS1_Ev13rocblas_fill_17rocblas_diagonal_iiT1_lPT2_llSB_llPT3_lli.has_dyn_sized_stack, 0
	.set _ZL23rocblas_trmm_lNx_kernelILi16E19rocblas_complex_numIdES1_KPKS1_KPS1_Ev13rocblas_fill_17rocblas_diagonal_iiT1_lPT2_llSB_llPT3_lli.has_recursion, 0
	.set _ZL23rocblas_trmm_lNx_kernelILi16E19rocblas_complex_numIdES1_KPKS1_KPS1_Ev13rocblas_fill_17rocblas_diagonal_iiT1_lPT2_llSB_llPT3_lli.has_indirect_call, 0
	.section	.AMDGPU.csdata,"",@progbits
; Kernel info:
; codeLenInByte = 1880
; TotalNumSgprs: 42
; NumVgprs: 47
; ScratchSize: 0
; MemoryBound: 0
; FloatMode: 240
; IeeeMode: 1
; LDSByteSize: 8192 bytes/workgroup (compile time only)
; SGPRBlocks: 8
; VGPRBlocks: 11
; NumSGPRsForWavesPerEU: 65
; NumVGPRsForWavesPerEU: 47
; Occupancy: 5
; WaveLimiterHint : 1
; COMPUTE_PGM_RSRC2:SCRATCH_EN: 0
; COMPUTE_PGM_RSRC2:USER_SGPR: 6
; COMPUTE_PGM_RSRC2:TRAP_HANDLER: 0
; COMPUTE_PGM_RSRC2:TGID_X_EN: 1
; COMPUTE_PGM_RSRC2:TGID_Y_EN: 0
; COMPUTE_PGM_RSRC2:TGID_Z_EN: 1
; COMPUTE_PGM_RSRC2:TIDIG_COMP_CNT: 1
	.section	.text._ZL23rocblas_trmm_lTx_kernelILi16ELb0E19rocblas_complex_numIdEPKS1_KS3_KPS1_Ev13rocblas_fill_17rocblas_diagonal_iiT2_lPT3_llSB_llPT4_lli,"axG",@progbits,_ZL23rocblas_trmm_lTx_kernelILi16ELb0E19rocblas_complex_numIdEPKS1_KS3_KPS1_Ev13rocblas_fill_17rocblas_diagonal_iiT2_lPT3_llSB_llPT4_lli,comdat
	.globl	_ZL23rocblas_trmm_lTx_kernelILi16ELb0E19rocblas_complex_numIdEPKS1_KS3_KPS1_Ev13rocblas_fill_17rocblas_diagonal_iiT2_lPT3_llSB_llPT4_lli ; -- Begin function _ZL23rocblas_trmm_lTx_kernelILi16ELb0E19rocblas_complex_numIdEPKS1_KS3_KPS1_Ev13rocblas_fill_17rocblas_diagonal_iiT2_lPT3_llSB_llPT4_lli
	.p2align	8
	.type	_ZL23rocblas_trmm_lTx_kernelILi16ELb0E19rocblas_complex_numIdEPKS1_KS3_KPS1_Ev13rocblas_fill_17rocblas_diagonal_iiT2_lPT3_llSB_llPT4_lli,@function
_ZL23rocblas_trmm_lTx_kernelILi16ELb0E19rocblas_complex_numIdEPKS1_KS3_KPS1_Ev13rocblas_fill_17rocblas_diagonal_iiT2_lPT3_llSB_llPT4_lli: ; @_ZL23rocblas_trmm_lTx_kernelILi16ELb0E19rocblas_complex_numIdEPKS1_KS3_KPS1_Ev13rocblas_fill_17rocblas_diagonal_iiT2_lPT3_llSB_llPT4_lli
; %bb.0:
	s_load_dwordx16 s[8:23], s[4:5], 0x10
	s_waitcnt lgkmcnt(0)
	s_mul_i32 s0, s11, s7
	s_mul_hi_u32 s1, s10, s7
	s_add_i32 s1, s1, s0
	s_mul_i32 s0, s10, s7
	s_lshl_b64 s[0:1], s[0:1], 4
	s_add_u32 s0, s8, s0
	s_addc_u32 s1, s9, s1
	s_load_dwordx4 s[8:11], s[0:1], 0x0
	s_waitcnt lgkmcnt(0)
	v_cmp_neq_f64_e64 s[0:1], s[8:9], 0
	v_cmp_neq_f64_e64 s[2:3], s[10:11], 0
	s_or_b64 s[0:1], s[0:1], s[2:3]
	s_andn2_b64 vcc, exec, s[0:1]
	s_cbranch_vccnz .LBB182_15
; %bb.1:
	s_mov_b32 s28, s7
	s_mov_b32 s29, 0
	s_load_dwordx4 s[24:27], s[4:5], 0x0
	s_load_dwordx4 s[0:3], s[4:5], 0x50
	s_lshl_b64 s[30:31], s[28:29], 3
	s_add_u32 s12, s12, s30
	s_addc_u32 s13, s13, s31
	s_load_dwordx2 s[34:35], s[12:13], 0x0
	s_add_u32 s12, s18, s30
	s_addc_u32 s13, s19, s31
	s_waitcnt lgkmcnt(0)
	s_add_u32 s0, s0, s30
	s_addc_u32 s1, s1, s31
	s_load_dwordx2 s[18:19], s[12:13], 0x0
	s_mov_b32 s28, s29
	s_load_dwordx2 s[12:13], s[0:1], 0x0
	v_lshlrev_b32_e32 v3, 4, v1
	s_mov_b32 s30, s29
	s_mov_b32 s31, s29
	v_mov_b32_e32 v5, s28
	v_cmp_gt_i32_e64 s[0:1], s26, v1
	v_cmp_gt_i32_e32 vcc, s26, v0
	v_add_lshl_u32 v4, v3, v0, 4
	v_mov_b32_e32 v6, s29
	v_mov_b32_e32 v7, s30
	;; [unrolled: 1-line block ×3, first 2 shown]
	s_and_b64 s[0:1], s[0:1], vcc
	v_lshlrev_b32_e32 v2, 4, v0
	ds_write_b128 v4, v[5:8]
	ds_write_b128 v4, v[5:8] offset:4096
	s_waitcnt lgkmcnt(0)
	s_barrier
	s_and_saveexec_b64 s[28:29], s[0:1]
	s_cbranch_execz .LBB182_3
; %bb.2:
	v_mad_u64_u32 v[5:6], s[0:1], s14, v1, 0
	s_lshl_b64 s[0:1], s[16:17], 4
	s_add_u32 s0, s34, s0
	v_mad_u64_u32 v[6:7], s[14:15], s15, v1, v[6:7]
	s_addc_u32 s1, s35, s1
	v_mov_b32_e32 v7, s1
	v_lshlrev_b64 v[5:6], 4, v[5:6]
	v_lshl_add_u32 v9, v0, 8, v3
	v_add_co_u32_e64 v5, s[0:1], s0, v5
	v_addc_co_u32_e64 v6, s[0:1], v7, v6, s[0:1]
	v_add_co_u32_e64 v5, s[0:1], v5, v2
	v_addc_co_u32_e64 v6, s[0:1], 0, v6, s[0:1]
	flat_load_dwordx4 v[5:8], v[5:6]
	s_waitcnt vmcnt(0) lgkmcnt(0)
	ds_write2_b64 v9, v[5:6], v[7:8] offset1:1
.LBB182_3:
	s_or_b64 exec, exec, s[28:29]
	s_add_i32 s0, s27, -1
	s_ashr_i32 s1, s0, 31
	s_lshr_b32 s1, s1, 28
	s_add_i32 s0, s0, s1
	s_ashr_i32 s1, s0, 4
	s_and_b32 s0, s0, -16
	s_sub_i32 s0, s27, s0
	s_cmp_ge_i32 s6, s1
	s_cselect_b32 s0, s0, 16
	s_lshl_b32 s16, s6, 4
	v_cmp_gt_i32_e64 s[0:1], s0, v1
	s_ashr_i32 s17, s16, 31
	s_and_b64 s[0:1], vcc, s[0:1]
	s_and_saveexec_b64 s[6:7], s[0:1]
	s_cbranch_execz .LBB182_5
; %bb.4:
	s_lshl_b64 s[14:15], s[22:23], 4
	s_add_u32 s22, s18, s14
	s_addc_u32 s23, s19, s15
	s_mul_i32 s14, s20, s17
	s_mul_hi_u32 s15, s20, s16
	s_add_i32 s18, s15, s14
	v_mad_u64_u32 v[5:6], s[14:15], s20, v1, 0
	s_mul_i32 s14, s21, s16
	s_add_i32 s15, s18, s14
	v_mad_u64_u32 v[6:7], s[18:19], s21, v1, v[6:7]
	s_mul_i32 s14, s20, s16
	s_lshl_b64 s[14:15], s[14:15], 4
	s_add_u32 s14, s22, s14
	v_lshlrev_b64 v[5:6], 4, v[5:6]
	s_addc_u32 s15, s23, s15
	v_mov_b32_e32 v7, s15
	v_add_co_u32_e32 v5, vcc, s14, v5
	v_addc_co_u32_e32 v6, vcc, v7, v6, vcc
	v_add_co_u32_e32 v5, vcc, v5, v2
	v_addc_co_u32_e32 v6, vcc, 0, v6, vcc
	flat_load_dwordx4 v[5:8], v[5:6]
	v_add_u32_e32 v9, 0x1000, v4
	s_waitcnt vmcnt(0) lgkmcnt(0)
	ds_write2_b64 v9, v[5:6], v[7:8] offset1:1
.LBB182_5:
	s_or_b64 exec, exec, s[6:7]
	s_cmpk_eq_i32 s25, 0x84
	s_cselect_b64 s[6:7], -1, 0
	v_cmp_eq_u32_e32 vcc, v1, v0
	s_and_b64 s[14:15], vcc, s[6:7]
	s_and_saveexec_b64 s[6:7], s[14:15]
; %bb.6:
	v_mov_b32_e32 v5, 0
	v_mov_b32_e32 v6, 0x3ff00000
	;; [unrolled: 1-line block ×4, first 2 shown]
	ds_write_b128 v4, v[5:8]
; %bb.7:
	s_or_b64 exec, exec, s[6:7]
	s_cmpk_lg_i32 s24, 0x7a
	s_waitcnt lgkmcnt(0)
	s_barrier
	s_cbranch_scc0 .LBB182_9
; %bb.8:
	v_cmp_lt_u32_e32 vcc, v0, v1
	s_and_b64 s[6:7], vcc, exec
	s_cbranch_execz .LBB182_10
	s_branch .LBB182_11
.LBB182_9:
	s_mov_b64 s[6:7], 0
.LBB182_10:
	v_cmp_gt_u32_e32 vcc, v0, v1
	s_andn2_b64 s[6:7], s[6:7], exec
	s_and_b64 s[14:15], vcc, exec
	s_or_b64 s[6:7], s[6:7], s[14:15]
.LBB182_11:
	s_and_saveexec_b64 s[14:15], s[6:7]
; %bb.12:
	v_mov_b32_e32 v5, 0
	v_mov_b32_e32 v6, v5
	;; [unrolled: 1-line block ×4, first 2 shown]
	ds_write_b128 v4, v[5:8]
; %bb.13:
	s_or_b64 exec, exec, s[14:15]
	s_waitcnt lgkmcnt(0)
	s_barrier
	s_and_saveexec_b64 s[6:7], s[0:1]
	s_cbranch_execz .LBB182_15
; %bb.14:
	v_lshlrev_b32_e32 v0, 4, v3
	ds_read_b128 v[3:6], v0 offset:4096
	ds_read_b128 v[7:10], v2
	ds_read_b128 v[11:14], v2 offset:256
	ds_read_b128 v[15:18], v0 offset:4112
	;; [unrolled: 1-line block ×3, first 2 shown]
	s_load_dwordx2 s[0:1], s[4:5], 0x60
	s_waitcnt lgkmcnt(0)
	v_mul_f64 v[23:24], v[3:4], v[9:10]
	v_mul_f64 v[9:10], v[5:6], v[9:10]
	;; [unrolled: 1-line block ×4, first 2 shown]
	s_lshl_b64 s[0:1], s[0:1], 4
	s_mul_i32 s6, s2, s17
	s_mul_hi_u32 s7, s2, s16
	s_mul_i32 s14, s3, s16
	v_fma_f64 v[5:6], v[5:6], v[7:8], v[23:24]
	ds_read_b128 v[23:26], v2 offset:512
	ds_read_b128 v[27:30], v2 offset:768
	;; [unrolled: 1-line block ×3, first 2 shown]
	v_fma_f64 v[39:40], v[3:4], v[7:8], -v[9:10]
	v_fma_f64 v[17:18], v[17:18], v[11:12], v[35:36]
	s_waitcnt lgkmcnt(2)
	v_mul_f64 v[37:38], v[19:20], v[25:26]
	v_mul_f64 v[25:26], v[21:22], v[25:26]
	s_waitcnt lgkmcnt(0)
	v_mul_f64 v[41:42], v[31:32], v[29:30]
	v_fma_f64 v[43:44], v[15:16], v[11:12], -v[13:14]
	v_add_f64 v[35:36], v[5:6], 0
	ds_read_b128 v[3:6], v2 offset:1024
	ds_read_b128 v[7:10], v0 offset:4160
	v_mul_f64 v[29:30], v[33:34], v[29:30]
	v_fma_f64 v[21:22], v[21:22], v[23:24], v[37:38]
	v_add_f64 v[37:38], v[39:40], 0
	s_waitcnt lgkmcnt(0)
	v_mul_f64 v[39:40], v[7:8], v[5:6]
	v_fma_f64 v[45:46], v[19:20], v[23:24], -v[25:26]
	v_add_f64 v[35:36], v[35:36], v[17:18]
	v_fma_f64 v[33:34], v[33:34], v[27:28], v[41:42]
	ds_read_b128 v[11:14], v2 offset:1280
	ds_read_b128 v[15:18], v0 offset:4176
	v_mul_f64 v[5:6], v[9:10], v[5:6]
	v_add_f64 v[37:38], v[37:38], v[43:44]
	v_fma_f64 v[43:44], v[31:32], v[27:28], -v[29:30]
	s_waitcnt lgkmcnt(0)
	v_mul_f64 v[41:42], v[15:16], v[13:14]
	v_add_f64 v[35:36], v[35:36], v[21:22]
	v_fma_f64 v[9:10], v[9:10], v[3:4], v[39:40]
	ds_read_b128 v[19:22], v2 offset:1536
	ds_read_b128 v[23:26], v0 offset:4192
	v_mul_f64 v[13:14], v[17:18], v[13:14]
	v_add_f64 v[37:38], v[37:38], v[45:46]
	v_fma_f64 v[45:46], v[7:8], v[3:4], -v[5:6]
	s_waitcnt lgkmcnt(0)
	v_mul_f64 v[39:40], v[23:24], v[21:22]
	v_add_f64 v[35:36], v[35:36], v[33:34]
	v_fma_f64 v[17:18], v[17:18], v[11:12], v[41:42]
	ds_read_b128 v[27:30], v2 offset:1792
	ds_read_b128 v[31:34], v0 offset:4208
	v_mul_f64 v[21:22], v[25:26], v[21:22]
	v_add_f64 v[37:38], v[37:38], v[43:44]
	v_fma_f64 v[43:44], v[15:16], v[11:12], -v[13:14]
	s_waitcnt lgkmcnt(0)
	v_mul_f64 v[41:42], v[31:32], v[29:30]
	v_add_f64 v[35:36], v[35:36], v[9:10]
	v_fma_f64 v[25:26], v[25:26], v[19:20], v[39:40]
	ds_read_b128 v[3:6], v2 offset:2048
	ds_read_b128 v[7:10], v0 offset:4224
	v_mul_f64 v[29:30], v[33:34], v[29:30]
	v_add_f64 v[37:38], v[37:38], v[45:46]
	v_fma_f64 v[45:46], v[23:24], v[19:20], -v[21:22]
	s_waitcnt lgkmcnt(0)
	v_mul_f64 v[39:40], v[7:8], v[5:6]
	v_add_f64 v[35:36], v[35:36], v[17:18]
	v_fma_f64 v[33:34], v[33:34], v[27:28], v[41:42]
	ds_read_b128 v[11:14], v2 offset:2304
	ds_read_b128 v[15:18], v0 offset:4240
	v_mul_f64 v[5:6], v[9:10], v[5:6]
	v_add_f64 v[37:38], v[37:38], v[43:44]
	v_fma_f64 v[43:44], v[31:32], v[27:28], -v[29:30]
	s_waitcnt lgkmcnt(0)
	v_mul_f64 v[41:42], v[15:16], v[13:14]
	v_add_f64 v[35:36], v[35:36], v[25:26]
	v_fma_f64 v[9:10], v[9:10], v[3:4], v[39:40]
	ds_read_b128 v[19:22], v2 offset:2560
	ds_read_b128 v[23:26], v0 offset:4256
	v_mul_f64 v[13:14], v[17:18], v[13:14]
	v_add_f64 v[37:38], v[37:38], v[45:46]
	v_fma_f64 v[45:46], v[7:8], v[3:4], -v[5:6]
	s_waitcnt lgkmcnt(0)
	v_mul_f64 v[39:40], v[23:24], v[21:22]
	v_add_f64 v[35:36], v[35:36], v[33:34]
	v_fma_f64 v[17:18], v[17:18], v[11:12], v[41:42]
	ds_read_b128 v[27:30], v2 offset:2816
	ds_read_b128 v[31:34], v0 offset:4272
	v_mul_f64 v[21:22], v[25:26], v[21:22]
	v_add_f64 v[37:38], v[37:38], v[43:44]
	v_fma_f64 v[43:44], v[15:16], v[11:12], -v[13:14]
	s_waitcnt lgkmcnt(0)
	v_mul_f64 v[41:42], v[31:32], v[29:30]
	v_add_f64 v[35:36], v[35:36], v[9:10]
	v_fma_f64 v[25:26], v[25:26], v[19:20], v[39:40]
	ds_read_b128 v[3:6], v2 offset:3072
	ds_read_b128 v[7:10], v0 offset:4288
	v_mul_f64 v[29:30], v[33:34], v[29:30]
	v_add_f64 v[37:38], v[37:38], v[45:46]
	v_fma_f64 v[45:46], v[23:24], v[19:20], -v[21:22]
	s_waitcnt lgkmcnt(0)
	v_mul_f64 v[39:40], v[7:8], v[5:6]
	v_add_f64 v[35:36], v[35:36], v[17:18]
	v_fma_f64 v[33:34], v[33:34], v[27:28], v[41:42]
	ds_read_b128 v[11:14], v2 offset:3328
	ds_read_b128 v[15:18], v0 offset:4304
	v_mul_f64 v[5:6], v[9:10], v[5:6]
	v_add_f64 v[37:38], v[37:38], v[43:44]
	v_fma_f64 v[43:44], v[31:32], v[27:28], -v[29:30]
	s_waitcnt lgkmcnt(0)
	v_mul_f64 v[41:42], v[15:16], v[13:14]
	v_add_f64 v[35:36], v[35:36], v[25:26]
	v_fma_f64 v[9:10], v[9:10], v[3:4], v[39:40]
	ds_read_b128 v[19:22], v2 offset:3584
	ds_read_b128 v[23:26], v0 offset:4320
	v_mul_f64 v[13:14], v[17:18], v[13:14]
	v_fma_f64 v[3:4], v[7:8], v[3:4], -v[5:6]
	v_add_f64 v[37:38], v[37:38], v[45:46]
	s_waitcnt lgkmcnt(0)
	v_mul_f64 v[39:40], v[23:24], v[21:22]
	v_add_f64 v[35:36], v[35:36], v[33:34]
	v_fma_f64 v[5:6], v[17:18], v[11:12], v[41:42]
	ds_read_b128 v[27:30], v2 offset:3840
	ds_read_b128 v[31:34], v0 offset:4336
	v_mul_f64 v[17:18], v[25:26], v[21:22]
	v_fma_f64 v[11:12], v[15:16], v[11:12], -v[13:14]
	v_add_f64 v[7:8], v[37:38], v[43:44]
	s_waitcnt lgkmcnt(0)
	v_mul_f64 v[21:22], v[31:32], v[29:30]
	v_add_f64 v[9:10], v[35:36], v[9:10]
	v_fma_f64 v[13:14], v[25:26], v[19:20], v[39:40]
	v_fma_f64 v[15:16], v[23:24], v[19:20], -v[17:18]
	v_add_f64 v[3:4], v[7:8], v[3:4]
	v_mad_u64_u32 v[7:8], s[4:5], s2, v1, 0
	v_add_f64 v[5:6], v[9:10], v[5:6]
	v_mul_f64 v[9:10], v[33:34], v[29:30]
	v_fma_f64 v[17:18], v[33:34], v[27:28], v[21:22]
	v_mov_b32_e32 v0, v8
	v_mad_u64_u32 v[0:1], s[4:5], s3, v1, v[0:1]
	v_add_f64 v[3:4], v[3:4], v[11:12]
	s_add_u32 s4, s12, s0
	v_add_f64 v[5:6], v[5:6], v[13:14]
	v_fma_f64 v[8:9], v[31:32], v[27:28], -v[9:10]
	s_addc_u32 s5, s13, s1
	s_add_i32 s0, s7, s6
	s_mul_i32 s2, s2, s16
	s_add_i32 s3, s0, s14
	v_add_f64 v[3:4], v[3:4], v[15:16]
	s_lshl_b64 s[0:1], s[2:3], 4
	v_add_f64 v[5:6], v[5:6], v[17:18]
	s_add_u32 s0, s4, s0
	s_addc_u32 s1, s5, s1
	v_add_f64 v[3:4], v[3:4], v[8:9]
	v_mov_b32_e32 v8, v0
	v_mul_f64 v[9:10], s[8:9], v[5:6]
	v_mul_f64 v[11:12], s[10:11], v[5:6]
	v_lshlrev_b64 v[0:1], 4, v[7:8]
	v_mov_b32_e32 v7, s1
	v_add_co_u32_e32 v0, vcc, s0, v0
	v_addc_co_u32_e32 v1, vcc, v7, v1, vcc
	v_fma_f64 v[5:6], s[10:11], v[3:4], v[9:10]
	v_fma_f64 v[3:4], s[8:9], v[3:4], -v[11:12]
	v_add_co_u32_e32 v0, vcc, v0, v2
	v_addc_co_u32_e32 v1, vcc, 0, v1, vcc
	flat_store_dwordx4 v[0:1], v[3:6]
.LBB182_15:
	s_endpgm
	.section	.rodata,"a",@progbits
	.p2align	6, 0x0
	.amdhsa_kernel _ZL23rocblas_trmm_lTx_kernelILi16ELb0E19rocblas_complex_numIdEPKS1_KS3_KPS1_Ev13rocblas_fill_17rocblas_diagonal_iiT2_lPT3_llSB_llPT4_lli
		.amdhsa_group_segment_fixed_size 8192
		.amdhsa_private_segment_fixed_size 0
		.amdhsa_kernarg_size 108
		.amdhsa_user_sgpr_count 6
		.amdhsa_user_sgpr_private_segment_buffer 1
		.amdhsa_user_sgpr_dispatch_ptr 0
		.amdhsa_user_sgpr_queue_ptr 0
		.amdhsa_user_sgpr_kernarg_segment_ptr 1
		.amdhsa_user_sgpr_dispatch_id 0
		.amdhsa_user_sgpr_flat_scratch_init 0
		.amdhsa_user_sgpr_private_segment_size 0
		.amdhsa_uses_dynamic_stack 0
		.amdhsa_system_sgpr_private_segment_wavefront_offset 0
		.amdhsa_system_sgpr_workgroup_id_x 1
		.amdhsa_system_sgpr_workgroup_id_y 0
		.amdhsa_system_sgpr_workgroup_id_z 1
		.amdhsa_system_sgpr_workgroup_info 0
		.amdhsa_system_vgpr_workitem_id 1
		.amdhsa_next_free_vgpr 47
		.amdhsa_next_free_sgpr 61
		.amdhsa_reserve_vcc 1
		.amdhsa_reserve_flat_scratch 0
		.amdhsa_float_round_mode_32 0
		.amdhsa_float_round_mode_16_64 0
		.amdhsa_float_denorm_mode_32 3
		.amdhsa_float_denorm_mode_16_64 3
		.amdhsa_dx10_clamp 1
		.amdhsa_ieee_mode 1
		.amdhsa_fp16_overflow 0
		.amdhsa_exception_fp_ieee_invalid_op 0
		.amdhsa_exception_fp_denorm_src 0
		.amdhsa_exception_fp_ieee_div_zero 0
		.amdhsa_exception_fp_ieee_overflow 0
		.amdhsa_exception_fp_ieee_underflow 0
		.amdhsa_exception_fp_ieee_inexact 0
		.amdhsa_exception_int_div_zero 0
	.end_amdhsa_kernel
	.section	.text._ZL23rocblas_trmm_lTx_kernelILi16ELb0E19rocblas_complex_numIdEPKS1_KS3_KPS1_Ev13rocblas_fill_17rocblas_diagonal_iiT2_lPT3_llSB_llPT4_lli,"axG",@progbits,_ZL23rocblas_trmm_lTx_kernelILi16ELb0E19rocblas_complex_numIdEPKS1_KS3_KPS1_Ev13rocblas_fill_17rocblas_diagonal_iiT2_lPT3_llSB_llPT4_lli,comdat
.Lfunc_end182:
	.size	_ZL23rocblas_trmm_lTx_kernelILi16ELb0E19rocblas_complex_numIdEPKS1_KS3_KPS1_Ev13rocblas_fill_17rocblas_diagonal_iiT2_lPT3_llSB_llPT4_lli, .Lfunc_end182-_ZL23rocblas_trmm_lTx_kernelILi16ELb0E19rocblas_complex_numIdEPKS1_KS3_KPS1_Ev13rocblas_fill_17rocblas_diagonal_iiT2_lPT3_llSB_llPT4_lli
                                        ; -- End function
	.set _ZL23rocblas_trmm_lTx_kernelILi16ELb0E19rocblas_complex_numIdEPKS1_KS3_KPS1_Ev13rocblas_fill_17rocblas_diagonal_iiT2_lPT3_llSB_llPT4_lli.num_vgpr, 47
	.set _ZL23rocblas_trmm_lTx_kernelILi16ELb0E19rocblas_complex_numIdEPKS1_KS3_KPS1_Ev13rocblas_fill_17rocblas_diagonal_iiT2_lPT3_llSB_llPT4_lli.num_agpr, 0
	.set _ZL23rocblas_trmm_lTx_kernelILi16ELb0E19rocblas_complex_numIdEPKS1_KS3_KPS1_Ev13rocblas_fill_17rocblas_diagonal_iiT2_lPT3_llSB_llPT4_lli.numbered_sgpr, 36
	.set _ZL23rocblas_trmm_lTx_kernelILi16ELb0E19rocblas_complex_numIdEPKS1_KS3_KPS1_Ev13rocblas_fill_17rocblas_diagonal_iiT2_lPT3_llSB_llPT4_lli.num_named_barrier, 0
	.set _ZL23rocblas_trmm_lTx_kernelILi16ELb0E19rocblas_complex_numIdEPKS1_KS3_KPS1_Ev13rocblas_fill_17rocblas_diagonal_iiT2_lPT3_llSB_llPT4_lli.private_seg_size, 0
	.set _ZL23rocblas_trmm_lTx_kernelILi16ELb0E19rocblas_complex_numIdEPKS1_KS3_KPS1_Ev13rocblas_fill_17rocblas_diagonal_iiT2_lPT3_llSB_llPT4_lli.uses_vcc, 1
	.set _ZL23rocblas_trmm_lTx_kernelILi16ELb0E19rocblas_complex_numIdEPKS1_KS3_KPS1_Ev13rocblas_fill_17rocblas_diagonal_iiT2_lPT3_llSB_llPT4_lli.uses_flat_scratch, 0
	.set _ZL23rocblas_trmm_lTx_kernelILi16ELb0E19rocblas_complex_numIdEPKS1_KS3_KPS1_Ev13rocblas_fill_17rocblas_diagonal_iiT2_lPT3_llSB_llPT4_lli.has_dyn_sized_stack, 0
	.set _ZL23rocblas_trmm_lTx_kernelILi16ELb0E19rocblas_complex_numIdEPKS1_KS3_KPS1_Ev13rocblas_fill_17rocblas_diagonal_iiT2_lPT3_llSB_llPT4_lli.has_recursion, 0
	.set _ZL23rocblas_trmm_lTx_kernelILi16ELb0E19rocblas_complex_numIdEPKS1_KS3_KPS1_Ev13rocblas_fill_17rocblas_diagonal_iiT2_lPT3_llSB_llPT4_lli.has_indirect_call, 0
	.section	.AMDGPU.csdata,"",@progbits
; Kernel info:
; codeLenInByte = 1936
; TotalNumSgprs: 40
; NumVgprs: 47
; ScratchSize: 0
; MemoryBound: 0
; FloatMode: 240
; IeeeMode: 1
; LDSByteSize: 8192 bytes/workgroup (compile time only)
; SGPRBlocks: 8
; VGPRBlocks: 11
; NumSGPRsForWavesPerEU: 65
; NumVGPRsForWavesPerEU: 47
; Occupancy: 5
; WaveLimiterHint : 1
; COMPUTE_PGM_RSRC2:SCRATCH_EN: 0
; COMPUTE_PGM_RSRC2:USER_SGPR: 6
; COMPUTE_PGM_RSRC2:TRAP_HANDLER: 0
; COMPUTE_PGM_RSRC2:TGID_X_EN: 1
; COMPUTE_PGM_RSRC2:TGID_Y_EN: 0
; COMPUTE_PGM_RSRC2:TGID_Z_EN: 1
; COMPUTE_PGM_RSRC2:TIDIG_COMP_CNT: 1
	.section	.text._ZL23rocblas_trmm_lTx_kernelILi16ELb0E19rocblas_complex_numIdES1_KPKS1_KPS1_Ev13rocblas_fill_17rocblas_diagonal_iiT2_lPT3_llSB_llPT4_lli,"axG",@progbits,_ZL23rocblas_trmm_lTx_kernelILi16ELb0E19rocblas_complex_numIdES1_KPKS1_KPS1_Ev13rocblas_fill_17rocblas_diagonal_iiT2_lPT3_llSB_llPT4_lli,comdat
	.globl	_ZL23rocblas_trmm_lTx_kernelILi16ELb0E19rocblas_complex_numIdES1_KPKS1_KPS1_Ev13rocblas_fill_17rocblas_diagonal_iiT2_lPT3_llSB_llPT4_lli ; -- Begin function _ZL23rocblas_trmm_lTx_kernelILi16ELb0E19rocblas_complex_numIdES1_KPKS1_KPS1_Ev13rocblas_fill_17rocblas_diagonal_iiT2_lPT3_llSB_llPT4_lli
	.p2align	8
	.type	_ZL23rocblas_trmm_lTx_kernelILi16ELb0E19rocblas_complex_numIdES1_KPKS1_KPS1_Ev13rocblas_fill_17rocblas_diagonal_iiT2_lPT3_llSB_llPT4_lli,@function
_ZL23rocblas_trmm_lTx_kernelILi16ELb0E19rocblas_complex_numIdES1_KPKS1_KPS1_Ev13rocblas_fill_17rocblas_diagonal_iiT2_lPT3_llSB_llPT4_lli: ; @_ZL23rocblas_trmm_lTx_kernelILi16ELb0E19rocblas_complex_numIdES1_KPKS1_KPS1_Ev13rocblas_fill_17rocblas_diagonal_iiT2_lPT3_llSB_llPT4_lli
; %bb.0:
	s_load_dwordx4 s[24:27], s[4:5], 0x10
	s_waitcnt lgkmcnt(0)
	v_cmp_neq_f64_e64 s[2:3], s[24:25], 0
	v_cmp_neq_f64_e64 s[8:9], s[26:27], 0
	s_or_b64 s[2:3], s[2:3], s[8:9]
	s_andn2_b64 vcc, exec, s[2:3]
	s_cbranch_vccnz .LBB183_15
; %bb.1:
	s_load_dwordx16 s[8:23], s[4:5], 0x28
	s_load_dwordx4 s[28:31], s[4:5], 0x0
	s_mov_b32 s0, s7
	s_mov_b32 s1, 0
	s_lshl_b64 s[2:3], s[0:1], 3
	s_waitcnt lgkmcnt(0)
	s_add_u32 s8, s8, s2
	s_addc_u32 s9, s9, s3
	s_load_dwordx2 s[34:35], s[8:9], 0x0
	s_add_u32 s8, s14, s2
	s_addc_u32 s9, s15, s3
	s_add_u32 s2, s20, s2
	s_addc_u32 s3, s21, s3
	s_load_dwordx2 s[14:15], s[8:9], 0x0
	s_mov_b32 s0, s1
	s_load_dwordx2 s[8:9], s[2:3], 0x0
	s_mov_b32 s3, s1
	s_mov_b32 s2, s1
	v_mov_b32_e32 v8, s3
	v_lshlrev_b32_e32 v3, 4, v1
	v_mov_b32_e32 v7, s2
	v_mov_b32_e32 v6, s1
	v_mov_b32_e32 v5, s0
	v_cmp_gt_i32_e64 s[0:1], s30, v1
	v_cmp_gt_i32_e32 vcc, s30, v0
	v_add_lshl_u32 v4, v3, v0, 4
	s_and_b64 s[0:1], s[0:1], vcc
	v_lshlrev_b32_e32 v2, 4, v0
	ds_write_b128 v4, v[5:8]
	ds_write_b128 v4, v[5:8] offset:4096
	s_waitcnt lgkmcnt(0)
	s_barrier
	s_and_saveexec_b64 s[2:3], s[0:1]
	s_cbranch_execz .LBB183_3
; %bb.2:
	v_mad_u64_u32 v[5:6], s[0:1], s10, v1, 0
	s_lshl_b64 s[0:1], s[12:13], 4
	s_add_u32 s0, s34, s0
	v_mad_u64_u32 v[6:7], s[10:11], s11, v1, v[6:7]
	s_addc_u32 s1, s35, s1
	v_mov_b32_e32 v7, s1
	v_lshlrev_b64 v[5:6], 4, v[5:6]
	v_lshl_add_u32 v9, v0, 8, v3
	v_add_co_u32_e64 v5, s[0:1], s0, v5
	v_addc_co_u32_e64 v6, s[0:1], v7, v6, s[0:1]
	v_add_co_u32_e64 v5, s[0:1], v5, v2
	v_addc_co_u32_e64 v6, s[0:1], 0, v6, s[0:1]
	flat_load_dwordx4 v[5:8], v[5:6]
	s_waitcnt vmcnt(0) lgkmcnt(0)
	ds_write2_b64 v9, v[5:6], v[7:8] offset1:1
.LBB183_3:
	s_or_b64 exec, exec, s[2:3]
	s_add_i32 s0, s31, -1
	s_ashr_i32 s1, s0, 31
	s_lshr_b32 s1, s1, 28
	s_add_i32 s0, s0, s1
	s_ashr_i32 s1, s0, 4
	s_and_b32 s0, s0, -16
	s_sub_i32 s0, s31, s0
	s_cmp_ge_i32 s6, s1
	s_cselect_b32 s0, s0, 16
	s_lshl_b32 s10, s6, 4
	v_cmp_gt_i32_e64 s[0:1], s0, v1
	s_ashr_i32 s11, s10, 31
	s_and_b64 s[0:1], vcc, s[0:1]
	s_and_saveexec_b64 s[2:3], s[0:1]
	s_cbranch_execz .LBB183_5
; %bb.4:
	s_lshl_b64 s[6:7], s[18:19], 4
	s_add_u32 s14, s14, s6
	s_addc_u32 s15, s15, s7
	s_mul_i32 s6, s16, s11
	s_mul_hi_u32 s7, s16, s10
	s_add_i32 s12, s7, s6
	v_mad_u64_u32 v[5:6], s[6:7], s16, v1, 0
	s_mul_i32 s6, s17, s10
	s_add_i32 s7, s12, s6
	v_mad_u64_u32 v[6:7], s[12:13], s17, v1, v[6:7]
	s_mul_i32 s6, s16, s10
	s_lshl_b64 s[6:7], s[6:7], 4
	s_add_u32 s6, s14, s6
	v_lshlrev_b64 v[5:6], 4, v[5:6]
	s_addc_u32 s7, s15, s7
	v_mov_b32_e32 v7, s7
	v_add_co_u32_e32 v5, vcc, s6, v5
	v_addc_co_u32_e32 v6, vcc, v7, v6, vcc
	v_add_co_u32_e32 v5, vcc, v5, v2
	v_addc_co_u32_e32 v6, vcc, 0, v6, vcc
	flat_load_dwordx4 v[5:8], v[5:6]
	v_add_u32_e32 v9, 0x1000, v4
	s_waitcnt vmcnt(0) lgkmcnt(0)
	ds_write2_b64 v9, v[5:6], v[7:8] offset1:1
.LBB183_5:
	s_or_b64 exec, exec, s[2:3]
	s_cmpk_eq_i32 s29, 0x84
	s_cselect_b64 s[2:3], -1, 0
	v_cmp_eq_u32_e32 vcc, v1, v0
	s_and_b64 s[6:7], vcc, s[2:3]
	s_and_saveexec_b64 s[2:3], s[6:7]
; %bb.6:
	v_mov_b32_e32 v5, 0
	v_mov_b32_e32 v6, 0x3ff00000
	;; [unrolled: 1-line block ×4, first 2 shown]
	ds_write_b128 v4, v[5:8]
; %bb.7:
	s_or_b64 exec, exec, s[2:3]
	s_cmpk_lg_i32 s28, 0x7a
	s_waitcnt lgkmcnt(0)
	s_barrier
	s_cbranch_scc0 .LBB183_9
; %bb.8:
	v_cmp_lt_u32_e32 vcc, v0, v1
	s_and_b64 s[2:3], vcc, exec
	s_cbranch_execz .LBB183_10
	s_branch .LBB183_11
.LBB183_9:
	s_mov_b64 s[2:3], 0
.LBB183_10:
	v_cmp_gt_u32_e32 vcc, v0, v1
	s_andn2_b64 s[2:3], s[2:3], exec
	s_and_b64 s[6:7], vcc, exec
	s_or_b64 s[2:3], s[2:3], s[6:7]
.LBB183_11:
	s_and_saveexec_b64 s[6:7], s[2:3]
; %bb.12:
	v_mov_b32_e32 v5, 0
	v_mov_b32_e32 v6, v5
	;; [unrolled: 1-line block ×4, first 2 shown]
	ds_write_b128 v4, v[5:8]
; %bb.13:
	s_or_b64 exec, exec, s[6:7]
	s_waitcnt lgkmcnt(0)
	s_barrier
	s_and_saveexec_b64 s[2:3], s[0:1]
	s_cbranch_execz .LBB183_15
; %bb.14:
	v_lshlrev_b32_e32 v0, 4, v3
	ds_read_b128 v[3:6], v0 offset:4096
	ds_read_b128 v[7:10], v2
	ds_read_b128 v[11:14], v2 offset:256
	ds_read_b128 v[15:18], v0 offset:4112
	;; [unrolled: 1-line block ×3, first 2 shown]
	s_load_dwordx2 s[0:1], s[4:5], 0x68
	s_waitcnt lgkmcnt(0)
	v_mul_f64 v[23:24], v[3:4], v[9:10]
	v_mul_f64 v[9:10], v[5:6], v[9:10]
	;; [unrolled: 1-line block ×4, first 2 shown]
	s_lshl_b64 s[0:1], s[0:1], 4
	s_mul_i32 s6, s22, s11
	s_mul_i32 s7, s23, s10
	v_fma_f64 v[5:6], v[5:6], v[7:8], v[23:24]
	ds_read_b128 v[23:26], v2 offset:512
	ds_read_b128 v[27:30], v2 offset:768
	;; [unrolled: 1-line block ×3, first 2 shown]
	v_fma_f64 v[39:40], v[3:4], v[7:8], -v[9:10]
	v_fma_f64 v[17:18], v[17:18], v[11:12], v[35:36]
	s_waitcnt lgkmcnt(2)
	v_mul_f64 v[37:38], v[19:20], v[25:26]
	v_mul_f64 v[25:26], v[21:22], v[25:26]
	s_waitcnt lgkmcnt(0)
	v_mul_f64 v[41:42], v[31:32], v[29:30]
	v_fma_f64 v[43:44], v[15:16], v[11:12], -v[13:14]
	v_add_f64 v[35:36], v[5:6], 0
	ds_read_b128 v[3:6], v2 offset:1024
	ds_read_b128 v[7:10], v0 offset:4160
	v_mul_f64 v[29:30], v[33:34], v[29:30]
	v_fma_f64 v[21:22], v[21:22], v[23:24], v[37:38]
	v_add_f64 v[37:38], v[39:40], 0
	s_waitcnt lgkmcnt(0)
	v_mul_f64 v[39:40], v[7:8], v[5:6]
	v_fma_f64 v[45:46], v[19:20], v[23:24], -v[25:26]
	v_add_f64 v[35:36], v[35:36], v[17:18]
	v_fma_f64 v[33:34], v[33:34], v[27:28], v[41:42]
	ds_read_b128 v[11:14], v2 offset:1280
	ds_read_b128 v[15:18], v0 offset:4176
	v_mul_f64 v[5:6], v[9:10], v[5:6]
	v_add_f64 v[37:38], v[37:38], v[43:44]
	v_fma_f64 v[43:44], v[31:32], v[27:28], -v[29:30]
	s_waitcnt lgkmcnt(0)
	v_mul_f64 v[41:42], v[15:16], v[13:14]
	v_add_f64 v[35:36], v[35:36], v[21:22]
	v_fma_f64 v[9:10], v[9:10], v[3:4], v[39:40]
	ds_read_b128 v[19:22], v2 offset:1536
	ds_read_b128 v[23:26], v0 offset:4192
	v_mul_f64 v[13:14], v[17:18], v[13:14]
	v_add_f64 v[37:38], v[37:38], v[45:46]
	v_fma_f64 v[45:46], v[7:8], v[3:4], -v[5:6]
	s_waitcnt lgkmcnt(0)
	v_mul_f64 v[39:40], v[23:24], v[21:22]
	v_add_f64 v[35:36], v[35:36], v[33:34]
	v_fma_f64 v[17:18], v[17:18], v[11:12], v[41:42]
	ds_read_b128 v[27:30], v2 offset:1792
	ds_read_b128 v[31:34], v0 offset:4208
	v_mul_f64 v[21:22], v[25:26], v[21:22]
	v_add_f64 v[37:38], v[37:38], v[43:44]
	v_fma_f64 v[43:44], v[15:16], v[11:12], -v[13:14]
	s_waitcnt lgkmcnt(0)
	v_mul_f64 v[41:42], v[31:32], v[29:30]
	v_add_f64 v[35:36], v[35:36], v[9:10]
	v_fma_f64 v[25:26], v[25:26], v[19:20], v[39:40]
	ds_read_b128 v[3:6], v2 offset:2048
	ds_read_b128 v[7:10], v0 offset:4224
	v_mul_f64 v[29:30], v[33:34], v[29:30]
	v_add_f64 v[37:38], v[37:38], v[45:46]
	v_fma_f64 v[45:46], v[23:24], v[19:20], -v[21:22]
	s_waitcnt lgkmcnt(0)
	v_mul_f64 v[39:40], v[7:8], v[5:6]
	v_add_f64 v[35:36], v[35:36], v[17:18]
	v_fma_f64 v[33:34], v[33:34], v[27:28], v[41:42]
	ds_read_b128 v[11:14], v2 offset:2304
	ds_read_b128 v[15:18], v0 offset:4240
	v_mul_f64 v[5:6], v[9:10], v[5:6]
	v_add_f64 v[37:38], v[37:38], v[43:44]
	v_fma_f64 v[43:44], v[31:32], v[27:28], -v[29:30]
	s_waitcnt lgkmcnt(0)
	v_mul_f64 v[41:42], v[15:16], v[13:14]
	v_add_f64 v[35:36], v[35:36], v[25:26]
	v_fma_f64 v[9:10], v[9:10], v[3:4], v[39:40]
	ds_read_b128 v[19:22], v2 offset:2560
	ds_read_b128 v[23:26], v0 offset:4256
	v_mul_f64 v[13:14], v[17:18], v[13:14]
	v_add_f64 v[37:38], v[37:38], v[45:46]
	v_fma_f64 v[45:46], v[7:8], v[3:4], -v[5:6]
	s_waitcnt lgkmcnt(0)
	v_mul_f64 v[39:40], v[23:24], v[21:22]
	v_add_f64 v[35:36], v[35:36], v[33:34]
	v_fma_f64 v[17:18], v[17:18], v[11:12], v[41:42]
	ds_read_b128 v[27:30], v2 offset:2816
	ds_read_b128 v[31:34], v0 offset:4272
	v_mul_f64 v[21:22], v[25:26], v[21:22]
	v_add_f64 v[37:38], v[37:38], v[43:44]
	v_fma_f64 v[43:44], v[15:16], v[11:12], -v[13:14]
	s_waitcnt lgkmcnt(0)
	v_mul_f64 v[41:42], v[31:32], v[29:30]
	v_add_f64 v[35:36], v[35:36], v[9:10]
	v_fma_f64 v[25:26], v[25:26], v[19:20], v[39:40]
	ds_read_b128 v[3:6], v2 offset:3072
	ds_read_b128 v[7:10], v0 offset:4288
	v_mul_f64 v[29:30], v[33:34], v[29:30]
	v_add_f64 v[37:38], v[37:38], v[45:46]
	v_fma_f64 v[45:46], v[23:24], v[19:20], -v[21:22]
	s_waitcnt lgkmcnt(0)
	v_mul_f64 v[39:40], v[7:8], v[5:6]
	v_add_f64 v[35:36], v[35:36], v[17:18]
	v_fma_f64 v[33:34], v[33:34], v[27:28], v[41:42]
	ds_read_b128 v[11:14], v2 offset:3328
	ds_read_b128 v[15:18], v0 offset:4304
	v_mul_f64 v[5:6], v[9:10], v[5:6]
	v_add_f64 v[37:38], v[37:38], v[43:44]
	v_fma_f64 v[43:44], v[31:32], v[27:28], -v[29:30]
	s_waitcnt lgkmcnt(0)
	v_mul_f64 v[41:42], v[15:16], v[13:14]
	v_add_f64 v[35:36], v[35:36], v[25:26]
	v_fma_f64 v[9:10], v[9:10], v[3:4], v[39:40]
	ds_read_b128 v[19:22], v2 offset:3584
	ds_read_b128 v[23:26], v0 offset:4320
	v_mul_f64 v[13:14], v[17:18], v[13:14]
	v_fma_f64 v[3:4], v[7:8], v[3:4], -v[5:6]
	v_add_f64 v[37:38], v[37:38], v[45:46]
	s_waitcnt lgkmcnt(0)
	v_mul_f64 v[39:40], v[23:24], v[21:22]
	v_add_f64 v[35:36], v[35:36], v[33:34]
	v_fma_f64 v[5:6], v[17:18], v[11:12], v[41:42]
	ds_read_b128 v[27:30], v2 offset:3840
	ds_read_b128 v[31:34], v0 offset:4336
	v_mul_f64 v[17:18], v[25:26], v[21:22]
	v_fma_f64 v[11:12], v[15:16], v[11:12], -v[13:14]
	v_add_f64 v[7:8], v[37:38], v[43:44]
	s_waitcnt lgkmcnt(0)
	v_mul_f64 v[21:22], v[31:32], v[29:30]
	v_add_f64 v[9:10], v[35:36], v[9:10]
	v_fma_f64 v[13:14], v[25:26], v[19:20], v[39:40]
	v_fma_f64 v[15:16], v[23:24], v[19:20], -v[17:18]
	v_add_f64 v[3:4], v[7:8], v[3:4]
	v_mad_u64_u32 v[7:8], s[2:3], s22, v1, 0
	v_add_f64 v[5:6], v[9:10], v[5:6]
	v_mul_f64 v[9:10], v[33:34], v[29:30]
	v_fma_f64 v[17:18], v[33:34], v[27:28], v[21:22]
	v_mov_b32_e32 v0, v8
	v_mad_u64_u32 v[0:1], s[4:5], s23, v1, v[0:1]
	v_add_f64 v[3:4], v[3:4], v[11:12]
	s_mul_hi_u32 s3, s22, s10
	v_add_f64 v[5:6], v[5:6], v[13:14]
	v_fma_f64 v[8:9], v[31:32], v[27:28], -v[9:10]
	s_add_u32 s4, s8, s0
	s_addc_u32 s5, s9, s1
	s_add_i32 s0, s3, s6
	s_mul_i32 s2, s22, s10
	v_add_f64 v[3:4], v[3:4], v[15:16]
	s_add_i32 s3, s0, s7
	v_add_f64 v[5:6], v[5:6], v[17:18]
	s_lshl_b64 s[0:1], s[2:3], 4
	s_add_u32 s0, s4, s0
	s_addc_u32 s1, s5, s1
	v_add_f64 v[3:4], v[3:4], v[8:9]
	v_mov_b32_e32 v8, v0
	v_mul_f64 v[9:10], s[24:25], v[5:6]
	v_mul_f64 v[11:12], s[26:27], v[5:6]
	v_lshlrev_b64 v[0:1], 4, v[7:8]
	v_mov_b32_e32 v7, s1
	v_add_co_u32_e32 v0, vcc, s0, v0
	v_addc_co_u32_e32 v1, vcc, v7, v1, vcc
	v_fma_f64 v[5:6], s[26:27], v[3:4], v[9:10]
	v_fma_f64 v[3:4], s[24:25], v[3:4], -v[11:12]
	v_add_co_u32_e32 v0, vcc, v0, v2
	v_addc_co_u32_e32 v1, vcc, 0, v1, vcc
	flat_store_dwordx4 v[0:1], v[3:6]
.LBB183_15:
	s_endpgm
	.section	.rodata,"a",@progbits
	.p2align	6, 0x0
	.amdhsa_kernel _ZL23rocblas_trmm_lTx_kernelILi16ELb0E19rocblas_complex_numIdES1_KPKS1_KPS1_Ev13rocblas_fill_17rocblas_diagonal_iiT2_lPT3_llSB_llPT4_lli
		.amdhsa_group_segment_fixed_size 8192
		.amdhsa_private_segment_fixed_size 0
		.amdhsa_kernarg_size 116
		.amdhsa_user_sgpr_count 6
		.amdhsa_user_sgpr_private_segment_buffer 1
		.amdhsa_user_sgpr_dispatch_ptr 0
		.amdhsa_user_sgpr_queue_ptr 0
		.amdhsa_user_sgpr_kernarg_segment_ptr 1
		.amdhsa_user_sgpr_dispatch_id 0
		.amdhsa_user_sgpr_flat_scratch_init 0
		.amdhsa_user_sgpr_private_segment_size 0
		.amdhsa_uses_dynamic_stack 0
		.amdhsa_system_sgpr_private_segment_wavefront_offset 0
		.amdhsa_system_sgpr_workgroup_id_x 1
		.amdhsa_system_sgpr_workgroup_id_y 0
		.amdhsa_system_sgpr_workgroup_id_z 1
		.amdhsa_system_sgpr_workgroup_info 0
		.amdhsa_system_vgpr_workitem_id 1
		.amdhsa_next_free_vgpr 47
		.amdhsa_next_free_sgpr 61
		.amdhsa_reserve_vcc 1
		.amdhsa_reserve_flat_scratch 0
		.amdhsa_float_round_mode_32 0
		.amdhsa_float_round_mode_16_64 0
		.amdhsa_float_denorm_mode_32 3
		.amdhsa_float_denorm_mode_16_64 3
		.amdhsa_dx10_clamp 1
		.amdhsa_ieee_mode 1
		.amdhsa_fp16_overflow 0
		.amdhsa_exception_fp_ieee_invalid_op 0
		.amdhsa_exception_fp_denorm_src 0
		.amdhsa_exception_fp_ieee_div_zero 0
		.amdhsa_exception_fp_ieee_overflow 0
		.amdhsa_exception_fp_ieee_underflow 0
		.amdhsa_exception_fp_ieee_inexact 0
		.amdhsa_exception_int_div_zero 0
	.end_amdhsa_kernel
	.section	.text._ZL23rocblas_trmm_lTx_kernelILi16ELb0E19rocblas_complex_numIdES1_KPKS1_KPS1_Ev13rocblas_fill_17rocblas_diagonal_iiT2_lPT3_llSB_llPT4_lli,"axG",@progbits,_ZL23rocblas_trmm_lTx_kernelILi16ELb0E19rocblas_complex_numIdES1_KPKS1_KPS1_Ev13rocblas_fill_17rocblas_diagonal_iiT2_lPT3_llSB_llPT4_lli,comdat
.Lfunc_end183:
	.size	_ZL23rocblas_trmm_lTx_kernelILi16ELb0E19rocblas_complex_numIdES1_KPKS1_KPS1_Ev13rocblas_fill_17rocblas_diagonal_iiT2_lPT3_llSB_llPT4_lli, .Lfunc_end183-_ZL23rocblas_trmm_lTx_kernelILi16ELb0E19rocblas_complex_numIdES1_KPKS1_KPS1_Ev13rocblas_fill_17rocblas_diagonal_iiT2_lPT3_llSB_llPT4_lli
                                        ; -- End function
	.set _ZL23rocblas_trmm_lTx_kernelILi16ELb0E19rocblas_complex_numIdES1_KPKS1_KPS1_Ev13rocblas_fill_17rocblas_diagonal_iiT2_lPT3_llSB_llPT4_lli.num_vgpr, 47
	.set _ZL23rocblas_trmm_lTx_kernelILi16ELb0E19rocblas_complex_numIdES1_KPKS1_KPS1_Ev13rocblas_fill_17rocblas_diagonal_iiT2_lPT3_llSB_llPT4_lli.num_agpr, 0
	.set _ZL23rocblas_trmm_lTx_kernelILi16ELb0E19rocblas_complex_numIdES1_KPKS1_KPS1_Ev13rocblas_fill_17rocblas_diagonal_iiT2_lPT3_llSB_llPT4_lli.numbered_sgpr, 36
	.set _ZL23rocblas_trmm_lTx_kernelILi16ELb0E19rocblas_complex_numIdES1_KPKS1_KPS1_Ev13rocblas_fill_17rocblas_diagonal_iiT2_lPT3_llSB_llPT4_lli.num_named_barrier, 0
	.set _ZL23rocblas_trmm_lTx_kernelILi16ELb0E19rocblas_complex_numIdES1_KPKS1_KPS1_Ev13rocblas_fill_17rocblas_diagonal_iiT2_lPT3_llSB_llPT4_lli.private_seg_size, 0
	.set _ZL23rocblas_trmm_lTx_kernelILi16ELb0E19rocblas_complex_numIdES1_KPKS1_KPS1_Ev13rocblas_fill_17rocblas_diagonal_iiT2_lPT3_llSB_llPT4_lli.uses_vcc, 1
	.set _ZL23rocblas_trmm_lTx_kernelILi16ELb0E19rocblas_complex_numIdES1_KPKS1_KPS1_Ev13rocblas_fill_17rocblas_diagonal_iiT2_lPT3_llSB_llPT4_lli.uses_flat_scratch, 0
	.set _ZL23rocblas_trmm_lTx_kernelILi16ELb0E19rocblas_complex_numIdES1_KPKS1_KPS1_Ev13rocblas_fill_17rocblas_diagonal_iiT2_lPT3_llSB_llPT4_lli.has_dyn_sized_stack, 0
	.set _ZL23rocblas_trmm_lTx_kernelILi16ELb0E19rocblas_complex_numIdES1_KPKS1_KPS1_Ev13rocblas_fill_17rocblas_diagonal_iiT2_lPT3_llSB_llPT4_lli.has_recursion, 0
	.set _ZL23rocblas_trmm_lTx_kernelILi16ELb0E19rocblas_complex_numIdES1_KPKS1_KPS1_Ev13rocblas_fill_17rocblas_diagonal_iiT2_lPT3_llSB_llPT4_lli.has_indirect_call, 0
	.section	.AMDGPU.csdata,"",@progbits
; Kernel info:
; codeLenInByte = 1896
; TotalNumSgprs: 40
; NumVgprs: 47
; ScratchSize: 0
; MemoryBound: 0
; FloatMode: 240
; IeeeMode: 1
; LDSByteSize: 8192 bytes/workgroup (compile time only)
; SGPRBlocks: 8
; VGPRBlocks: 11
; NumSGPRsForWavesPerEU: 65
; NumVGPRsForWavesPerEU: 47
; Occupancy: 5
; WaveLimiterHint : 1
; COMPUTE_PGM_RSRC2:SCRATCH_EN: 0
; COMPUTE_PGM_RSRC2:USER_SGPR: 6
; COMPUTE_PGM_RSRC2:TRAP_HANDLER: 0
; COMPUTE_PGM_RSRC2:TGID_X_EN: 1
; COMPUTE_PGM_RSRC2:TGID_Y_EN: 0
; COMPUTE_PGM_RSRC2:TGID_Z_EN: 1
; COMPUTE_PGM_RSRC2:TIDIG_COMP_CNT: 1
	.section	.text._ZL23rocblas_trmm_lTx_kernelILi16ELb1E19rocblas_complex_numIdEPKS1_KS3_KPS1_Ev13rocblas_fill_17rocblas_diagonal_iiT2_lPT3_llSB_llPT4_lli,"axG",@progbits,_ZL23rocblas_trmm_lTx_kernelILi16ELb1E19rocblas_complex_numIdEPKS1_KS3_KPS1_Ev13rocblas_fill_17rocblas_diagonal_iiT2_lPT3_llSB_llPT4_lli,comdat
	.globl	_ZL23rocblas_trmm_lTx_kernelILi16ELb1E19rocblas_complex_numIdEPKS1_KS3_KPS1_Ev13rocblas_fill_17rocblas_diagonal_iiT2_lPT3_llSB_llPT4_lli ; -- Begin function _ZL23rocblas_trmm_lTx_kernelILi16ELb1E19rocblas_complex_numIdEPKS1_KS3_KPS1_Ev13rocblas_fill_17rocblas_diagonal_iiT2_lPT3_llSB_llPT4_lli
	.p2align	8
	.type	_ZL23rocblas_trmm_lTx_kernelILi16ELb1E19rocblas_complex_numIdEPKS1_KS3_KPS1_Ev13rocblas_fill_17rocblas_diagonal_iiT2_lPT3_llSB_llPT4_lli,@function
_ZL23rocblas_trmm_lTx_kernelILi16ELb1E19rocblas_complex_numIdEPKS1_KS3_KPS1_Ev13rocblas_fill_17rocblas_diagonal_iiT2_lPT3_llSB_llPT4_lli: ; @_ZL23rocblas_trmm_lTx_kernelILi16ELb1E19rocblas_complex_numIdEPKS1_KS3_KPS1_Ev13rocblas_fill_17rocblas_diagonal_iiT2_lPT3_llSB_llPT4_lli
; %bb.0:
	s_load_dwordx16 s[8:23], s[4:5], 0x10
	s_waitcnt lgkmcnt(0)
	s_mul_i32 s0, s11, s7
	s_mul_hi_u32 s1, s10, s7
	s_add_i32 s1, s1, s0
	s_mul_i32 s0, s10, s7
	s_lshl_b64 s[0:1], s[0:1], 4
	s_add_u32 s0, s8, s0
	s_addc_u32 s1, s9, s1
	s_load_dwordx4 s[8:11], s[0:1], 0x0
	s_waitcnt lgkmcnt(0)
	v_cmp_neq_f64_e64 s[0:1], s[8:9], 0
	v_cmp_neq_f64_e64 s[2:3], s[10:11], 0
	s_or_b64 s[0:1], s[0:1], s[2:3]
	s_andn2_b64 vcc, exec, s[0:1]
	s_cbranch_vccnz .LBB184_15
; %bb.1:
	s_mov_b32 s28, s7
	s_mov_b32 s29, 0
	s_load_dwordx4 s[24:27], s[4:5], 0x0
	s_load_dwordx4 s[0:3], s[4:5], 0x50
	s_lshl_b64 s[30:31], s[28:29], 3
	s_add_u32 s12, s12, s30
	s_addc_u32 s13, s13, s31
	s_load_dwordx2 s[34:35], s[12:13], 0x0
	s_add_u32 s12, s18, s30
	s_addc_u32 s13, s19, s31
	s_waitcnt lgkmcnt(0)
	s_add_u32 s0, s0, s30
	s_addc_u32 s1, s1, s31
	s_load_dwordx2 s[18:19], s[12:13], 0x0
	s_mov_b32 s28, s29
	s_load_dwordx2 s[12:13], s[0:1], 0x0
	v_lshlrev_b32_e32 v3, 4, v1
	s_mov_b32 s30, s29
	s_mov_b32 s31, s29
	v_mov_b32_e32 v5, s28
	v_cmp_gt_i32_e64 s[0:1], s26, v1
	v_cmp_gt_i32_e32 vcc, s26, v0
	v_add_lshl_u32 v4, v3, v0, 4
	v_mov_b32_e32 v6, s29
	v_mov_b32_e32 v7, s30
	;; [unrolled: 1-line block ×3, first 2 shown]
	s_and_b64 s[0:1], s[0:1], vcc
	v_lshlrev_b32_e32 v2, 4, v0
	ds_write_b128 v4, v[5:8]
	ds_write_b128 v4, v[5:8] offset:4096
	s_waitcnt lgkmcnt(0)
	s_barrier
	s_and_saveexec_b64 s[28:29], s[0:1]
	s_cbranch_execz .LBB184_3
; %bb.2:
	v_mad_u64_u32 v[5:6], s[0:1], s14, v1, 0
	s_lshl_b64 s[0:1], s[16:17], 4
	s_add_u32 s0, s34, s0
	v_mad_u64_u32 v[6:7], s[14:15], s15, v1, v[6:7]
	s_addc_u32 s1, s35, s1
	v_mov_b32_e32 v7, s1
	v_lshlrev_b64 v[5:6], 4, v[5:6]
	v_lshl_add_u32 v9, v0, 8, v3
	v_add_co_u32_e64 v5, s[0:1], s0, v5
	v_addc_co_u32_e64 v6, s[0:1], v7, v6, s[0:1]
	v_add_co_u32_e64 v5, s[0:1], v5, v2
	v_addc_co_u32_e64 v6, s[0:1], 0, v6, s[0:1]
	flat_load_dwordx4 v[5:8], v[5:6]
	s_waitcnt vmcnt(0) lgkmcnt(0)
	v_xor_b32_e32 v8, 0x80000000, v8
	ds_write_b128 v9, v[5:8]
.LBB184_3:
	s_or_b64 exec, exec, s[28:29]
	s_add_i32 s0, s27, -1
	s_ashr_i32 s1, s0, 31
	s_lshr_b32 s1, s1, 28
	s_add_i32 s0, s0, s1
	s_ashr_i32 s1, s0, 4
	s_and_b32 s0, s0, -16
	s_sub_i32 s0, s27, s0
	s_cmp_ge_i32 s6, s1
	s_cselect_b32 s0, s0, 16
	s_lshl_b32 s16, s6, 4
	v_cmp_gt_i32_e64 s[0:1], s0, v1
	s_ashr_i32 s17, s16, 31
	s_and_b64 s[0:1], vcc, s[0:1]
	s_and_saveexec_b64 s[6:7], s[0:1]
	s_cbranch_execz .LBB184_5
; %bb.4:
	s_lshl_b64 s[14:15], s[22:23], 4
	s_add_u32 s22, s18, s14
	s_addc_u32 s23, s19, s15
	s_mul_i32 s14, s20, s17
	s_mul_hi_u32 s15, s20, s16
	s_add_i32 s18, s15, s14
	v_mad_u64_u32 v[5:6], s[14:15], s20, v1, 0
	s_mul_i32 s14, s21, s16
	s_add_i32 s15, s18, s14
	v_mad_u64_u32 v[6:7], s[18:19], s21, v1, v[6:7]
	s_mul_i32 s14, s20, s16
	s_lshl_b64 s[14:15], s[14:15], 4
	s_add_u32 s14, s22, s14
	v_lshlrev_b64 v[5:6], 4, v[5:6]
	s_addc_u32 s15, s23, s15
	v_mov_b32_e32 v7, s15
	v_add_co_u32_e32 v5, vcc, s14, v5
	v_addc_co_u32_e32 v6, vcc, v7, v6, vcc
	v_add_co_u32_e32 v5, vcc, v5, v2
	v_addc_co_u32_e32 v6, vcc, 0, v6, vcc
	flat_load_dwordx4 v[5:8], v[5:6]
	v_add_u32_e32 v9, 0x1000, v4
	s_waitcnt vmcnt(0) lgkmcnt(0)
	ds_write2_b64 v9, v[5:6], v[7:8] offset1:1
.LBB184_5:
	s_or_b64 exec, exec, s[6:7]
	s_cmpk_eq_i32 s25, 0x84
	s_cselect_b64 s[6:7], -1, 0
	v_cmp_eq_u32_e32 vcc, v1, v0
	s_and_b64 s[14:15], vcc, s[6:7]
	s_and_saveexec_b64 s[6:7], s[14:15]
; %bb.6:
	v_mov_b32_e32 v5, 0
	v_mov_b32_e32 v6, 0x3ff00000
	;; [unrolled: 1-line block ×4, first 2 shown]
	ds_write_b128 v4, v[5:8]
; %bb.7:
	s_or_b64 exec, exec, s[6:7]
	s_cmpk_lg_i32 s24, 0x7a
	s_waitcnt lgkmcnt(0)
	s_barrier
	s_cbranch_scc0 .LBB184_9
; %bb.8:
	v_cmp_lt_u32_e32 vcc, v0, v1
	s_and_b64 s[6:7], vcc, exec
	s_cbranch_execz .LBB184_10
	s_branch .LBB184_11
.LBB184_9:
	s_mov_b64 s[6:7], 0
.LBB184_10:
	v_cmp_gt_u32_e32 vcc, v0, v1
	s_andn2_b64 s[6:7], s[6:7], exec
	s_and_b64 s[14:15], vcc, exec
	s_or_b64 s[6:7], s[6:7], s[14:15]
.LBB184_11:
	s_and_saveexec_b64 s[14:15], s[6:7]
; %bb.12:
	v_mov_b32_e32 v5, 0
	v_mov_b32_e32 v6, v5
	;; [unrolled: 1-line block ×4, first 2 shown]
	ds_write_b128 v4, v[5:8]
; %bb.13:
	s_or_b64 exec, exec, s[14:15]
	s_waitcnt lgkmcnt(0)
	s_barrier
	s_and_saveexec_b64 s[6:7], s[0:1]
	s_cbranch_execz .LBB184_15
; %bb.14:
	v_lshlrev_b32_e32 v0, 4, v3
	ds_read_b128 v[3:6], v0 offset:4096
	ds_read_b128 v[7:10], v2
	ds_read_b128 v[11:14], v2 offset:256
	ds_read_b128 v[15:18], v0 offset:4112
	;; [unrolled: 1-line block ×3, first 2 shown]
	s_load_dwordx2 s[0:1], s[4:5], 0x60
	s_waitcnt lgkmcnt(0)
	v_mul_f64 v[23:24], v[3:4], v[9:10]
	v_mul_f64 v[9:10], v[5:6], v[9:10]
	;; [unrolled: 1-line block ×4, first 2 shown]
	s_lshl_b64 s[0:1], s[0:1], 4
	s_mul_i32 s6, s2, s17
	s_mul_hi_u32 s7, s2, s16
	s_mul_i32 s14, s3, s16
	v_fma_f64 v[5:6], v[5:6], v[7:8], v[23:24]
	ds_read_b128 v[23:26], v2 offset:512
	ds_read_b128 v[27:30], v2 offset:768
	;; [unrolled: 1-line block ×3, first 2 shown]
	v_fma_f64 v[39:40], v[3:4], v[7:8], -v[9:10]
	v_fma_f64 v[17:18], v[17:18], v[11:12], v[35:36]
	s_waitcnt lgkmcnt(2)
	v_mul_f64 v[37:38], v[19:20], v[25:26]
	v_mul_f64 v[25:26], v[21:22], v[25:26]
	s_waitcnt lgkmcnt(0)
	v_mul_f64 v[41:42], v[31:32], v[29:30]
	v_fma_f64 v[43:44], v[15:16], v[11:12], -v[13:14]
	v_add_f64 v[35:36], v[5:6], 0
	ds_read_b128 v[3:6], v2 offset:1024
	ds_read_b128 v[7:10], v0 offset:4160
	v_mul_f64 v[29:30], v[33:34], v[29:30]
	v_fma_f64 v[21:22], v[21:22], v[23:24], v[37:38]
	v_add_f64 v[37:38], v[39:40], 0
	s_waitcnt lgkmcnt(0)
	v_mul_f64 v[39:40], v[7:8], v[5:6]
	v_fma_f64 v[45:46], v[19:20], v[23:24], -v[25:26]
	v_add_f64 v[35:36], v[35:36], v[17:18]
	v_fma_f64 v[33:34], v[33:34], v[27:28], v[41:42]
	ds_read_b128 v[11:14], v2 offset:1280
	ds_read_b128 v[15:18], v0 offset:4176
	v_mul_f64 v[5:6], v[9:10], v[5:6]
	v_add_f64 v[37:38], v[37:38], v[43:44]
	v_fma_f64 v[43:44], v[31:32], v[27:28], -v[29:30]
	s_waitcnt lgkmcnt(0)
	v_mul_f64 v[41:42], v[15:16], v[13:14]
	v_add_f64 v[35:36], v[35:36], v[21:22]
	v_fma_f64 v[9:10], v[9:10], v[3:4], v[39:40]
	ds_read_b128 v[19:22], v2 offset:1536
	ds_read_b128 v[23:26], v0 offset:4192
	v_mul_f64 v[13:14], v[17:18], v[13:14]
	v_add_f64 v[37:38], v[37:38], v[45:46]
	v_fma_f64 v[45:46], v[7:8], v[3:4], -v[5:6]
	s_waitcnt lgkmcnt(0)
	v_mul_f64 v[39:40], v[23:24], v[21:22]
	;; [unrolled: 9-line block ×9, first 2 shown]
	v_add_f64 v[35:36], v[35:36], v[25:26]
	v_fma_f64 v[9:10], v[9:10], v[3:4], v[39:40]
	ds_read_b128 v[19:22], v2 offset:3584
	ds_read_b128 v[23:26], v0 offset:4320
	v_mul_f64 v[13:14], v[17:18], v[13:14]
	v_fma_f64 v[3:4], v[7:8], v[3:4], -v[5:6]
	v_add_f64 v[37:38], v[37:38], v[45:46]
	s_waitcnt lgkmcnt(0)
	v_mul_f64 v[39:40], v[23:24], v[21:22]
	v_add_f64 v[35:36], v[35:36], v[33:34]
	v_fma_f64 v[5:6], v[17:18], v[11:12], v[41:42]
	ds_read_b128 v[27:30], v2 offset:3840
	ds_read_b128 v[31:34], v0 offset:4336
	v_mul_f64 v[17:18], v[25:26], v[21:22]
	v_fma_f64 v[11:12], v[15:16], v[11:12], -v[13:14]
	v_add_f64 v[7:8], v[37:38], v[43:44]
	s_waitcnt lgkmcnt(0)
	v_mul_f64 v[21:22], v[31:32], v[29:30]
	v_add_f64 v[9:10], v[35:36], v[9:10]
	v_fma_f64 v[13:14], v[25:26], v[19:20], v[39:40]
	v_fma_f64 v[15:16], v[23:24], v[19:20], -v[17:18]
	v_add_f64 v[3:4], v[7:8], v[3:4]
	v_mad_u64_u32 v[7:8], s[4:5], s2, v1, 0
	v_add_f64 v[5:6], v[9:10], v[5:6]
	v_mul_f64 v[9:10], v[33:34], v[29:30]
	v_fma_f64 v[17:18], v[33:34], v[27:28], v[21:22]
	v_mov_b32_e32 v0, v8
	v_mad_u64_u32 v[0:1], s[4:5], s3, v1, v[0:1]
	v_add_f64 v[3:4], v[3:4], v[11:12]
	s_add_u32 s4, s12, s0
	v_add_f64 v[5:6], v[5:6], v[13:14]
	v_fma_f64 v[8:9], v[31:32], v[27:28], -v[9:10]
	s_addc_u32 s5, s13, s1
	s_add_i32 s0, s7, s6
	s_mul_i32 s2, s2, s16
	s_add_i32 s3, s0, s14
	v_add_f64 v[3:4], v[3:4], v[15:16]
	s_lshl_b64 s[0:1], s[2:3], 4
	v_add_f64 v[5:6], v[5:6], v[17:18]
	s_add_u32 s0, s4, s0
	s_addc_u32 s1, s5, s1
	v_add_f64 v[3:4], v[3:4], v[8:9]
	v_mov_b32_e32 v8, v0
	v_mul_f64 v[9:10], s[8:9], v[5:6]
	v_mul_f64 v[11:12], s[10:11], v[5:6]
	v_lshlrev_b64 v[0:1], 4, v[7:8]
	v_mov_b32_e32 v7, s1
	v_add_co_u32_e32 v0, vcc, s0, v0
	v_addc_co_u32_e32 v1, vcc, v7, v1, vcc
	v_fma_f64 v[5:6], s[10:11], v[3:4], v[9:10]
	v_fma_f64 v[3:4], s[8:9], v[3:4], -v[11:12]
	v_add_co_u32_e32 v0, vcc, v0, v2
	v_addc_co_u32_e32 v1, vcc, 0, v1, vcc
	flat_store_dwordx4 v[0:1], v[3:6]
.LBB184_15:
	s_endpgm
	.section	.rodata,"a",@progbits
	.p2align	6, 0x0
	.amdhsa_kernel _ZL23rocblas_trmm_lTx_kernelILi16ELb1E19rocblas_complex_numIdEPKS1_KS3_KPS1_Ev13rocblas_fill_17rocblas_diagonal_iiT2_lPT3_llSB_llPT4_lli
		.amdhsa_group_segment_fixed_size 8192
		.amdhsa_private_segment_fixed_size 0
		.amdhsa_kernarg_size 108
		.amdhsa_user_sgpr_count 6
		.amdhsa_user_sgpr_private_segment_buffer 1
		.amdhsa_user_sgpr_dispatch_ptr 0
		.amdhsa_user_sgpr_queue_ptr 0
		.amdhsa_user_sgpr_kernarg_segment_ptr 1
		.amdhsa_user_sgpr_dispatch_id 0
		.amdhsa_user_sgpr_flat_scratch_init 0
		.amdhsa_user_sgpr_private_segment_size 0
		.amdhsa_uses_dynamic_stack 0
		.amdhsa_system_sgpr_private_segment_wavefront_offset 0
		.amdhsa_system_sgpr_workgroup_id_x 1
		.amdhsa_system_sgpr_workgroup_id_y 0
		.amdhsa_system_sgpr_workgroup_id_z 1
		.amdhsa_system_sgpr_workgroup_info 0
		.amdhsa_system_vgpr_workitem_id 1
		.amdhsa_next_free_vgpr 47
		.amdhsa_next_free_sgpr 61
		.amdhsa_reserve_vcc 1
		.amdhsa_reserve_flat_scratch 0
		.amdhsa_float_round_mode_32 0
		.amdhsa_float_round_mode_16_64 0
		.amdhsa_float_denorm_mode_32 3
		.amdhsa_float_denorm_mode_16_64 3
		.amdhsa_dx10_clamp 1
		.amdhsa_ieee_mode 1
		.amdhsa_fp16_overflow 0
		.amdhsa_exception_fp_ieee_invalid_op 0
		.amdhsa_exception_fp_denorm_src 0
		.amdhsa_exception_fp_ieee_div_zero 0
		.amdhsa_exception_fp_ieee_overflow 0
		.amdhsa_exception_fp_ieee_underflow 0
		.amdhsa_exception_fp_ieee_inexact 0
		.amdhsa_exception_int_div_zero 0
	.end_amdhsa_kernel
	.section	.text._ZL23rocblas_trmm_lTx_kernelILi16ELb1E19rocblas_complex_numIdEPKS1_KS3_KPS1_Ev13rocblas_fill_17rocblas_diagonal_iiT2_lPT3_llSB_llPT4_lli,"axG",@progbits,_ZL23rocblas_trmm_lTx_kernelILi16ELb1E19rocblas_complex_numIdEPKS1_KS3_KPS1_Ev13rocblas_fill_17rocblas_diagonal_iiT2_lPT3_llSB_llPT4_lli,comdat
.Lfunc_end184:
	.size	_ZL23rocblas_trmm_lTx_kernelILi16ELb1E19rocblas_complex_numIdEPKS1_KS3_KPS1_Ev13rocblas_fill_17rocblas_diagonal_iiT2_lPT3_llSB_llPT4_lli, .Lfunc_end184-_ZL23rocblas_trmm_lTx_kernelILi16ELb1E19rocblas_complex_numIdEPKS1_KS3_KPS1_Ev13rocblas_fill_17rocblas_diagonal_iiT2_lPT3_llSB_llPT4_lli
                                        ; -- End function
	.set _ZL23rocblas_trmm_lTx_kernelILi16ELb1E19rocblas_complex_numIdEPKS1_KS3_KPS1_Ev13rocblas_fill_17rocblas_diagonal_iiT2_lPT3_llSB_llPT4_lli.num_vgpr, 47
	.set _ZL23rocblas_trmm_lTx_kernelILi16ELb1E19rocblas_complex_numIdEPKS1_KS3_KPS1_Ev13rocblas_fill_17rocblas_diagonal_iiT2_lPT3_llSB_llPT4_lli.num_agpr, 0
	.set _ZL23rocblas_trmm_lTx_kernelILi16ELb1E19rocblas_complex_numIdEPKS1_KS3_KPS1_Ev13rocblas_fill_17rocblas_diagonal_iiT2_lPT3_llSB_llPT4_lli.numbered_sgpr, 36
	.set _ZL23rocblas_trmm_lTx_kernelILi16ELb1E19rocblas_complex_numIdEPKS1_KS3_KPS1_Ev13rocblas_fill_17rocblas_diagonal_iiT2_lPT3_llSB_llPT4_lli.num_named_barrier, 0
	.set _ZL23rocblas_trmm_lTx_kernelILi16ELb1E19rocblas_complex_numIdEPKS1_KS3_KPS1_Ev13rocblas_fill_17rocblas_diagonal_iiT2_lPT3_llSB_llPT4_lli.private_seg_size, 0
	.set _ZL23rocblas_trmm_lTx_kernelILi16ELb1E19rocblas_complex_numIdEPKS1_KS3_KPS1_Ev13rocblas_fill_17rocblas_diagonal_iiT2_lPT3_llSB_llPT4_lli.uses_vcc, 1
	.set _ZL23rocblas_trmm_lTx_kernelILi16ELb1E19rocblas_complex_numIdEPKS1_KS3_KPS1_Ev13rocblas_fill_17rocblas_diagonal_iiT2_lPT3_llSB_llPT4_lli.uses_flat_scratch, 0
	.set _ZL23rocblas_trmm_lTx_kernelILi16ELb1E19rocblas_complex_numIdEPKS1_KS3_KPS1_Ev13rocblas_fill_17rocblas_diagonal_iiT2_lPT3_llSB_llPT4_lli.has_dyn_sized_stack, 0
	.set _ZL23rocblas_trmm_lTx_kernelILi16ELb1E19rocblas_complex_numIdEPKS1_KS3_KPS1_Ev13rocblas_fill_17rocblas_diagonal_iiT2_lPT3_llSB_llPT4_lli.has_recursion, 0
	.set _ZL23rocblas_trmm_lTx_kernelILi16ELb1E19rocblas_complex_numIdEPKS1_KS3_KPS1_Ev13rocblas_fill_17rocblas_diagonal_iiT2_lPT3_llSB_llPT4_lli.has_indirect_call, 0
	.section	.AMDGPU.csdata,"",@progbits
; Kernel info:
; codeLenInByte = 1944
; TotalNumSgprs: 40
; NumVgprs: 47
; ScratchSize: 0
; MemoryBound: 0
; FloatMode: 240
; IeeeMode: 1
; LDSByteSize: 8192 bytes/workgroup (compile time only)
; SGPRBlocks: 8
; VGPRBlocks: 11
; NumSGPRsForWavesPerEU: 65
; NumVGPRsForWavesPerEU: 47
; Occupancy: 5
; WaveLimiterHint : 1
; COMPUTE_PGM_RSRC2:SCRATCH_EN: 0
; COMPUTE_PGM_RSRC2:USER_SGPR: 6
; COMPUTE_PGM_RSRC2:TRAP_HANDLER: 0
; COMPUTE_PGM_RSRC2:TGID_X_EN: 1
; COMPUTE_PGM_RSRC2:TGID_Y_EN: 0
; COMPUTE_PGM_RSRC2:TGID_Z_EN: 1
; COMPUTE_PGM_RSRC2:TIDIG_COMP_CNT: 1
	.section	.text._ZL23rocblas_trmm_lTx_kernelILi16ELb1E19rocblas_complex_numIdES1_KPKS1_KPS1_Ev13rocblas_fill_17rocblas_diagonal_iiT2_lPT3_llSB_llPT4_lli,"axG",@progbits,_ZL23rocblas_trmm_lTx_kernelILi16ELb1E19rocblas_complex_numIdES1_KPKS1_KPS1_Ev13rocblas_fill_17rocblas_diagonal_iiT2_lPT3_llSB_llPT4_lli,comdat
	.globl	_ZL23rocblas_trmm_lTx_kernelILi16ELb1E19rocblas_complex_numIdES1_KPKS1_KPS1_Ev13rocblas_fill_17rocblas_diagonal_iiT2_lPT3_llSB_llPT4_lli ; -- Begin function _ZL23rocblas_trmm_lTx_kernelILi16ELb1E19rocblas_complex_numIdES1_KPKS1_KPS1_Ev13rocblas_fill_17rocblas_diagonal_iiT2_lPT3_llSB_llPT4_lli
	.p2align	8
	.type	_ZL23rocblas_trmm_lTx_kernelILi16ELb1E19rocblas_complex_numIdES1_KPKS1_KPS1_Ev13rocblas_fill_17rocblas_diagonal_iiT2_lPT3_llSB_llPT4_lli,@function
_ZL23rocblas_trmm_lTx_kernelILi16ELb1E19rocblas_complex_numIdES1_KPKS1_KPS1_Ev13rocblas_fill_17rocblas_diagonal_iiT2_lPT3_llSB_llPT4_lli: ; @_ZL23rocblas_trmm_lTx_kernelILi16ELb1E19rocblas_complex_numIdES1_KPKS1_KPS1_Ev13rocblas_fill_17rocblas_diagonal_iiT2_lPT3_llSB_llPT4_lli
; %bb.0:
	s_load_dwordx4 s[24:27], s[4:5], 0x10
	s_waitcnt lgkmcnt(0)
	v_cmp_neq_f64_e64 s[2:3], s[24:25], 0
	v_cmp_neq_f64_e64 s[8:9], s[26:27], 0
	s_or_b64 s[2:3], s[2:3], s[8:9]
	s_andn2_b64 vcc, exec, s[2:3]
	s_cbranch_vccnz .LBB185_15
; %bb.1:
	s_load_dwordx16 s[8:23], s[4:5], 0x28
	s_load_dwordx4 s[28:31], s[4:5], 0x0
	s_mov_b32 s0, s7
	s_mov_b32 s1, 0
	s_lshl_b64 s[2:3], s[0:1], 3
	s_waitcnt lgkmcnt(0)
	s_add_u32 s8, s8, s2
	s_addc_u32 s9, s9, s3
	s_load_dwordx2 s[34:35], s[8:9], 0x0
	s_add_u32 s8, s14, s2
	s_addc_u32 s9, s15, s3
	s_add_u32 s2, s20, s2
	s_addc_u32 s3, s21, s3
	s_load_dwordx2 s[14:15], s[8:9], 0x0
	s_mov_b32 s0, s1
	s_load_dwordx2 s[8:9], s[2:3], 0x0
	s_mov_b32 s3, s1
	s_mov_b32 s2, s1
	v_mov_b32_e32 v8, s3
	v_lshlrev_b32_e32 v3, 4, v1
	v_mov_b32_e32 v7, s2
	v_mov_b32_e32 v6, s1
	;; [unrolled: 1-line block ×3, first 2 shown]
	v_cmp_gt_i32_e64 s[0:1], s30, v1
	v_cmp_gt_i32_e32 vcc, s30, v0
	v_add_lshl_u32 v4, v3, v0, 4
	s_and_b64 s[0:1], s[0:1], vcc
	v_lshlrev_b32_e32 v2, 4, v0
	ds_write_b128 v4, v[5:8]
	ds_write_b128 v4, v[5:8] offset:4096
	s_waitcnt lgkmcnt(0)
	s_barrier
	s_and_saveexec_b64 s[2:3], s[0:1]
	s_cbranch_execz .LBB185_3
; %bb.2:
	v_mad_u64_u32 v[5:6], s[0:1], s10, v1, 0
	s_lshl_b64 s[0:1], s[12:13], 4
	s_add_u32 s0, s34, s0
	v_mad_u64_u32 v[6:7], s[10:11], s11, v1, v[6:7]
	s_addc_u32 s1, s35, s1
	v_mov_b32_e32 v7, s1
	v_lshlrev_b64 v[5:6], 4, v[5:6]
	v_lshl_add_u32 v9, v0, 8, v3
	v_add_co_u32_e64 v5, s[0:1], s0, v5
	v_addc_co_u32_e64 v6, s[0:1], v7, v6, s[0:1]
	v_add_co_u32_e64 v5, s[0:1], v5, v2
	v_addc_co_u32_e64 v6, s[0:1], 0, v6, s[0:1]
	flat_load_dwordx4 v[5:8], v[5:6]
	s_waitcnt vmcnt(0) lgkmcnt(0)
	v_xor_b32_e32 v8, 0x80000000, v8
	ds_write_b128 v9, v[5:8]
.LBB185_3:
	s_or_b64 exec, exec, s[2:3]
	s_add_i32 s0, s31, -1
	s_ashr_i32 s1, s0, 31
	s_lshr_b32 s1, s1, 28
	s_add_i32 s0, s0, s1
	s_ashr_i32 s1, s0, 4
	s_and_b32 s0, s0, -16
	s_sub_i32 s0, s31, s0
	s_cmp_ge_i32 s6, s1
	s_cselect_b32 s0, s0, 16
	s_lshl_b32 s10, s6, 4
	v_cmp_gt_i32_e64 s[0:1], s0, v1
	s_ashr_i32 s11, s10, 31
	s_and_b64 s[0:1], vcc, s[0:1]
	s_and_saveexec_b64 s[2:3], s[0:1]
	s_cbranch_execz .LBB185_5
; %bb.4:
	s_lshl_b64 s[6:7], s[18:19], 4
	s_add_u32 s14, s14, s6
	s_addc_u32 s15, s15, s7
	s_mul_i32 s6, s16, s11
	s_mul_hi_u32 s7, s16, s10
	s_add_i32 s12, s7, s6
	v_mad_u64_u32 v[5:6], s[6:7], s16, v1, 0
	s_mul_i32 s6, s17, s10
	s_add_i32 s7, s12, s6
	v_mad_u64_u32 v[6:7], s[12:13], s17, v1, v[6:7]
	s_mul_i32 s6, s16, s10
	s_lshl_b64 s[6:7], s[6:7], 4
	s_add_u32 s6, s14, s6
	v_lshlrev_b64 v[5:6], 4, v[5:6]
	s_addc_u32 s7, s15, s7
	v_mov_b32_e32 v7, s7
	v_add_co_u32_e32 v5, vcc, s6, v5
	v_addc_co_u32_e32 v6, vcc, v7, v6, vcc
	v_add_co_u32_e32 v5, vcc, v5, v2
	v_addc_co_u32_e32 v6, vcc, 0, v6, vcc
	flat_load_dwordx4 v[5:8], v[5:6]
	v_add_u32_e32 v9, 0x1000, v4
	s_waitcnt vmcnt(0) lgkmcnt(0)
	ds_write2_b64 v9, v[5:6], v[7:8] offset1:1
.LBB185_5:
	s_or_b64 exec, exec, s[2:3]
	s_cmpk_eq_i32 s29, 0x84
	s_cselect_b64 s[2:3], -1, 0
	v_cmp_eq_u32_e32 vcc, v1, v0
	s_and_b64 s[6:7], vcc, s[2:3]
	s_and_saveexec_b64 s[2:3], s[6:7]
; %bb.6:
	v_mov_b32_e32 v5, 0
	v_mov_b32_e32 v6, 0x3ff00000
	v_mov_b32_e32 v7, v5
	v_mov_b32_e32 v8, v5
	ds_write_b128 v4, v[5:8]
; %bb.7:
	s_or_b64 exec, exec, s[2:3]
	s_cmpk_lg_i32 s28, 0x7a
	s_waitcnt lgkmcnt(0)
	s_barrier
	s_cbranch_scc0 .LBB185_9
; %bb.8:
	v_cmp_lt_u32_e32 vcc, v0, v1
	s_and_b64 s[2:3], vcc, exec
	s_cbranch_execz .LBB185_10
	s_branch .LBB185_11
.LBB185_9:
	s_mov_b64 s[2:3], 0
.LBB185_10:
	v_cmp_gt_u32_e32 vcc, v0, v1
	s_andn2_b64 s[2:3], s[2:3], exec
	s_and_b64 s[6:7], vcc, exec
	s_or_b64 s[2:3], s[2:3], s[6:7]
.LBB185_11:
	s_and_saveexec_b64 s[6:7], s[2:3]
; %bb.12:
	v_mov_b32_e32 v5, 0
	v_mov_b32_e32 v6, v5
	;; [unrolled: 1-line block ×4, first 2 shown]
	ds_write_b128 v4, v[5:8]
; %bb.13:
	s_or_b64 exec, exec, s[6:7]
	s_waitcnt lgkmcnt(0)
	s_barrier
	s_and_saveexec_b64 s[2:3], s[0:1]
	s_cbranch_execz .LBB185_15
; %bb.14:
	v_lshlrev_b32_e32 v0, 4, v3
	ds_read_b128 v[3:6], v0 offset:4096
	ds_read_b128 v[7:10], v2
	ds_read_b128 v[11:14], v2 offset:256
	ds_read_b128 v[15:18], v0 offset:4112
	;; [unrolled: 1-line block ×3, first 2 shown]
	s_load_dwordx2 s[0:1], s[4:5], 0x68
	s_waitcnt lgkmcnt(0)
	v_mul_f64 v[23:24], v[3:4], v[9:10]
	v_mul_f64 v[9:10], v[5:6], v[9:10]
	v_mul_f64 v[35:36], v[15:16], v[13:14]
	v_mul_f64 v[13:14], v[17:18], v[13:14]
	s_lshl_b64 s[0:1], s[0:1], 4
	s_mul_i32 s6, s22, s11
	s_mul_i32 s7, s23, s10
	v_fma_f64 v[5:6], v[5:6], v[7:8], v[23:24]
	ds_read_b128 v[23:26], v2 offset:512
	ds_read_b128 v[27:30], v2 offset:768
	;; [unrolled: 1-line block ×3, first 2 shown]
	v_fma_f64 v[39:40], v[3:4], v[7:8], -v[9:10]
	v_fma_f64 v[17:18], v[17:18], v[11:12], v[35:36]
	s_waitcnt lgkmcnt(2)
	v_mul_f64 v[37:38], v[19:20], v[25:26]
	v_mul_f64 v[25:26], v[21:22], v[25:26]
	s_waitcnt lgkmcnt(0)
	v_mul_f64 v[41:42], v[31:32], v[29:30]
	v_fma_f64 v[43:44], v[15:16], v[11:12], -v[13:14]
	v_add_f64 v[35:36], v[5:6], 0
	ds_read_b128 v[3:6], v2 offset:1024
	ds_read_b128 v[7:10], v0 offset:4160
	v_mul_f64 v[29:30], v[33:34], v[29:30]
	v_fma_f64 v[21:22], v[21:22], v[23:24], v[37:38]
	v_add_f64 v[37:38], v[39:40], 0
	s_waitcnt lgkmcnt(0)
	v_mul_f64 v[39:40], v[7:8], v[5:6]
	v_fma_f64 v[45:46], v[19:20], v[23:24], -v[25:26]
	v_add_f64 v[35:36], v[35:36], v[17:18]
	v_fma_f64 v[33:34], v[33:34], v[27:28], v[41:42]
	ds_read_b128 v[11:14], v2 offset:1280
	ds_read_b128 v[15:18], v0 offset:4176
	v_mul_f64 v[5:6], v[9:10], v[5:6]
	v_add_f64 v[37:38], v[37:38], v[43:44]
	v_fma_f64 v[43:44], v[31:32], v[27:28], -v[29:30]
	s_waitcnt lgkmcnt(0)
	v_mul_f64 v[41:42], v[15:16], v[13:14]
	v_add_f64 v[35:36], v[35:36], v[21:22]
	v_fma_f64 v[9:10], v[9:10], v[3:4], v[39:40]
	ds_read_b128 v[19:22], v2 offset:1536
	ds_read_b128 v[23:26], v0 offset:4192
	v_mul_f64 v[13:14], v[17:18], v[13:14]
	v_add_f64 v[37:38], v[37:38], v[45:46]
	v_fma_f64 v[45:46], v[7:8], v[3:4], -v[5:6]
	s_waitcnt lgkmcnt(0)
	v_mul_f64 v[39:40], v[23:24], v[21:22]
	;; [unrolled: 9-line block ×9, first 2 shown]
	v_add_f64 v[35:36], v[35:36], v[25:26]
	v_fma_f64 v[9:10], v[9:10], v[3:4], v[39:40]
	ds_read_b128 v[19:22], v2 offset:3584
	ds_read_b128 v[23:26], v0 offset:4320
	v_mul_f64 v[13:14], v[17:18], v[13:14]
	v_fma_f64 v[3:4], v[7:8], v[3:4], -v[5:6]
	v_add_f64 v[37:38], v[37:38], v[45:46]
	s_waitcnt lgkmcnt(0)
	v_mul_f64 v[39:40], v[23:24], v[21:22]
	v_add_f64 v[35:36], v[35:36], v[33:34]
	v_fma_f64 v[5:6], v[17:18], v[11:12], v[41:42]
	ds_read_b128 v[27:30], v2 offset:3840
	ds_read_b128 v[31:34], v0 offset:4336
	v_mul_f64 v[17:18], v[25:26], v[21:22]
	v_fma_f64 v[11:12], v[15:16], v[11:12], -v[13:14]
	v_add_f64 v[7:8], v[37:38], v[43:44]
	s_waitcnt lgkmcnt(0)
	v_mul_f64 v[21:22], v[31:32], v[29:30]
	v_add_f64 v[9:10], v[35:36], v[9:10]
	v_fma_f64 v[13:14], v[25:26], v[19:20], v[39:40]
	v_fma_f64 v[15:16], v[23:24], v[19:20], -v[17:18]
	v_add_f64 v[3:4], v[7:8], v[3:4]
	v_mad_u64_u32 v[7:8], s[2:3], s22, v1, 0
	v_add_f64 v[5:6], v[9:10], v[5:6]
	v_mul_f64 v[9:10], v[33:34], v[29:30]
	v_fma_f64 v[17:18], v[33:34], v[27:28], v[21:22]
	v_mov_b32_e32 v0, v8
	v_mad_u64_u32 v[0:1], s[4:5], s23, v1, v[0:1]
	v_add_f64 v[3:4], v[3:4], v[11:12]
	s_mul_hi_u32 s3, s22, s10
	v_add_f64 v[5:6], v[5:6], v[13:14]
	v_fma_f64 v[8:9], v[31:32], v[27:28], -v[9:10]
	s_add_u32 s4, s8, s0
	s_addc_u32 s5, s9, s1
	s_add_i32 s0, s3, s6
	s_mul_i32 s2, s22, s10
	v_add_f64 v[3:4], v[3:4], v[15:16]
	s_add_i32 s3, s0, s7
	v_add_f64 v[5:6], v[5:6], v[17:18]
	s_lshl_b64 s[0:1], s[2:3], 4
	s_add_u32 s0, s4, s0
	s_addc_u32 s1, s5, s1
	v_add_f64 v[3:4], v[3:4], v[8:9]
	v_mov_b32_e32 v8, v0
	v_mul_f64 v[9:10], s[24:25], v[5:6]
	v_mul_f64 v[11:12], s[26:27], v[5:6]
	v_lshlrev_b64 v[0:1], 4, v[7:8]
	v_mov_b32_e32 v7, s1
	v_add_co_u32_e32 v0, vcc, s0, v0
	v_addc_co_u32_e32 v1, vcc, v7, v1, vcc
	v_fma_f64 v[5:6], s[26:27], v[3:4], v[9:10]
	v_fma_f64 v[3:4], s[24:25], v[3:4], -v[11:12]
	v_add_co_u32_e32 v0, vcc, v0, v2
	v_addc_co_u32_e32 v1, vcc, 0, v1, vcc
	flat_store_dwordx4 v[0:1], v[3:6]
.LBB185_15:
	s_endpgm
	.section	.rodata,"a",@progbits
	.p2align	6, 0x0
	.amdhsa_kernel _ZL23rocblas_trmm_lTx_kernelILi16ELb1E19rocblas_complex_numIdES1_KPKS1_KPS1_Ev13rocblas_fill_17rocblas_diagonal_iiT2_lPT3_llSB_llPT4_lli
		.amdhsa_group_segment_fixed_size 8192
		.amdhsa_private_segment_fixed_size 0
		.amdhsa_kernarg_size 116
		.amdhsa_user_sgpr_count 6
		.amdhsa_user_sgpr_private_segment_buffer 1
		.amdhsa_user_sgpr_dispatch_ptr 0
		.amdhsa_user_sgpr_queue_ptr 0
		.amdhsa_user_sgpr_kernarg_segment_ptr 1
		.amdhsa_user_sgpr_dispatch_id 0
		.amdhsa_user_sgpr_flat_scratch_init 0
		.amdhsa_user_sgpr_private_segment_size 0
		.amdhsa_uses_dynamic_stack 0
		.amdhsa_system_sgpr_private_segment_wavefront_offset 0
		.amdhsa_system_sgpr_workgroup_id_x 1
		.amdhsa_system_sgpr_workgroup_id_y 0
		.amdhsa_system_sgpr_workgroup_id_z 1
		.amdhsa_system_sgpr_workgroup_info 0
		.amdhsa_system_vgpr_workitem_id 1
		.amdhsa_next_free_vgpr 47
		.amdhsa_next_free_sgpr 61
		.amdhsa_reserve_vcc 1
		.amdhsa_reserve_flat_scratch 0
		.amdhsa_float_round_mode_32 0
		.amdhsa_float_round_mode_16_64 0
		.amdhsa_float_denorm_mode_32 3
		.amdhsa_float_denorm_mode_16_64 3
		.amdhsa_dx10_clamp 1
		.amdhsa_ieee_mode 1
		.amdhsa_fp16_overflow 0
		.amdhsa_exception_fp_ieee_invalid_op 0
		.amdhsa_exception_fp_denorm_src 0
		.amdhsa_exception_fp_ieee_div_zero 0
		.amdhsa_exception_fp_ieee_overflow 0
		.amdhsa_exception_fp_ieee_underflow 0
		.amdhsa_exception_fp_ieee_inexact 0
		.amdhsa_exception_int_div_zero 0
	.end_amdhsa_kernel
	.section	.text._ZL23rocblas_trmm_lTx_kernelILi16ELb1E19rocblas_complex_numIdES1_KPKS1_KPS1_Ev13rocblas_fill_17rocblas_diagonal_iiT2_lPT3_llSB_llPT4_lli,"axG",@progbits,_ZL23rocblas_trmm_lTx_kernelILi16ELb1E19rocblas_complex_numIdES1_KPKS1_KPS1_Ev13rocblas_fill_17rocblas_diagonal_iiT2_lPT3_llSB_llPT4_lli,comdat
.Lfunc_end185:
	.size	_ZL23rocblas_trmm_lTx_kernelILi16ELb1E19rocblas_complex_numIdES1_KPKS1_KPS1_Ev13rocblas_fill_17rocblas_diagonal_iiT2_lPT3_llSB_llPT4_lli, .Lfunc_end185-_ZL23rocblas_trmm_lTx_kernelILi16ELb1E19rocblas_complex_numIdES1_KPKS1_KPS1_Ev13rocblas_fill_17rocblas_diagonal_iiT2_lPT3_llSB_llPT4_lli
                                        ; -- End function
	.set _ZL23rocblas_trmm_lTx_kernelILi16ELb1E19rocblas_complex_numIdES1_KPKS1_KPS1_Ev13rocblas_fill_17rocblas_diagonal_iiT2_lPT3_llSB_llPT4_lli.num_vgpr, 47
	.set _ZL23rocblas_trmm_lTx_kernelILi16ELb1E19rocblas_complex_numIdES1_KPKS1_KPS1_Ev13rocblas_fill_17rocblas_diagonal_iiT2_lPT3_llSB_llPT4_lli.num_agpr, 0
	.set _ZL23rocblas_trmm_lTx_kernelILi16ELb1E19rocblas_complex_numIdES1_KPKS1_KPS1_Ev13rocblas_fill_17rocblas_diagonal_iiT2_lPT3_llSB_llPT4_lli.numbered_sgpr, 36
	.set _ZL23rocblas_trmm_lTx_kernelILi16ELb1E19rocblas_complex_numIdES1_KPKS1_KPS1_Ev13rocblas_fill_17rocblas_diagonal_iiT2_lPT3_llSB_llPT4_lli.num_named_barrier, 0
	.set _ZL23rocblas_trmm_lTx_kernelILi16ELb1E19rocblas_complex_numIdES1_KPKS1_KPS1_Ev13rocblas_fill_17rocblas_diagonal_iiT2_lPT3_llSB_llPT4_lli.private_seg_size, 0
	.set _ZL23rocblas_trmm_lTx_kernelILi16ELb1E19rocblas_complex_numIdES1_KPKS1_KPS1_Ev13rocblas_fill_17rocblas_diagonal_iiT2_lPT3_llSB_llPT4_lli.uses_vcc, 1
	.set _ZL23rocblas_trmm_lTx_kernelILi16ELb1E19rocblas_complex_numIdES1_KPKS1_KPS1_Ev13rocblas_fill_17rocblas_diagonal_iiT2_lPT3_llSB_llPT4_lli.uses_flat_scratch, 0
	.set _ZL23rocblas_trmm_lTx_kernelILi16ELb1E19rocblas_complex_numIdES1_KPKS1_KPS1_Ev13rocblas_fill_17rocblas_diagonal_iiT2_lPT3_llSB_llPT4_lli.has_dyn_sized_stack, 0
	.set _ZL23rocblas_trmm_lTx_kernelILi16ELb1E19rocblas_complex_numIdES1_KPKS1_KPS1_Ev13rocblas_fill_17rocblas_diagonal_iiT2_lPT3_llSB_llPT4_lli.has_recursion, 0
	.set _ZL23rocblas_trmm_lTx_kernelILi16ELb1E19rocblas_complex_numIdES1_KPKS1_KPS1_Ev13rocblas_fill_17rocblas_diagonal_iiT2_lPT3_llSB_llPT4_lli.has_indirect_call, 0
	.section	.AMDGPU.csdata,"",@progbits
; Kernel info:
; codeLenInByte = 1904
; TotalNumSgprs: 40
; NumVgprs: 47
; ScratchSize: 0
; MemoryBound: 0
; FloatMode: 240
; IeeeMode: 1
; LDSByteSize: 8192 bytes/workgroup (compile time only)
; SGPRBlocks: 8
; VGPRBlocks: 11
; NumSGPRsForWavesPerEU: 65
; NumVGPRsForWavesPerEU: 47
; Occupancy: 5
; WaveLimiterHint : 1
; COMPUTE_PGM_RSRC2:SCRATCH_EN: 0
; COMPUTE_PGM_RSRC2:USER_SGPR: 6
; COMPUTE_PGM_RSRC2:TRAP_HANDLER: 0
; COMPUTE_PGM_RSRC2:TGID_X_EN: 1
; COMPUTE_PGM_RSRC2:TGID_Y_EN: 0
; COMPUTE_PGM_RSRC2:TGID_Z_EN: 1
; COMPUTE_PGM_RSRC2:TIDIG_COMP_CNT: 1
	.section	.text._ZL23rocblas_trmm_rNx_kernelILi16E19rocblas_complex_numIdEPKS1_KS3_KPS1_Ev13rocblas_fill_17rocblas_diagonal_iiT1_lPT2_llSB_llPT3_lli,"axG",@progbits,_ZL23rocblas_trmm_rNx_kernelILi16E19rocblas_complex_numIdEPKS1_KS3_KPS1_Ev13rocblas_fill_17rocblas_diagonal_iiT1_lPT2_llSB_llPT3_lli,comdat
	.globl	_ZL23rocblas_trmm_rNx_kernelILi16E19rocblas_complex_numIdEPKS1_KS3_KPS1_Ev13rocblas_fill_17rocblas_diagonal_iiT1_lPT2_llSB_llPT3_lli ; -- Begin function _ZL23rocblas_trmm_rNx_kernelILi16E19rocblas_complex_numIdEPKS1_KS3_KPS1_Ev13rocblas_fill_17rocblas_diagonal_iiT1_lPT2_llSB_llPT3_lli
	.p2align	8
	.type	_ZL23rocblas_trmm_rNx_kernelILi16E19rocblas_complex_numIdEPKS1_KS3_KPS1_Ev13rocblas_fill_17rocblas_diagonal_iiT1_lPT2_llSB_llPT3_lli,@function
_ZL23rocblas_trmm_rNx_kernelILi16E19rocblas_complex_numIdEPKS1_KS3_KPS1_Ev13rocblas_fill_17rocblas_diagonal_iiT1_lPT2_llSB_llPT3_lli: ; @_ZL23rocblas_trmm_rNx_kernelILi16E19rocblas_complex_numIdEPKS1_KS3_KPS1_Ev13rocblas_fill_17rocblas_diagonal_iiT1_lPT2_llSB_llPT3_lli
; %bb.0:
	s_load_dwordx16 s[8:23], s[4:5], 0x10
	s_waitcnt lgkmcnt(0)
	s_mul_i32 s0, s11, s7
	s_mul_hi_u32 s1, s10, s7
	s_add_i32 s1, s1, s0
	s_mul_i32 s0, s10, s7
	s_lshl_b64 s[0:1], s[0:1], 4
	s_add_u32 s0, s8, s0
	s_addc_u32 s1, s9, s1
	s_load_dwordx4 s[8:11], s[0:1], 0x0
	s_waitcnt lgkmcnt(0)
	v_cmp_neq_f64_e64 s[0:1], s[8:9], 0
	v_cmp_neq_f64_e64 s[2:3], s[10:11], 0
	s_or_b64 s[0:1], s[0:1], s[2:3]
	s_andn2_b64 vcc, exec, s[0:1]
	s_cbranch_vccnz .LBB186_15
; %bb.1:
	s_load_dwordx4 s[24:27], s[4:5], 0x0
	s_load_dwordx4 s[0:3], s[4:5], 0x50
	s_mov_b32 s28, s7
	s_mov_b32 s29, 0
	s_lshl_b64 s[36:37], s[28:29], 3
	s_add_u32 s18, s18, s36
	s_addc_u32 s19, s19, s37
	s_waitcnt lgkmcnt(0)
	s_add_u32 s0, s0, s36
	s_addc_u32 s1, s1, s37
	s_load_dwordx2 s[34:35], s[18:19], 0x0
	s_mov_b32 s28, s29
	s_load_dwordx2 s[18:19], s[0:1], 0x0
	v_lshlrev_b32_e32 v3, 4, v1
	s_mov_b32 s30, s29
	s_mov_b32 s31, s29
	v_mov_b32_e32 v5, s28
	v_cmp_gt_i32_e32 vcc, s27, v1
	v_cmp_gt_i32_e64 s[0:1], s27, v0
	v_add_lshl_u32 v4, v3, v0, 4
	v_mov_b32_e32 v6, s29
	v_mov_b32_e32 v7, s30
	v_mov_b32_e32 v8, s31
	s_and_b64 s[0:1], vcc, s[0:1]
	v_lshlrev_b32_e32 v2, 4, v0
	ds_write_b128 v4, v[5:8]
	ds_write_b128 v4, v[5:8] offset:4096
	s_and_saveexec_b64 s[28:29], s[0:1]
	s_cbranch_execz .LBB186_3
; %bb.2:
	v_mad_u64_u32 v[5:6], s[0:1], s14, v1, 0
	s_add_u32 s0, s12, s36
	s_addc_u32 s1, s13, s37
	s_load_dwordx2 s[0:1], s[0:1], 0x0
	v_mad_u64_u32 v[6:7], s[12:13], s15, v1, v[6:7]
	s_lshl_b64 s[12:13], s[16:17], 4
	s_waitcnt lgkmcnt(0)
	s_add_u32 s0, s0, s12
	v_lshlrev_b64 v[5:6], 4, v[5:6]
	s_addc_u32 s1, s1, s13
	v_mov_b32_e32 v7, s1
	v_add_co_u32_e64 v5, s[0:1], s0, v5
	v_addc_co_u32_e64 v6, s[0:1], v7, v6, s[0:1]
	v_add_co_u32_e64 v5, s[0:1], v5, v2
	v_addc_co_u32_e64 v6, s[0:1], 0, v6, s[0:1]
	flat_load_dwordx4 v[5:8], v[5:6]
	s_waitcnt vmcnt(0) lgkmcnt(0)
	ds_write2_b64 v4, v[5:6], v[7:8] offset1:1
.LBB186_3:
	s_or_b64 exec, exec, s[28:29]
	s_add_i32 s0, s26, -1
	s_ashr_i32 s1, s0, 31
	s_lshr_b32 s1, s1, 28
	s_add_i32 s0, s0, s1
	s_ashr_i32 s1, s0, 4
	s_and_b32 s0, s0, -16
	s_sub_i32 s0, s26, s0
	s_cmp_ge_i32 s6, s1
	s_cselect_b32 s0, s0, 16
	s_lshl_b32 s6, s6, 4
	v_cmp_gt_i32_e64 s[0:1], s0, v0
	s_ashr_i32 s7, s6, 31
	s_and_b64 s[0:1], vcc, s[0:1]
	s_and_saveexec_b64 s[12:13], s[0:1]
	s_cbranch_execz .LBB186_5
; %bb.4:
	v_mad_u64_u32 v[5:6], s[14:15], s20, v1, 0
	s_lshl_b64 s[14:15], s[22:23], 4
	s_waitcnt lgkmcnt(0)
	s_add_u32 s16, s34, s14
	s_addc_u32 s17, s35, s15
	v_mad_u64_u32 v[6:7], s[14:15], s21, v1, v[6:7]
	s_lshl_b64 s[14:15], s[6:7], 4
	s_add_u32 s14, s16, s14
	v_lshlrev_b64 v[5:6], 4, v[5:6]
	s_addc_u32 s15, s17, s15
	v_mov_b32_e32 v7, s15
	v_add_co_u32_e32 v5, vcc, s14, v5
	v_addc_co_u32_e32 v6, vcc, v7, v6, vcc
	v_add_co_u32_e32 v5, vcc, v5, v2
	v_addc_co_u32_e32 v6, vcc, 0, v6, vcc
	flat_load_dwordx4 v[5:8], v[5:6]
	v_add_u32_e32 v9, 0x1000, v4
	s_waitcnt vmcnt(0) lgkmcnt(0)
	ds_write2_b64 v9, v[5:6], v[7:8] offset1:1
.LBB186_5:
	s_or_b64 exec, exec, s[12:13]
	s_cmpk_eq_i32 s25, 0x84
	s_cselect_b64 s[12:13], -1, 0
	v_cmp_eq_u32_e32 vcc, v1, v0
	s_and_b64 s[14:15], vcc, s[12:13]
	s_and_saveexec_b64 s[12:13], s[14:15]
; %bb.6:
	v_mov_b32_e32 v5, 0
	v_mov_b32_e32 v6, 0x3ff00000
	;; [unrolled: 1-line block ×4, first 2 shown]
	ds_write_b128 v4, v[5:8]
; %bb.7:
	s_or_b64 exec, exec, s[12:13]
	s_cmpk_lg_i32 s24, 0x79
	s_cbranch_scc0 .LBB186_9
; %bb.8:
	v_cmp_lt_u32_e32 vcc, v0, v1
	s_and_b64 s[12:13], vcc, exec
	s_cbranch_execz .LBB186_10
	s_branch .LBB186_11
.LBB186_9:
	s_mov_b64 s[12:13], 0
.LBB186_10:
	v_cmp_gt_u32_e32 vcc, v0, v1
	s_andn2_b64 s[12:13], s[12:13], exec
	s_and_b64 s[14:15], vcc, exec
	s_or_b64 s[12:13], s[12:13], s[14:15]
.LBB186_11:
	s_and_saveexec_b64 s[14:15], s[12:13]
; %bb.12:
	v_mov_b32_e32 v5, 0
	v_mov_b32_e32 v6, v5
	;; [unrolled: 1-line block ×4, first 2 shown]
	ds_write_b128 v4, v[5:8]
; %bb.13:
	s_or_b64 exec, exec, s[14:15]
	s_waitcnt lgkmcnt(0)
	s_barrier
	s_and_saveexec_b64 s[12:13], s[0:1]
	s_cbranch_execz .LBB186_15
; %bb.14:
	v_lshlrev_b32_e32 v0, 4, v3
	ds_read_b128 v[3:6], v0
	ds_read_b128 v[7:10], v2 offset:4096
	ds_read_b128 v[11:14], v2 offset:4352
	ds_read_b128 v[15:18], v0 offset:16
	ds_read_b128 v[19:22], v0 offset:32
	s_load_dwordx2 s[0:1], s[4:5], 0x60
	s_waitcnt lgkmcnt(0)
	v_mul_f64 v[23:24], v[3:4], v[9:10]
	v_mul_f64 v[9:10], v[5:6], v[9:10]
	;; [unrolled: 1-line block ×4, first 2 shown]
	s_lshl_b64 s[0:1], s[0:1], 4
	v_fma_f64 v[5:6], v[5:6], v[7:8], v[23:24]
	ds_read_b128 v[23:26], v2 offset:4608
	ds_read_b128 v[27:30], v2 offset:4864
	;; [unrolled: 1-line block ×3, first 2 shown]
	v_fma_f64 v[39:40], v[3:4], v[7:8], -v[9:10]
	v_fma_f64 v[17:18], v[17:18], v[11:12], v[35:36]
	s_waitcnt lgkmcnt(2)
	v_mul_f64 v[37:38], v[19:20], v[25:26]
	v_mul_f64 v[25:26], v[21:22], v[25:26]
	s_waitcnt lgkmcnt(0)
	v_mul_f64 v[41:42], v[31:32], v[29:30]
	v_fma_f64 v[43:44], v[15:16], v[11:12], -v[13:14]
	v_add_f64 v[35:36], v[5:6], 0
	ds_read_b128 v[3:6], v2 offset:5120
	ds_read_b128 v[7:10], v0 offset:64
	v_mul_f64 v[29:30], v[33:34], v[29:30]
	v_fma_f64 v[21:22], v[21:22], v[23:24], v[37:38]
	v_add_f64 v[37:38], v[39:40], 0
	s_waitcnt lgkmcnt(0)
	v_mul_f64 v[39:40], v[7:8], v[5:6]
	v_fma_f64 v[45:46], v[19:20], v[23:24], -v[25:26]
	v_add_f64 v[35:36], v[35:36], v[17:18]
	v_fma_f64 v[33:34], v[33:34], v[27:28], v[41:42]
	ds_read_b128 v[11:14], v2 offset:5376
	ds_read_b128 v[15:18], v0 offset:80
	v_mul_f64 v[5:6], v[9:10], v[5:6]
	v_add_f64 v[37:38], v[37:38], v[43:44]
	v_fma_f64 v[43:44], v[31:32], v[27:28], -v[29:30]
	s_waitcnt lgkmcnt(0)
	v_mul_f64 v[41:42], v[15:16], v[13:14]
	v_add_f64 v[35:36], v[35:36], v[21:22]
	v_fma_f64 v[9:10], v[9:10], v[3:4], v[39:40]
	ds_read_b128 v[19:22], v2 offset:5632
	ds_read_b128 v[23:26], v0 offset:96
	v_mul_f64 v[13:14], v[17:18], v[13:14]
	v_add_f64 v[37:38], v[37:38], v[45:46]
	v_fma_f64 v[45:46], v[7:8], v[3:4], -v[5:6]
	s_waitcnt lgkmcnt(0)
	v_mul_f64 v[39:40], v[23:24], v[21:22]
	;; [unrolled: 9-line block ×9, first 2 shown]
	v_add_f64 v[35:36], v[35:36], v[25:26]
	v_fma_f64 v[9:10], v[9:10], v[3:4], v[39:40]
	ds_read_b128 v[19:22], v2 offset:7680
	ds_read_b128 v[23:26], v0 offset:224
	v_mul_f64 v[13:14], v[17:18], v[13:14]
	v_fma_f64 v[3:4], v[7:8], v[3:4], -v[5:6]
	v_add_f64 v[37:38], v[37:38], v[45:46]
	s_waitcnt lgkmcnt(0)
	v_mul_f64 v[39:40], v[23:24], v[21:22]
	v_add_f64 v[35:36], v[35:36], v[33:34]
	v_fma_f64 v[5:6], v[17:18], v[11:12], v[41:42]
	ds_read_b128 v[27:30], v2 offset:7936
	ds_read_b128 v[31:34], v0 offset:240
	v_mul_f64 v[17:18], v[25:26], v[21:22]
	v_fma_f64 v[11:12], v[15:16], v[11:12], -v[13:14]
	v_add_f64 v[7:8], v[37:38], v[43:44]
	s_waitcnt lgkmcnt(0)
	v_mul_f64 v[21:22], v[31:32], v[29:30]
	v_add_f64 v[9:10], v[35:36], v[9:10]
	v_fma_f64 v[13:14], v[25:26], v[19:20], v[39:40]
	v_add_f64 v[3:4], v[7:8], v[3:4]
	v_mul_f64 v[7:8], v[33:34], v[29:30]
	v_fma_f64 v[15:16], v[33:34], v[27:28], v[21:22]
	v_add_f64 v[5:6], v[9:10], v[5:6]
	v_fma_f64 v[9:10], v[23:24], v[19:20], -v[17:18]
	v_add_f64 v[3:4], v[3:4], v[11:12]
	v_fma_f64 v[7:8], v[31:32], v[27:28], -v[7:8]
	v_mad_u64_u32 v[11:12], s[4:5], s2, v1, 0
	v_add_f64 v[5:6], v[5:6], v[13:14]
	v_mov_b32_e32 v0, v12
	v_mad_u64_u32 v[0:1], s[2:3], s3, v1, v[0:1]
	v_add_f64 v[3:4], v[3:4], v[9:10]
	s_add_u32 s2, s18, s0
	s_addc_u32 s3, s19, s1
	v_add_f64 v[5:6], v[5:6], v[15:16]
	s_lshl_b64 s[0:1], s[6:7], 4
	v_mov_b32_e32 v12, v0
	s_add_u32 s0, s2, s0
	v_lshlrev_b64 v[0:1], 4, v[11:12]
	v_add_f64 v[3:4], v[3:4], v[7:8]
	s_addc_u32 s1, s3, s1
	v_mov_b32_e32 v11, s1
	v_mul_f64 v[7:8], s[8:9], v[5:6]
	v_mul_f64 v[9:10], s[10:11], v[5:6]
	v_add_co_u32_e32 v0, vcc, s0, v0
	v_addc_co_u32_e32 v1, vcc, v11, v1, vcc
	v_add_co_u32_e32 v0, vcc, v0, v2
	v_fma_f64 v[5:6], s[10:11], v[3:4], v[7:8]
	v_fma_f64 v[3:4], s[8:9], v[3:4], -v[9:10]
	v_addc_co_u32_e32 v1, vcc, 0, v1, vcc
	flat_store_dwordx4 v[0:1], v[3:6]
.LBB186_15:
	s_endpgm
	.section	.rodata,"a",@progbits
	.p2align	6, 0x0
	.amdhsa_kernel _ZL23rocblas_trmm_rNx_kernelILi16E19rocblas_complex_numIdEPKS1_KS3_KPS1_Ev13rocblas_fill_17rocblas_diagonal_iiT1_lPT2_llSB_llPT3_lli
		.amdhsa_group_segment_fixed_size 8192
		.amdhsa_private_segment_fixed_size 0
		.amdhsa_kernarg_size 108
		.amdhsa_user_sgpr_count 6
		.amdhsa_user_sgpr_private_segment_buffer 1
		.amdhsa_user_sgpr_dispatch_ptr 0
		.amdhsa_user_sgpr_queue_ptr 0
		.amdhsa_user_sgpr_kernarg_segment_ptr 1
		.amdhsa_user_sgpr_dispatch_id 0
		.amdhsa_user_sgpr_flat_scratch_init 0
		.amdhsa_user_sgpr_private_segment_size 0
		.amdhsa_uses_dynamic_stack 0
		.amdhsa_system_sgpr_private_segment_wavefront_offset 0
		.amdhsa_system_sgpr_workgroup_id_x 1
		.amdhsa_system_sgpr_workgroup_id_y 0
		.amdhsa_system_sgpr_workgroup_id_z 1
		.amdhsa_system_sgpr_workgroup_info 0
		.amdhsa_system_vgpr_workitem_id 1
		.amdhsa_next_free_vgpr 47
		.amdhsa_next_free_sgpr 61
		.amdhsa_reserve_vcc 1
		.amdhsa_reserve_flat_scratch 0
		.amdhsa_float_round_mode_32 0
		.amdhsa_float_round_mode_16_64 0
		.amdhsa_float_denorm_mode_32 3
		.amdhsa_float_denorm_mode_16_64 3
		.amdhsa_dx10_clamp 1
		.amdhsa_ieee_mode 1
		.amdhsa_fp16_overflow 0
		.amdhsa_exception_fp_ieee_invalid_op 0
		.amdhsa_exception_fp_denorm_src 0
		.amdhsa_exception_fp_ieee_div_zero 0
		.amdhsa_exception_fp_ieee_overflow 0
		.amdhsa_exception_fp_ieee_underflow 0
		.amdhsa_exception_fp_ieee_inexact 0
		.amdhsa_exception_int_div_zero 0
	.end_amdhsa_kernel
	.section	.text._ZL23rocblas_trmm_rNx_kernelILi16E19rocblas_complex_numIdEPKS1_KS3_KPS1_Ev13rocblas_fill_17rocblas_diagonal_iiT1_lPT2_llSB_llPT3_lli,"axG",@progbits,_ZL23rocblas_trmm_rNx_kernelILi16E19rocblas_complex_numIdEPKS1_KS3_KPS1_Ev13rocblas_fill_17rocblas_diagonal_iiT1_lPT2_llSB_llPT3_lli,comdat
.Lfunc_end186:
	.size	_ZL23rocblas_trmm_rNx_kernelILi16E19rocblas_complex_numIdEPKS1_KS3_KPS1_Ev13rocblas_fill_17rocblas_diagonal_iiT1_lPT2_llSB_llPT3_lli, .Lfunc_end186-_ZL23rocblas_trmm_rNx_kernelILi16E19rocblas_complex_numIdEPKS1_KS3_KPS1_Ev13rocblas_fill_17rocblas_diagonal_iiT1_lPT2_llSB_llPT3_lli
                                        ; -- End function
	.set _ZL23rocblas_trmm_rNx_kernelILi16E19rocblas_complex_numIdEPKS1_KS3_KPS1_Ev13rocblas_fill_17rocblas_diagonal_iiT1_lPT2_llSB_llPT3_lli.num_vgpr, 47
	.set _ZL23rocblas_trmm_rNx_kernelILi16E19rocblas_complex_numIdEPKS1_KS3_KPS1_Ev13rocblas_fill_17rocblas_diagonal_iiT1_lPT2_llSB_llPT3_lli.num_agpr, 0
	.set _ZL23rocblas_trmm_rNx_kernelILi16E19rocblas_complex_numIdEPKS1_KS3_KPS1_Ev13rocblas_fill_17rocblas_diagonal_iiT1_lPT2_llSB_llPT3_lli.numbered_sgpr, 38
	.set _ZL23rocblas_trmm_rNx_kernelILi16E19rocblas_complex_numIdEPKS1_KS3_KPS1_Ev13rocblas_fill_17rocblas_diagonal_iiT1_lPT2_llSB_llPT3_lli.num_named_barrier, 0
	.set _ZL23rocblas_trmm_rNx_kernelILi16E19rocblas_complex_numIdEPKS1_KS3_KPS1_Ev13rocblas_fill_17rocblas_diagonal_iiT1_lPT2_llSB_llPT3_lli.private_seg_size, 0
	.set _ZL23rocblas_trmm_rNx_kernelILi16E19rocblas_complex_numIdEPKS1_KS3_KPS1_Ev13rocblas_fill_17rocblas_diagonal_iiT1_lPT2_llSB_llPT3_lli.uses_vcc, 1
	.set _ZL23rocblas_trmm_rNx_kernelILi16E19rocblas_complex_numIdEPKS1_KS3_KPS1_Ev13rocblas_fill_17rocblas_diagonal_iiT1_lPT2_llSB_llPT3_lli.uses_flat_scratch, 0
	.set _ZL23rocblas_trmm_rNx_kernelILi16E19rocblas_complex_numIdEPKS1_KS3_KPS1_Ev13rocblas_fill_17rocblas_diagonal_iiT1_lPT2_llSB_llPT3_lli.has_dyn_sized_stack, 0
	.set _ZL23rocblas_trmm_rNx_kernelILi16E19rocblas_complex_numIdEPKS1_KS3_KPS1_Ev13rocblas_fill_17rocblas_diagonal_iiT1_lPT2_llSB_llPT3_lli.has_recursion, 0
	.set _ZL23rocblas_trmm_rNx_kernelILi16E19rocblas_complex_numIdEPKS1_KS3_KPS1_Ev13rocblas_fill_17rocblas_diagonal_iiT1_lPT2_llSB_llPT3_lli.has_indirect_call, 0
	.section	.AMDGPU.csdata,"",@progbits
; Kernel info:
; codeLenInByte = 1872
; TotalNumSgprs: 42
; NumVgprs: 47
; ScratchSize: 0
; MemoryBound: 0
; FloatMode: 240
; IeeeMode: 1
; LDSByteSize: 8192 bytes/workgroup (compile time only)
; SGPRBlocks: 8
; VGPRBlocks: 11
; NumSGPRsForWavesPerEU: 65
; NumVGPRsForWavesPerEU: 47
; Occupancy: 5
; WaveLimiterHint : 1
; COMPUTE_PGM_RSRC2:SCRATCH_EN: 0
; COMPUTE_PGM_RSRC2:USER_SGPR: 6
; COMPUTE_PGM_RSRC2:TRAP_HANDLER: 0
; COMPUTE_PGM_RSRC2:TGID_X_EN: 1
; COMPUTE_PGM_RSRC2:TGID_Y_EN: 0
; COMPUTE_PGM_RSRC2:TGID_Z_EN: 1
; COMPUTE_PGM_RSRC2:TIDIG_COMP_CNT: 1
	.section	.text._ZL23rocblas_trmm_rNx_kernelILi16E19rocblas_complex_numIdES1_KPKS1_KPS1_Ev13rocblas_fill_17rocblas_diagonal_iiT1_lPT2_llSB_llPT3_lli,"axG",@progbits,_ZL23rocblas_trmm_rNx_kernelILi16E19rocblas_complex_numIdES1_KPKS1_KPS1_Ev13rocblas_fill_17rocblas_diagonal_iiT1_lPT2_llSB_llPT3_lli,comdat
	.globl	_ZL23rocblas_trmm_rNx_kernelILi16E19rocblas_complex_numIdES1_KPKS1_KPS1_Ev13rocblas_fill_17rocblas_diagonal_iiT1_lPT2_llSB_llPT3_lli ; -- Begin function _ZL23rocblas_trmm_rNx_kernelILi16E19rocblas_complex_numIdES1_KPKS1_KPS1_Ev13rocblas_fill_17rocblas_diagonal_iiT1_lPT2_llSB_llPT3_lli
	.p2align	8
	.type	_ZL23rocblas_trmm_rNx_kernelILi16E19rocblas_complex_numIdES1_KPKS1_KPS1_Ev13rocblas_fill_17rocblas_diagonal_iiT1_lPT2_llSB_llPT3_lli,@function
_ZL23rocblas_trmm_rNx_kernelILi16E19rocblas_complex_numIdES1_KPKS1_KPS1_Ev13rocblas_fill_17rocblas_diagonal_iiT1_lPT2_llSB_llPT3_lli: ; @_ZL23rocblas_trmm_rNx_kernelILi16E19rocblas_complex_numIdES1_KPKS1_KPS1_Ev13rocblas_fill_17rocblas_diagonal_iiT1_lPT2_llSB_llPT3_lli
; %bb.0:
	s_load_dwordx4 s[24:27], s[4:5], 0x10
	s_waitcnt lgkmcnt(0)
	v_cmp_neq_f64_e64 s[2:3], s[24:25], 0
	v_cmp_neq_f64_e64 s[8:9], s[26:27], 0
	s_or_b64 s[2:3], s[2:3], s[8:9]
	s_andn2_b64 vcc, exec, s[2:3]
	s_cbranch_vccnz .LBB187_15
; %bb.1:
	s_load_dwordx16 s[8:23], s[4:5], 0x28
	s_load_dwordx4 s[28:31], s[4:5], 0x0
	s_mov_b32 s0, s7
	s_mov_b32 s1, 0
	s_lshl_b64 s[36:37], s[0:1], 3
	s_waitcnt lgkmcnt(0)
	s_add_u32 s2, s14, s36
	s_addc_u32 s3, s15, s37
	s_load_dwordx2 s[34:35], s[2:3], 0x0
	s_add_u32 s2, s20, s36
	s_addc_u32 s3, s21, s37
	s_load_dwordx2 s[14:15], s[2:3], 0x0
	s_mov_b32 s3, s1
	s_mov_b32 s0, s1
	;; [unrolled: 1-line block ×3, first 2 shown]
	v_mov_b32_e32 v8, s3
	v_lshlrev_b32_e32 v3, 4, v1
	v_mov_b32_e32 v7, s2
	v_mov_b32_e32 v6, s1
	;; [unrolled: 1-line block ×3, first 2 shown]
	v_cmp_gt_i32_e32 vcc, s31, v1
	v_cmp_gt_i32_e64 s[0:1], s31, v0
	v_add_lshl_u32 v4, v3, v0, 4
	s_and_b64 s[0:1], vcc, s[0:1]
	v_lshlrev_b32_e32 v2, 4, v0
	ds_write_b128 v4, v[5:8]
	ds_write_b128 v4, v[5:8] offset:4096
	s_and_saveexec_b64 s[2:3], s[0:1]
	s_cbranch_execz .LBB187_3
; %bb.2:
	v_mad_u64_u32 v[5:6], s[0:1], s10, v1, 0
	s_add_u32 s0, s8, s36
	s_addc_u32 s1, s9, s37
	s_load_dwordx2 s[0:1], s[0:1], 0x0
	v_mad_u64_u32 v[6:7], s[8:9], s11, v1, v[6:7]
	s_lshl_b64 s[8:9], s[12:13], 4
	s_waitcnt lgkmcnt(0)
	s_add_u32 s0, s0, s8
	v_lshlrev_b64 v[5:6], 4, v[5:6]
	s_addc_u32 s1, s1, s9
	v_mov_b32_e32 v7, s1
	v_add_co_u32_e64 v5, s[0:1], s0, v5
	v_addc_co_u32_e64 v6, s[0:1], v7, v6, s[0:1]
	v_add_co_u32_e64 v5, s[0:1], v5, v2
	v_addc_co_u32_e64 v6, s[0:1], 0, v6, s[0:1]
	flat_load_dwordx4 v[5:8], v[5:6]
	s_waitcnt vmcnt(0) lgkmcnt(0)
	ds_write2_b64 v4, v[5:6], v[7:8] offset1:1
.LBB187_3:
	s_or_b64 exec, exec, s[2:3]
	s_add_i32 s0, s30, -1
	s_ashr_i32 s1, s0, 31
	s_lshr_b32 s1, s1, 28
	s_add_i32 s0, s0, s1
	s_ashr_i32 s1, s0, 4
	s_and_b32 s0, s0, -16
	s_sub_i32 s0, s30, s0
	s_cmp_ge_i32 s6, s1
	s_cselect_b32 s0, s0, 16
	s_lshl_b32 s2, s6, 4
	v_cmp_gt_i32_e64 s[0:1], s0, v0
	s_ashr_i32 s3, s2, 31
	s_and_b64 s[0:1], vcc, s[0:1]
	s_and_saveexec_b64 s[6:7], s[0:1]
	s_cbranch_execz .LBB187_5
; %bb.4:
	v_mad_u64_u32 v[5:6], s[8:9], s16, v1, 0
	s_lshl_b64 s[8:9], s[18:19], 4
	s_waitcnt lgkmcnt(0)
	s_add_u32 s10, s34, s8
	s_addc_u32 s11, s35, s9
	v_mad_u64_u32 v[6:7], s[8:9], s17, v1, v[6:7]
	s_lshl_b64 s[8:9], s[2:3], 4
	s_add_u32 s8, s10, s8
	v_lshlrev_b64 v[5:6], 4, v[5:6]
	s_addc_u32 s9, s11, s9
	v_mov_b32_e32 v7, s9
	v_add_co_u32_e32 v5, vcc, s8, v5
	v_addc_co_u32_e32 v6, vcc, v7, v6, vcc
	v_add_co_u32_e32 v5, vcc, v5, v2
	v_addc_co_u32_e32 v6, vcc, 0, v6, vcc
	flat_load_dwordx4 v[5:8], v[5:6]
	v_add_u32_e32 v9, 0x1000, v4
	s_waitcnt vmcnt(0) lgkmcnt(0)
	ds_write2_b64 v9, v[5:6], v[7:8] offset1:1
.LBB187_5:
	s_or_b64 exec, exec, s[6:7]
	s_cmpk_eq_i32 s29, 0x84
	s_cselect_b64 s[6:7], -1, 0
	v_cmp_eq_u32_e32 vcc, v1, v0
	s_and_b64 s[8:9], vcc, s[6:7]
	s_and_saveexec_b64 s[6:7], s[8:9]
; %bb.6:
	v_mov_b32_e32 v5, 0
	v_mov_b32_e32 v6, 0x3ff00000
	;; [unrolled: 1-line block ×4, first 2 shown]
	ds_write_b128 v4, v[5:8]
; %bb.7:
	s_or_b64 exec, exec, s[6:7]
	s_cmpk_lg_i32 s28, 0x79
	s_cbranch_scc0 .LBB187_9
; %bb.8:
	v_cmp_lt_u32_e32 vcc, v0, v1
	s_and_b64 s[6:7], vcc, exec
	s_cbranch_execz .LBB187_10
	s_branch .LBB187_11
.LBB187_9:
	s_mov_b64 s[6:7], 0
.LBB187_10:
	v_cmp_gt_u32_e32 vcc, v0, v1
	s_andn2_b64 s[6:7], s[6:7], exec
	s_and_b64 s[8:9], vcc, exec
	s_or_b64 s[6:7], s[6:7], s[8:9]
.LBB187_11:
	s_and_saveexec_b64 s[8:9], s[6:7]
; %bb.12:
	v_mov_b32_e32 v5, 0
	v_mov_b32_e32 v6, v5
	;; [unrolled: 1-line block ×4, first 2 shown]
	ds_write_b128 v4, v[5:8]
; %bb.13:
	s_or_b64 exec, exec, s[8:9]
	s_waitcnt lgkmcnt(0)
	s_barrier
	s_and_saveexec_b64 s[6:7], s[0:1]
	s_cbranch_execz .LBB187_15
; %bb.14:
	v_lshlrev_b32_e32 v0, 4, v3
	ds_read_b128 v[3:6], v0
	ds_read_b128 v[7:10], v2 offset:4096
	ds_read_b128 v[11:14], v2 offset:4352
	ds_read_b128 v[15:18], v0 offset:16
	ds_read_b128 v[19:22], v0 offset:32
	s_load_dwordx2 s[0:1], s[4:5], 0x68
	s_waitcnt lgkmcnt(0)
	v_mul_f64 v[23:24], v[3:4], v[9:10]
	v_mul_f64 v[9:10], v[5:6], v[9:10]
	;; [unrolled: 1-line block ×4, first 2 shown]
	s_lshl_b64 s[0:1], s[0:1], 4
	v_fma_f64 v[5:6], v[5:6], v[7:8], v[23:24]
	ds_read_b128 v[23:26], v2 offset:4608
	ds_read_b128 v[27:30], v2 offset:4864
	;; [unrolled: 1-line block ×3, first 2 shown]
	v_fma_f64 v[39:40], v[3:4], v[7:8], -v[9:10]
	v_fma_f64 v[17:18], v[17:18], v[11:12], v[35:36]
	s_waitcnt lgkmcnt(2)
	v_mul_f64 v[37:38], v[19:20], v[25:26]
	v_mul_f64 v[25:26], v[21:22], v[25:26]
	s_waitcnt lgkmcnt(0)
	v_mul_f64 v[41:42], v[31:32], v[29:30]
	v_fma_f64 v[43:44], v[15:16], v[11:12], -v[13:14]
	v_add_f64 v[35:36], v[5:6], 0
	ds_read_b128 v[3:6], v2 offset:5120
	ds_read_b128 v[7:10], v0 offset:64
	v_mul_f64 v[29:30], v[33:34], v[29:30]
	v_fma_f64 v[21:22], v[21:22], v[23:24], v[37:38]
	v_add_f64 v[37:38], v[39:40], 0
	s_waitcnt lgkmcnt(0)
	v_mul_f64 v[39:40], v[7:8], v[5:6]
	v_fma_f64 v[45:46], v[19:20], v[23:24], -v[25:26]
	v_add_f64 v[35:36], v[35:36], v[17:18]
	v_fma_f64 v[33:34], v[33:34], v[27:28], v[41:42]
	ds_read_b128 v[11:14], v2 offset:5376
	ds_read_b128 v[15:18], v0 offset:80
	v_mul_f64 v[5:6], v[9:10], v[5:6]
	v_add_f64 v[37:38], v[37:38], v[43:44]
	v_fma_f64 v[43:44], v[31:32], v[27:28], -v[29:30]
	s_waitcnt lgkmcnt(0)
	v_mul_f64 v[41:42], v[15:16], v[13:14]
	v_add_f64 v[35:36], v[35:36], v[21:22]
	v_fma_f64 v[9:10], v[9:10], v[3:4], v[39:40]
	ds_read_b128 v[19:22], v2 offset:5632
	ds_read_b128 v[23:26], v0 offset:96
	v_mul_f64 v[13:14], v[17:18], v[13:14]
	v_add_f64 v[37:38], v[37:38], v[45:46]
	v_fma_f64 v[45:46], v[7:8], v[3:4], -v[5:6]
	s_waitcnt lgkmcnt(0)
	v_mul_f64 v[39:40], v[23:24], v[21:22]
	;; [unrolled: 9-line block ×9, first 2 shown]
	v_add_f64 v[35:36], v[35:36], v[25:26]
	v_fma_f64 v[9:10], v[9:10], v[3:4], v[39:40]
	ds_read_b128 v[19:22], v2 offset:7680
	ds_read_b128 v[23:26], v0 offset:224
	v_mul_f64 v[13:14], v[17:18], v[13:14]
	v_fma_f64 v[3:4], v[7:8], v[3:4], -v[5:6]
	v_add_f64 v[37:38], v[37:38], v[45:46]
	s_waitcnt lgkmcnt(0)
	v_mul_f64 v[39:40], v[23:24], v[21:22]
	v_add_f64 v[35:36], v[35:36], v[33:34]
	v_fma_f64 v[5:6], v[17:18], v[11:12], v[41:42]
	ds_read_b128 v[27:30], v2 offset:7936
	ds_read_b128 v[31:34], v0 offset:240
	v_mul_f64 v[17:18], v[25:26], v[21:22]
	v_fma_f64 v[11:12], v[15:16], v[11:12], -v[13:14]
	v_add_f64 v[7:8], v[37:38], v[43:44]
	s_waitcnt lgkmcnt(0)
	v_mul_f64 v[21:22], v[31:32], v[29:30]
	v_add_f64 v[9:10], v[35:36], v[9:10]
	v_fma_f64 v[13:14], v[25:26], v[19:20], v[39:40]
	v_add_f64 v[3:4], v[7:8], v[3:4]
	v_mul_f64 v[7:8], v[33:34], v[29:30]
	v_fma_f64 v[15:16], v[33:34], v[27:28], v[21:22]
	v_add_f64 v[5:6], v[9:10], v[5:6]
	v_fma_f64 v[9:10], v[23:24], v[19:20], -v[17:18]
	v_add_f64 v[3:4], v[3:4], v[11:12]
	v_fma_f64 v[7:8], v[31:32], v[27:28], -v[7:8]
	v_mad_u64_u32 v[11:12], s[4:5], s22, v1, 0
	v_add_f64 v[5:6], v[5:6], v[13:14]
	v_mov_b32_e32 v0, v12
	v_mad_u64_u32 v[0:1], s[4:5], s23, v1, v[0:1]
	v_add_f64 v[3:4], v[3:4], v[9:10]
	s_add_u32 s4, s14, s0
	s_addc_u32 s5, s15, s1
	v_add_f64 v[5:6], v[5:6], v[15:16]
	s_lshl_b64 s[0:1], s[2:3], 4
	v_mov_b32_e32 v12, v0
	s_add_u32 s0, s4, s0
	v_lshlrev_b64 v[0:1], 4, v[11:12]
	v_add_f64 v[3:4], v[3:4], v[7:8]
	s_addc_u32 s1, s5, s1
	v_mov_b32_e32 v11, s1
	v_mul_f64 v[7:8], s[24:25], v[5:6]
	v_mul_f64 v[9:10], s[26:27], v[5:6]
	v_add_co_u32_e32 v0, vcc, s0, v0
	v_addc_co_u32_e32 v1, vcc, v11, v1, vcc
	v_add_co_u32_e32 v0, vcc, v0, v2
	v_fma_f64 v[5:6], s[26:27], v[3:4], v[7:8]
	v_fma_f64 v[3:4], s[24:25], v[3:4], -v[9:10]
	v_addc_co_u32_e32 v1, vcc, 0, v1, vcc
	flat_store_dwordx4 v[0:1], v[3:6]
.LBB187_15:
	s_endpgm
	.section	.rodata,"a",@progbits
	.p2align	6, 0x0
	.amdhsa_kernel _ZL23rocblas_trmm_rNx_kernelILi16E19rocblas_complex_numIdES1_KPKS1_KPS1_Ev13rocblas_fill_17rocblas_diagonal_iiT1_lPT2_llSB_llPT3_lli
		.amdhsa_group_segment_fixed_size 8192
		.amdhsa_private_segment_fixed_size 0
		.amdhsa_kernarg_size 116
		.amdhsa_user_sgpr_count 6
		.amdhsa_user_sgpr_private_segment_buffer 1
		.amdhsa_user_sgpr_dispatch_ptr 0
		.amdhsa_user_sgpr_queue_ptr 0
		.amdhsa_user_sgpr_kernarg_segment_ptr 1
		.amdhsa_user_sgpr_dispatch_id 0
		.amdhsa_user_sgpr_flat_scratch_init 0
		.amdhsa_user_sgpr_private_segment_size 0
		.amdhsa_uses_dynamic_stack 0
		.amdhsa_system_sgpr_private_segment_wavefront_offset 0
		.amdhsa_system_sgpr_workgroup_id_x 1
		.amdhsa_system_sgpr_workgroup_id_y 0
		.amdhsa_system_sgpr_workgroup_id_z 1
		.amdhsa_system_sgpr_workgroup_info 0
		.amdhsa_system_vgpr_workitem_id 1
		.amdhsa_next_free_vgpr 47
		.amdhsa_next_free_sgpr 61
		.amdhsa_reserve_vcc 1
		.amdhsa_reserve_flat_scratch 0
		.amdhsa_float_round_mode_32 0
		.amdhsa_float_round_mode_16_64 0
		.amdhsa_float_denorm_mode_32 3
		.amdhsa_float_denorm_mode_16_64 3
		.amdhsa_dx10_clamp 1
		.amdhsa_ieee_mode 1
		.amdhsa_fp16_overflow 0
		.amdhsa_exception_fp_ieee_invalid_op 0
		.amdhsa_exception_fp_denorm_src 0
		.amdhsa_exception_fp_ieee_div_zero 0
		.amdhsa_exception_fp_ieee_overflow 0
		.amdhsa_exception_fp_ieee_underflow 0
		.amdhsa_exception_fp_ieee_inexact 0
		.amdhsa_exception_int_div_zero 0
	.end_amdhsa_kernel
	.section	.text._ZL23rocblas_trmm_rNx_kernelILi16E19rocblas_complex_numIdES1_KPKS1_KPS1_Ev13rocblas_fill_17rocblas_diagonal_iiT1_lPT2_llSB_llPT3_lli,"axG",@progbits,_ZL23rocblas_trmm_rNx_kernelILi16E19rocblas_complex_numIdES1_KPKS1_KPS1_Ev13rocblas_fill_17rocblas_diagonal_iiT1_lPT2_llSB_llPT3_lli,comdat
.Lfunc_end187:
	.size	_ZL23rocblas_trmm_rNx_kernelILi16E19rocblas_complex_numIdES1_KPKS1_KPS1_Ev13rocblas_fill_17rocblas_diagonal_iiT1_lPT2_llSB_llPT3_lli, .Lfunc_end187-_ZL23rocblas_trmm_rNx_kernelILi16E19rocblas_complex_numIdES1_KPKS1_KPS1_Ev13rocblas_fill_17rocblas_diagonal_iiT1_lPT2_llSB_llPT3_lli
                                        ; -- End function
	.set _ZL23rocblas_trmm_rNx_kernelILi16E19rocblas_complex_numIdES1_KPKS1_KPS1_Ev13rocblas_fill_17rocblas_diagonal_iiT1_lPT2_llSB_llPT3_lli.num_vgpr, 47
	.set _ZL23rocblas_trmm_rNx_kernelILi16E19rocblas_complex_numIdES1_KPKS1_KPS1_Ev13rocblas_fill_17rocblas_diagonal_iiT1_lPT2_llSB_llPT3_lli.num_agpr, 0
	.set _ZL23rocblas_trmm_rNx_kernelILi16E19rocblas_complex_numIdES1_KPKS1_KPS1_Ev13rocblas_fill_17rocblas_diagonal_iiT1_lPT2_llSB_llPT3_lli.numbered_sgpr, 38
	.set _ZL23rocblas_trmm_rNx_kernelILi16E19rocblas_complex_numIdES1_KPKS1_KPS1_Ev13rocblas_fill_17rocblas_diagonal_iiT1_lPT2_llSB_llPT3_lli.num_named_barrier, 0
	.set _ZL23rocblas_trmm_rNx_kernelILi16E19rocblas_complex_numIdES1_KPKS1_KPS1_Ev13rocblas_fill_17rocblas_diagonal_iiT1_lPT2_llSB_llPT3_lli.private_seg_size, 0
	.set _ZL23rocblas_trmm_rNx_kernelILi16E19rocblas_complex_numIdES1_KPKS1_KPS1_Ev13rocblas_fill_17rocblas_diagonal_iiT1_lPT2_llSB_llPT3_lli.uses_vcc, 1
	.set _ZL23rocblas_trmm_rNx_kernelILi16E19rocblas_complex_numIdES1_KPKS1_KPS1_Ev13rocblas_fill_17rocblas_diagonal_iiT1_lPT2_llSB_llPT3_lli.uses_flat_scratch, 0
	.set _ZL23rocblas_trmm_rNx_kernelILi16E19rocblas_complex_numIdES1_KPKS1_KPS1_Ev13rocblas_fill_17rocblas_diagonal_iiT1_lPT2_llSB_llPT3_lli.has_dyn_sized_stack, 0
	.set _ZL23rocblas_trmm_rNx_kernelILi16E19rocblas_complex_numIdES1_KPKS1_KPS1_Ev13rocblas_fill_17rocblas_diagonal_iiT1_lPT2_llSB_llPT3_lli.has_recursion, 0
	.set _ZL23rocblas_trmm_rNx_kernelILi16E19rocblas_complex_numIdES1_KPKS1_KPS1_Ev13rocblas_fill_17rocblas_diagonal_iiT1_lPT2_llSB_llPT3_lli.has_indirect_call, 0
	.section	.AMDGPU.csdata,"",@progbits
; Kernel info:
; codeLenInByte = 1832
; TotalNumSgprs: 42
; NumVgprs: 47
; ScratchSize: 0
; MemoryBound: 0
; FloatMode: 240
; IeeeMode: 1
; LDSByteSize: 8192 bytes/workgroup (compile time only)
; SGPRBlocks: 8
; VGPRBlocks: 11
; NumSGPRsForWavesPerEU: 65
; NumVGPRsForWavesPerEU: 47
; Occupancy: 5
; WaveLimiterHint : 1
; COMPUTE_PGM_RSRC2:SCRATCH_EN: 0
; COMPUTE_PGM_RSRC2:USER_SGPR: 6
; COMPUTE_PGM_RSRC2:TRAP_HANDLER: 0
; COMPUTE_PGM_RSRC2:TGID_X_EN: 1
; COMPUTE_PGM_RSRC2:TGID_Y_EN: 0
; COMPUTE_PGM_RSRC2:TGID_Z_EN: 1
; COMPUTE_PGM_RSRC2:TIDIG_COMP_CNT: 1
	.section	.text._ZL23rocblas_trmm_rTx_kernelILi16ELb0E19rocblas_complex_numIdEPKS1_KS3_KPS1_Ev13rocblas_fill_17rocblas_diagonal_iiT2_lPT3_llSB_llPT4_lli,"axG",@progbits,_ZL23rocblas_trmm_rTx_kernelILi16ELb0E19rocblas_complex_numIdEPKS1_KS3_KPS1_Ev13rocblas_fill_17rocblas_diagonal_iiT2_lPT3_llSB_llPT4_lli,comdat
	.globl	_ZL23rocblas_trmm_rTx_kernelILi16ELb0E19rocblas_complex_numIdEPKS1_KS3_KPS1_Ev13rocblas_fill_17rocblas_diagonal_iiT2_lPT3_llSB_llPT4_lli ; -- Begin function _ZL23rocblas_trmm_rTx_kernelILi16ELb0E19rocblas_complex_numIdEPKS1_KS3_KPS1_Ev13rocblas_fill_17rocblas_diagonal_iiT2_lPT3_llSB_llPT4_lli
	.p2align	8
	.type	_ZL23rocblas_trmm_rTx_kernelILi16ELb0E19rocblas_complex_numIdEPKS1_KS3_KPS1_Ev13rocblas_fill_17rocblas_diagonal_iiT2_lPT3_llSB_llPT4_lli,@function
_ZL23rocblas_trmm_rTx_kernelILi16ELb0E19rocblas_complex_numIdEPKS1_KS3_KPS1_Ev13rocblas_fill_17rocblas_diagonal_iiT2_lPT3_llSB_llPT4_lli: ; @_ZL23rocblas_trmm_rTx_kernelILi16ELb0E19rocblas_complex_numIdEPKS1_KS3_KPS1_Ev13rocblas_fill_17rocblas_diagonal_iiT2_lPT3_llSB_llPT4_lli
; %bb.0:
	s_load_dwordx16 s[8:23], s[4:5], 0x10
	s_waitcnt lgkmcnt(0)
	s_mul_i32 s0, s11, s7
	s_mul_hi_u32 s1, s10, s7
	s_add_i32 s1, s1, s0
	s_mul_i32 s0, s10, s7
	s_lshl_b64 s[0:1], s[0:1], 4
	s_add_u32 s0, s8, s0
	s_addc_u32 s1, s9, s1
	s_load_dwordx4 s[8:11], s[0:1], 0x0
	s_waitcnt lgkmcnt(0)
	v_cmp_neq_f64_e64 s[0:1], s[8:9], 0
	v_cmp_neq_f64_e64 s[2:3], s[10:11], 0
	s_or_b64 s[0:1], s[0:1], s[2:3]
	s_andn2_b64 vcc, exec, s[0:1]
	s_cbranch_vccnz .LBB188_15
; %bb.1:
	s_load_dwordx4 s[24:27], s[4:5], 0x0
	s_load_dwordx4 s[0:3], s[4:5], 0x50
	s_mov_b32 s28, s7
	s_mov_b32 s29, 0
	s_lshl_b64 s[36:37], s[28:29], 3
	s_add_u32 s18, s18, s36
	s_addc_u32 s19, s19, s37
	s_waitcnt lgkmcnt(0)
	s_add_u32 s0, s0, s36
	s_addc_u32 s1, s1, s37
	s_load_dwordx2 s[34:35], s[18:19], 0x0
	s_mov_b32 s28, s29
	s_load_dwordx2 s[18:19], s[0:1], 0x0
	v_lshlrev_b32_e32 v3, 4, v1
	s_mov_b32 s30, s29
	s_mov_b32 s31, s29
	v_mov_b32_e32 v5, s28
	v_cmp_gt_i32_e32 vcc, s27, v1
	v_cmp_gt_i32_e64 s[0:1], s27, v0
	v_add_lshl_u32 v4, v3, v0, 4
	v_mov_b32_e32 v6, s29
	v_mov_b32_e32 v7, s30
	;; [unrolled: 1-line block ×3, first 2 shown]
	s_and_b64 s[0:1], vcc, s[0:1]
	v_lshlrev_b32_e32 v2, 4, v0
	ds_write_b128 v4, v[5:8]
	ds_write_b128 v4, v[5:8] offset:4096
	s_and_saveexec_b64 s[28:29], s[0:1]
	s_cbranch_execz .LBB188_3
; %bb.2:
	v_mad_u64_u32 v[5:6], s[0:1], s14, v1, 0
	s_add_u32 s0, s12, s36
	s_addc_u32 s1, s13, s37
	s_load_dwordx2 s[0:1], s[0:1], 0x0
	v_mad_u64_u32 v[6:7], s[12:13], s15, v1, v[6:7]
	s_lshl_b64 s[12:13], s[16:17], 4
	s_waitcnt lgkmcnt(0)
	s_add_u32 s0, s0, s12
	v_lshlrev_b64 v[5:6], 4, v[5:6]
	s_addc_u32 s1, s1, s13
	v_mov_b32_e32 v7, s1
	v_add_co_u32_e64 v5, s[0:1], s0, v5
	v_addc_co_u32_e64 v6, s[0:1], v7, v6, s[0:1]
	v_add_co_u32_e64 v5, s[0:1], v5, v2
	v_addc_co_u32_e64 v6, s[0:1], 0, v6, s[0:1]
	flat_load_dwordx4 v[5:8], v[5:6]
	s_waitcnt vmcnt(0) lgkmcnt(0)
	ds_write2_b64 v4, v[5:6], v[7:8] offset1:1
.LBB188_3:
	s_or_b64 exec, exec, s[28:29]
	s_add_i32 s0, s26, -1
	s_ashr_i32 s1, s0, 31
	s_lshr_b32 s1, s1, 28
	s_add_i32 s0, s0, s1
	s_ashr_i32 s1, s0, 4
	s_and_b32 s0, s0, -16
	s_sub_i32 s0, s26, s0
	s_cmp_ge_i32 s6, s1
	s_cselect_b32 s0, s0, 16
	s_lshl_b32 s6, s6, 4
	v_cmp_gt_i32_e64 s[0:1], s0, v0
	s_ashr_i32 s7, s6, 31
	s_and_b64 s[0:1], vcc, s[0:1]
	s_and_saveexec_b64 s[12:13], s[0:1]
	s_cbranch_execz .LBB188_5
; %bb.4:
	v_mad_u64_u32 v[5:6], s[14:15], s20, v1, 0
	s_lshl_b64 s[14:15], s[22:23], 4
	s_waitcnt lgkmcnt(0)
	s_add_u32 s16, s34, s14
	s_addc_u32 s17, s35, s15
	v_mad_u64_u32 v[6:7], s[14:15], s21, v1, v[6:7]
	s_lshl_b64 s[14:15], s[6:7], 4
	s_add_u32 s14, s16, s14
	v_lshlrev_b64 v[5:6], 4, v[5:6]
	s_addc_u32 s15, s17, s15
	v_mov_b32_e32 v7, s15
	v_add_co_u32_e32 v5, vcc, s14, v5
	v_addc_co_u32_e32 v6, vcc, v7, v6, vcc
	v_add_co_u32_e32 v5, vcc, v5, v2
	v_addc_co_u32_e32 v6, vcc, 0, v6, vcc
	flat_load_dwordx4 v[5:8], v[5:6]
	v_add_u32_e32 v9, 0x1000, v4
	s_waitcnt vmcnt(0) lgkmcnt(0)
	ds_write2_b64 v9, v[5:6], v[7:8] offset1:1
.LBB188_5:
	s_or_b64 exec, exec, s[12:13]
	s_cmpk_eq_i32 s25, 0x84
	s_cselect_b64 s[12:13], -1, 0
	v_cmp_eq_u32_e32 vcc, v1, v0
	s_and_b64 s[14:15], vcc, s[12:13]
	s_and_saveexec_b64 s[12:13], s[14:15]
; %bb.6:
	v_mov_b32_e32 v5, 0
	v_mov_b32_e32 v6, 0x3ff00000
	v_mov_b32_e32 v7, v5
	v_mov_b32_e32 v8, v5
	ds_write_b128 v4, v[5:8]
; %bb.7:
	s_or_b64 exec, exec, s[12:13]
	s_cmpk_lg_i32 s24, 0x79
	s_cbranch_scc0 .LBB188_9
; %bb.8:
	v_cmp_lt_u32_e32 vcc, v0, v1
	s_and_b64 s[12:13], vcc, exec
	s_cbranch_execz .LBB188_10
	s_branch .LBB188_11
.LBB188_9:
	s_mov_b64 s[12:13], 0
.LBB188_10:
	v_cmp_gt_u32_e32 vcc, v0, v1
	s_andn2_b64 s[12:13], s[12:13], exec
	s_and_b64 s[14:15], vcc, exec
	s_or_b64 s[12:13], s[12:13], s[14:15]
.LBB188_11:
	s_and_saveexec_b64 s[14:15], s[12:13]
; %bb.12:
	v_mov_b32_e32 v5, 0
	v_mov_b32_e32 v6, v5
	;; [unrolled: 1-line block ×4, first 2 shown]
	ds_write_b128 v4, v[5:8]
; %bb.13:
	s_or_b64 exec, exec, s[14:15]
	s_waitcnt lgkmcnt(0)
	s_barrier
	s_and_saveexec_b64 s[12:13], s[0:1]
	s_cbranch_execz .LBB188_15
; %bb.14:
	ds_read_b128 v[4:7], v2 offset:4096
	ds_read_b128 v[8:11], v3
	ds_read_b128 v[12:15], v3 offset:256
	ds_read_b128 v[16:19], v2 offset:4352
	;; [unrolled: 1-line block ×3, first 2 shown]
	s_load_dwordx2 s[0:1], s[4:5], 0x60
	s_waitcnt lgkmcnt(0)
	v_mul_f64 v[24:25], v[8:9], v[6:7]
	v_mul_f64 v[6:7], v[10:11], v[6:7]
	;; [unrolled: 1-line block ×4, first 2 shown]
	s_lshl_b64 s[0:1], s[0:1], 4
	v_fma_f64 v[10:11], v[10:11], v[4:5], v[24:25]
	ds_read_b128 v[24:27], v3 offset:512
	ds_read_b128 v[28:31], v3 offset:768
	;; [unrolled: 1-line block ×3, first 2 shown]
	v_fma_f64 v[40:41], v[8:9], v[4:5], -v[6:7]
	v_fma_f64 v[14:15], v[14:15], v[16:17], v[36:37]
	s_waitcnt lgkmcnt(2)
	v_mul_f64 v[38:39], v[24:25], v[22:23]
	v_mul_f64 v[22:23], v[26:27], v[22:23]
	s_waitcnt lgkmcnt(0)
	v_mul_f64 v[42:43], v[28:29], v[34:35]
	v_fma_f64 v[44:45], v[12:13], v[16:17], -v[18:19]
	v_add_f64 v[36:37], v[10:11], 0
	ds_read_b128 v[4:7], v2 offset:5120
	ds_read_b128 v[8:11], v3 offset:1024
	v_mul_f64 v[34:35], v[30:31], v[34:35]
	v_fma_f64 v[26:27], v[26:27], v[20:21], v[38:39]
	v_add_f64 v[38:39], v[40:41], 0
	s_waitcnt lgkmcnt(0)
	v_mul_f64 v[40:41], v[8:9], v[6:7]
	v_fma_f64 v[46:47], v[24:25], v[20:21], -v[22:23]
	v_add_f64 v[36:37], v[36:37], v[14:15]
	v_fma_f64 v[30:31], v[30:31], v[32:33], v[42:43]
	ds_read_b128 v[12:15], v3 offset:1280
	ds_read_b128 v[16:19], v2 offset:5376
	v_mul_f64 v[6:7], v[10:11], v[6:7]
	v_add_f64 v[38:39], v[38:39], v[44:45]
	v_fma_f64 v[44:45], v[28:29], v[32:33], -v[34:35]
	s_waitcnt lgkmcnt(0)
	v_mul_f64 v[42:43], v[12:13], v[18:19]
	v_add_f64 v[36:37], v[36:37], v[26:27]
	v_fma_f64 v[10:11], v[10:11], v[4:5], v[40:41]
	ds_read_b128 v[20:23], v2 offset:5632
	ds_read_b128 v[24:27], v3 offset:1536
	v_mul_f64 v[18:19], v[14:15], v[18:19]
	v_add_f64 v[38:39], v[38:39], v[46:47]
	v_fma_f64 v[46:47], v[8:9], v[4:5], -v[6:7]
	s_waitcnt lgkmcnt(0)
	v_mul_f64 v[40:41], v[24:25], v[22:23]
	;; [unrolled: 9-line block ×9, first 2 shown]
	v_add_f64 v[36:37], v[36:37], v[26:27]
	v_fma_f64 v[10:11], v[10:11], v[4:5], v[40:41]
	ds_read_b128 v[20:23], v3 offset:3584
	ds_read_b128 v[24:27], v2 offset:7680
	v_mul_f64 v[18:19], v[14:15], v[18:19]
	v_add_f64 v[38:39], v[38:39], v[46:47]
	s_waitcnt lgkmcnt(0)
	v_mul_f64 v[40:41], v[20:21], v[26:27]
	v_add_f64 v[36:37], v[36:37], v[30:31]
	ds_read_b128 v[28:31], v3 offset:3840
	ds_read_b128 v[32:35], v2 offset:7936
	v_fma_f64 v[3:4], v[8:9], v[4:5], -v[6:7]
	v_fma_f64 v[5:6], v[14:15], v[16:17], v[42:43]
	v_mul_f64 v[14:15], v[22:23], v[26:27]
	v_add_f64 v[7:8], v[38:39], v[44:45]
	s_waitcnt lgkmcnt(0)
	v_mul_f64 v[26:27], v[28:29], v[34:35]
	v_add_f64 v[9:10], v[36:37], v[10:11]
	v_fma_f64 v[11:12], v[12:13], v[16:17], -v[18:19]
	v_fma_f64 v[16:17], v[22:23], v[24:25], v[40:41]
	v_add_f64 v[3:4], v[7:8], v[3:4]
	v_mul_f64 v[7:8], v[30:31], v[34:35]
	v_add_f64 v[5:6], v[9:10], v[5:6]
	v_fma_f64 v[9:10], v[20:21], v[24:25], -v[14:15]
	v_fma_f64 v[13:14], v[30:31], v[32:33], v[26:27]
	v_add_f64 v[3:4], v[3:4], v[11:12]
	v_fma_f64 v[7:8], v[28:29], v[32:33], -v[7:8]
	v_mad_u64_u32 v[11:12], s[4:5], s2, v1, 0
	v_add_f64 v[5:6], v[5:6], v[16:17]
	v_mov_b32_e32 v0, v12
	v_mad_u64_u32 v[0:1], s[2:3], s3, v1, v[0:1]
	v_add_f64 v[3:4], v[3:4], v[9:10]
	s_add_u32 s2, s18, s0
	s_addc_u32 s3, s19, s1
	v_add_f64 v[5:6], v[5:6], v[13:14]
	s_lshl_b64 s[0:1], s[6:7], 4
	v_mov_b32_e32 v12, v0
	s_add_u32 s0, s2, s0
	v_lshlrev_b64 v[0:1], 4, v[11:12]
	v_add_f64 v[3:4], v[3:4], v[7:8]
	s_addc_u32 s1, s3, s1
	v_mov_b32_e32 v11, s1
	v_mul_f64 v[7:8], s[8:9], v[5:6]
	v_mul_f64 v[9:10], s[10:11], v[5:6]
	v_add_co_u32_e32 v0, vcc, s0, v0
	v_addc_co_u32_e32 v1, vcc, v11, v1, vcc
	v_add_co_u32_e32 v0, vcc, v0, v2
	v_fma_f64 v[5:6], s[10:11], v[3:4], v[7:8]
	v_fma_f64 v[3:4], s[8:9], v[3:4], -v[9:10]
	v_addc_co_u32_e32 v1, vcc, 0, v1, vcc
	flat_store_dwordx4 v[0:1], v[3:6]
.LBB188_15:
	s_endpgm
	.section	.rodata,"a",@progbits
	.p2align	6, 0x0
	.amdhsa_kernel _ZL23rocblas_trmm_rTx_kernelILi16ELb0E19rocblas_complex_numIdEPKS1_KS3_KPS1_Ev13rocblas_fill_17rocblas_diagonal_iiT2_lPT3_llSB_llPT4_lli
		.amdhsa_group_segment_fixed_size 8192
		.amdhsa_private_segment_fixed_size 0
		.amdhsa_kernarg_size 108
		.amdhsa_user_sgpr_count 6
		.amdhsa_user_sgpr_private_segment_buffer 1
		.amdhsa_user_sgpr_dispatch_ptr 0
		.amdhsa_user_sgpr_queue_ptr 0
		.amdhsa_user_sgpr_kernarg_segment_ptr 1
		.amdhsa_user_sgpr_dispatch_id 0
		.amdhsa_user_sgpr_flat_scratch_init 0
		.amdhsa_user_sgpr_private_segment_size 0
		.amdhsa_uses_dynamic_stack 0
		.amdhsa_system_sgpr_private_segment_wavefront_offset 0
		.amdhsa_system_sgpr_workgroup_id_x 1
		.amdhsa_system_sgpr_workgroup_id_y 0
		.amdhsa_system_sgpr_workgroup_id_z 1
		.amdhsa_system_sgpr_workgroup_info 0
		.amdhsa_system_vgpr_workitem_id 1
		.amdhsa_next_free_vgpr 48
		.amdhsa_next_free_sgpr 61
		.amdhsa_reserve_vcc 1
		.amdhsa_reserve_flat_scratch 0
		.amdhsa_float_round_mode_32 0
		.amdhsa_float_round_mode_16_64 0
		.amdhsa_float_denorm_mode_32 3
		.amdhsa_float_denorm_mode_16_64 3
		.amdhsa_dx10_clamp 1
		.amdhsa_ieee_mode 1
		.amdhsa_fp16_overflow 0
		.amdhsa_exception_fp_ieee_invalid_op 0
		.amdhsa_exception_fp_denorm_src 0
		.amdhsa_exception_fp_ieee_div_zero 0
		.amdhsa_exception_fp_ieee_overflow 0
		.amdhsa_exception_fp_ieee_underflow 0
		.amdhsa_exception_fp_ieee_inexact 0
		.amdhsa_exception_int_div_zero 0
	.end_amdhsa_kernel
	.section	.text._ZL23rocblas_trmm_rTx_kernelILi16ELb0E19rocblas_complex_numIdEPKS1_KS3_KPS1_Ev13rocblas_fill_17rocblas_diagonal_iiT2_lPT3_llSB_llPT4_lli,"axG",@progbits,_ZL23rocblas_trmm_rTx_kernelILi16ELb0E19rocblas_complex_numIdEPKS1_KS3_KPS1_Ev13rocblas_fill_17rocblas_diagonal_iiT2_lPT3_llSB_llPT4_lli,comdat
.Lfunc_end188:
	.size	_ZL23rocblas_trmm_rTx_kernelILi16ELb0E19rocblas_complex_numIdEPKS1_KS3_KPS1_Ev13rocblas_fill_17rocblas_diagonal_iiT2_lPT3_llSB_llPT4_lli, .Lfunc_end188-_ZL23rocblas_trmm_rTx_kernelILi16ELb0E19rocblas_complex_numIdEPKS1_KS3_KPS1_Ev13rocblas_fill_17rocblas_diagonal_iiT2_lPT3_llSB_llPT4_lli
                                        ; -- End function
	.set _ZL23rocblas_trmm_rTx_kernelILi16ELb0E19rocblas_complex_numIdEPKS1_KS3_KPS1_Ev13rocblas_fill_17rocblas_diagonal_iiT2_lPT3_llSB_llPT4_lli.num_vgpr, 48
	.set _ZL23rocblas_trmm_rTx_kernelILi16ELb0E19rocblas_complex_numIdEPKS1_KS3_KPS1_Ev13rocblas_fill_17rocblas_diagonal_iiT2_lPT3_llSB_llPT4_lli.num_agpr, 0
	.set _ZL23rocblas_trmm_rTx_kernelILi16ELb0E19rocblas_complex_numIdEPKS1_KS3_KPS1_Ev13rocblas_fill_17rocblas_diagonal_iiT2_lPT3_llSB_llPT4_lli.numbered_sgpr, 38
	.set _ZL23rocblas_trmm_rTx_kernelILi16ELb0E19rocblas_complex_numIdEPKS1_KS3_KPS1_Ev13rocblas_fill_17rocblas_diagonal_iiT2_lPT3_llSB_llPT4_lli.num_named_barrier, 0
	.set _ZL23rocblas_trmm_rTx_kernelILi16ELb0E19rocblas_complex_numIdEPKS1_KS3_KPS1_Ev13rocblas_fill_17rocblas_diagonal_iiT2_lPT3_llSB_llPT4_lli.private_seg_size, 0
	.set _ZL23rocblas_trmm_rTx_kernelILi16ELb0E19rocblas_complex_numIdEPKS1_KS3_KPS1_Ev13rocblas_fill_17rocblas_diagonal_iiT2_lPT3_llSB_llPT4_lli.uses_vcc, 1
	.set _ZL23rocblas_trmm_rTx_kernelILi16ELb0E19rocblas_complex_numIdEPKS1_KS3_KPS1_Ev13rocblas_fill_17rocblas_diagonal_iiT2_lPT3_llSB_llPT4_lli.uses_flat_scratch, 0
	.set _ZL23rocblas_trmm_rTx_kernelILi16ELb0E19rocblas_complex_numIdEPKS1_KS3_KPS1_Ev13rocblas_fill_17rocblas_diagonal_iiT2_lPT3_llSB_llPT4_lli.has_dyn_sized_stack, 0
	.set _ZL23rocblas_trmm_rTx_kernelILi16ELb0E19rocblas_complex_numIdEPKS1_KS3_KPS1_Ev13rocblas_fill_17rocblas_diagonal_iiT2_lPT3_llSB_llPT4_lli.has_recursion, 0
	.set _ZL23rocblas_trmm_rTx_kernelILi16ELb0E19rocblas_complex_numIdEPKS1_KS3_KPS1_Ev13rocblas_fill_17rocblas_diagonal_iiT2_lPT3_llSB_llPT4_lli.has_indirect_call, 0
	.section	.AMDGPU.csdata,"",@progbits
; Kernel info:
; codeLenInByte = 1868
; TotalNumSgprs: 42
; NumVgprs: 48
; ScratchSize: 0
; MemoryBound: 0
; FloatMode: 240
; IeeeMode: 1
; LDSByteSize: 8192 bytes/workgroup (compile time only)
; SGPRBlocks: 8
; VGPRBlocks: 11
; NumSGPRsForWavesPerEU: 65
; NumVGPRsForWavesPerEU: 48
; Occupancy: 5
; WaveLimiterHint : 1
; COMPUTE_PGM_RSRC2:SCRATCH_EN: 0
; COMPUTE_PGM_RSRC2:USER_SGPR: 6
; COMPUTE_PGM_RSRC2:TRAP_HANDLER: 0
; COMPUTE_PGM_RSRC2:TGID_X_EN: 1
; COMPUTE_PGM_RSRC2:TGID_Y_EN: 0
; COMPUTE_PGM_RSRC2:TGID_Z_EN: 1
; COMPUTE_PGM_RSRC2:TIDIG_COMP_CNT: 1
	.section	.text._ZL23rocblas_trmm_rTx_kernelILi16ELb0E19rocblas_complex_numIdES1_KPKS1_KPS1_Ev13rocblas_fill_17rocblas_diagonal_iiT2_lPT3_llSB_llPT4_lli,"axG",@progbits,_ZL23rocblas_trmm_rTx_kernelILi16ELb0E19rocblas_complex_numIdES1_KPKS1_KPS1_Ev13rocblas_fill_17rocblas_diagonal_iiT2_lPT3_llSB_llPT4_lli,comdat
	.globl	_ZL23rocblas_trmm_rTx_kernelILi16ELb0E19rocblas_complex_numIdES1_KPKS1_KPS1_Ev13rocblas_fill_17rocblas_diagonal_iiT2_lPT3_llSB_llPT4_lli ; -- Begin function _ZL23rocblas_trmm_rTx_kernelILi16ELb0E19rocblas_complex_numIdES1_KPKS1_KPS1_Ev13rocblas_fill_17rocblas_diagonal_iiT2_lPT3_llSB_llPT4_lli
	.p2align	8
	.type	_ZL23rocblas_trmm_rTx_kernelILi16ELb0E19rocblas_complex_numIdES1_KPKS1_KPS1_Ev13rocblas_fill_17rocblas_diagonal_iiT2_lPT3_llSB_llPT4_lli,@function
_ZL23rocblas_trmm_rTx_kernelILi16ELb0E19rocblas_complex_numIdES1_KPKS1_KPS1_Ev13rocblas_fill_17rocblas_diagonal_iiT2_lPT3_llSB_llPT4_lli: ; @_ZL23rocblas_trmm_rTx_kernelILi16ELb0E19rocblas_complex_numIdES1_KPKS1_KPS1_Ev13rocblas_fill_17rocblas_diagonal_iiT2_lPT3_llSB_llPT4_lli
; %bb.0:
	s_load_dwordx4 s[24:27], s[4:5], 0x10
	s_waitcnt lgkmcnt(0)
	v_cmp_neq_f64_e64 s[2:3], s[24:25], 0
	v_cmp_neq_f64_e64 s[8:9], s[26:27], 0
	s_or_b64 s[2:3], s[2:3], s[8:9]
	s_andn2_b64 vcc, exec, s[2:3]
	s_cbranch_vccnz .LBB189_15
; %bb.1:
	s_load_dwordx16 s[8:23], s[4:5], 0x28
	s_load_dwordx4 s[28:31], s[4:5], 0x0
	s_mov_b32 s0, s7
	s_mov_b32 s1, 0
	s_lshl_b64 s[36:37], s[0:1], 3
	s_waitcnt lgkmcnt(0)
	s_add_u32 s2, s14, s36
	s_addc_u32 s3, s15, s37
	s_load_dwordx2 s[34:35], s[2:3], 0x0
	s_add_u32 s2, s20, s36
	s_addc_u32 s3, s21, s37
	s_load_dwordx2 s[14:15], s[2:3], 0x0
	s_mov_b32 s3, s1
	s_mov_b32 s0, s1
	;; [unrolled: 1-line block ×3, first 2 shown]
	v_mov_b32_e32 v8, s3
	v_lshlrev_b32_e32 v3, 4, v1
	v_mov_b32_e32 v7, s2
	v_mov_b32_e32 v6, s1
	;; [unrolled: 1-line block ×3, first 2 shown]
	v_cmp_gt_i32_e32 vcc, s31, v1
	v_cmp_gt_i32_e64 s[0:1], s31, v0
	v_add_lshl_u32 v4, v3, v0, 4
	s_and_b64 s[0:1], vcc, s[0:1]
	v_lshlrev_b32_e32 v2, 4, v0
	ds_write_b128 v4, v[5:8]
	ds_write_b128 v4, v[5:8] offset:4096
	s_and_saveexec_b64 s[2:3], s[0:1]
	s_cbranch_execz .LBB189_3
; %bb.2:
	v_mad_u64_u32 v[5:6], s[0:1], s10, v1, 0
	s_add_u32 s0, s8, s36
	s_addc_u32 s1, s9, s37
	s_load_dwordx2 s[0:1], s[0:1], 0x0
	v_mad_u64_u32 v[6:7], s[8:9], s11, v1, v[6:7]
	s_lshl_b64 s[8:9], s[12:13], 4
	s_waitcnt lgkmcnt(0)
	s_add_u32 s0, s0, s8
	v_lshlrev_b64 v[5:6], 4, v[5:6]
	s_addc_u32 s1, s1, s9
	v_mov_b32_e32 v7, s1
	v_add_co_u32_e64 v5, s[0:1], s0, v5
	v_addc_co_u32_e64 v6, s[0:1], v7, v6, s[0:1]
	v_add_co_u32_e64 v5, s[0:1], v5, v2
	v_addc_co_u32_e64 v6, s[0:1], 0, v6, s[0:1]
	flat_load_dwordx4 v[5:8], v[5:6]
	s_waitcnt vmcnt(0) lgkmcnt(0)
	ds_write2_b64 v4, v[5:6], v[7:8] offset1:1
.LBB189_3:
	s_or_b64 exec, exec, s[2:3]
	s_add_i32 s0, s30, -1
	s_ashr_i32 s1, s0, 31
	s_lshr_b32 s1, s1, 28
	s_add_i32 s0, s0, s1
	s_ashr_i32 s1, s0, 4
	s_and_b32 s0, s0, -16
	s_sub_i32 s0, s30, s0
	s_cmp_ge_i32 s6, s1
	s_cselect_b32 s0, s0, 16
	s_lshl_b32 s2, s6, 4
	v_cmp_gt_i32_e64 s[0:1], s0, v0
	s_ashr_i32 s3, s2, 31
	s_and_b64 s[0:1], vcc, s[0:1]
	s_and_saveexec_b64 s[6:7], s[0:1]
	s_cbranch_execz .LBB189_5
; %bb.4:
	v_mad_u64_u32 v[5:6], s[8:9], s16, v1, 0
	s_lshl_b64 s[8:9], s[18:19], 4
	s_waitcnt lgkmcnt(0)
	s_add_u32 s10, s34, s8
	s_addc_u32 s11, s35, s9
	v_mad_u64_u32 v[6:7], s[8:9], s17, v1, v[6:7]
	s_lshl_b64 s[8:9], s[2:3], 4
	s_add_u32 s8, s10, s8
	v_lshlrev_b64 v[5:6], 4, v[5:6]
	s_addc_u32 s9, s11, s9
	v_mov_b32_e32 v7, s9
	v_add_co_u32_e32 v5, vcc, s8, v5
	v_addc_co_u32_e32 v6, vcc, v7, v6, vcc
	v_add_co_u32_e32 v5, vcc, v5, v2
	v_addc_co_u32_e32 v6, vcc, 0, v6, vcc
	flat_load_dwordx4 v[5:8], v[5:6]
	v_add_u32_e32 v9, 0x1000, v4
	s_waitcnt vmcnt(0) lgkmcnt(0)
	ds_write2_b64 v9, v[5:6], v[7:8] offset1:1
.LBB189_5:
	s_or_b64 exec, exec, s[6:7]
	s_cmpk_eq_i32 s29, 0x84
	s_cselect_b64 s[6:7], -1, 0
	v_cmp_eq_u32_e32 vcc, v1, v0
	s_and_b64 s[8:9], vcc, s[6:7]
	s_and_saveexec_b64 s[6:7], s[8:9]
; %bb.6:
	v_mov_b32_e32 v5, 0
	v_mov_b32_e32 v6, 0x3ff00000
	;; [unrolled: 1-line block ×4, first 2 shown]
	ds_write_b128 v4, v[5:8]
; %bb.7:
	s_or_b64 exec, exec, s[6:7]
	s_cmpk_lg_i32 s28, 0x79
	s_cbranch_scc0 .LBB189_9
; %bb.8:
	v_cmp_lt_u32_e32 vcc, v0, v1
	s_and_b64 s[6:7], vcc, exec
	s_cbranch_execz .LBB189_10
	s_branch .LBB189_11
.LBB189_9:
	s_mov_b64 s[6:7], 0
.LBB189_10:
	v_cmp_gt_u32_e32 vcc, v0, v1
	s_andn2_b64 s[6:7], s[6:7], exec
	s_and_b64 s[8:9], vcc, exec
	s_or_b64 s[6:7], s[6:7], s[8:9]
.LBB189_11:
	s_and_saveexec_b64 s[8:9], s[6:7]
; %bb.12:
	v_mov_b32_e32 v5, 0
	v_mov_b32_e32 v6, v5
	;; [unrolled: 1-line block ×4, first 2 shown]
	ds_write_b128 v4, v[5:8]
; %bb.13:
	s_or_b64 exec, exec, s[8:9]
	s_waitcnt lgkmcnt(0)
	s_barrier
	s_and_saveexec_b64 s[6:7], s[0:1]
	s_cbranch_execz .LBB189_15
; %bb.14:
	ds_read_b128 v[4:7], v2 offset:4096
	ds_read_b128 v[8:11], v3
	ds_read_b128 v[12:15], v3 offset:256
	ds_read_b128 v[16:19], v2 offset:4352
	;; [unrolled: 1-line block ×3, first 2 shown]
	s_load_dwordx2 s[0:1], s[4:5], 0x68
	s_waitcnt lgkmcnt(0)
	v_mul_f64 v[24:25], v[8:9], v[6:7]
	v_mul_f64 v[6:7], v[10:11], v[6:7]
	;; [unrolled: 1-line block ×4, first 2 shown]
	s_lshl_b64 s[0:1], s[0:1], 4
	v_fma_f64 v[10:11], v[10:11], v[4:5], v[24:25]
	ds_read_b128 v[24:27], v3 offset:512
	ds_read_b128 v[28:31], v3 offset:768
	;; [unrolled: 1-line block ×3, first 2 shown]
	v_fma_f64 v[40:41], v[8:9], v[4:5], -v[6:7]
	v_fma_f64 v[14:15], v[14:15], v[16:17], v[36:37]
	s_waitcnt lgkmcnt(2)
	v_mul_f64 v[38:39], v[24:25], v[22:23]
	v_mul_f64 v[22:23], v[26:27], v[22:23]
	s_waitcnt lgkmcnt(0)
	v_mul_f64 v[42:43], v[28:29], v[34:35]
	v_fma_f64 v[44:45], v[12:13], v[16:17], -v[18:19]
	v_add_f64 v[36:37], v[10:11], 0
	ds_read_b128 v[4:7], v2 offset:5120
	ds_read_b128 v[8:11], v3 offset:1024
	v_mul_f64 v[34:35], v[30:31], v[34:35]
	v_fma_f64 v[26:27], v[26:27], v[20:21], v[38:39]
	v_add_f64 v[38:39], v[40:41], 0
	s_waitcnt lgkmcnt(0)
	v_mul_f64 v[40:41], v[8:9], v[6:7]
	v_fma_f64 v[46:47], v[24:25], v[20:21], -v[22:23]
	v_add_f64 v[36:37], v[36:37], v[14:15]
	v_fma_f64 v[30:31], v[30:31], v[32:33], v[42:43]
	ds_read_b128 v[12:15], v3 offset:1280
	ds_read_b128 v[16:19], v2 offset:5376
	v_mul_f64 v[6:7], v[10:11], v[6:7]
	v_add_f64 v[38:39], v[38:39], v[44:45]
	v_fma_f64 v[44:45], v[28:29], v[32:33], -v[34:35]
	s_waitcnt lgkmcnt(0)
	v_mul_f64 v[42:43], v[12:13], v[18:19]
	v_add_f64 v[36:37], v[36:37], v[26:27]
	v_fma_f64 v[10:11], v[10:11], v[4:5], v[40:41]
	ds_read_b128 v[20:23], v2 offset:5632
	ds_read_b128 v[24:27], v3 offset:1536
	v_mul_f64 v[18:19], v[14:15], v[18:19]
	v_add_f64 v[38:39], v[38:39], v[46:47]
	v_fma_f64 v[46:47], v[8:9], v[4:5], -v[6:7]
	s_waitcnt lgkmcnt(0)
	v_mul_f64 v[40:41], v[24:25], v[22:23]
	;; [unrolled: 9-line block ×9, first 2 shown]
	v_add_f64 v[36:37], v[36:37], v[26:27]
	v_fma_f64 v[10:11], v[10:11], v[4:5], v[40:41]
	ds_read_b128 v[20:23], v3 offset:3584
	ds_read_b128 v[24:27], v2 offset:7680
	v_mul_f64 v[18:19], v[14:15], v[18:19]
	v_add_f64 v[38:39], v[38:39], v[46:47]
	s_waitcnt lgkmcnt(0)
	v_mul_f64 v[40:41], v[20:21], v[26:27]
	v_add_f64 v[36:37], v[36:37], v[30:31]
	ds_read_b128 v[28:31], v3 offset:3840
	ds_read_b128 v[32:35], v2 offset:7936
	v_fma_f64 v[3:4], v[8:9], v[4:5], -v[6:7]
	v_fma_f64 v[5:6], v[14:15], v[16:17], v[42:43]
	v_mul_f64 v[14:15], v[22:23], v[26:27]
	v_add_f64 v[7:8], v[38:39], v[44:45]
	s_waitcnt lgkmcnt(0)
	v_mul_f64 v[26:27], v[28:29], v[34:35]
	v_add_f64 v[9:10], v[36:37], v[10:11]
	v_fma_f64 v[11:12], v[12:13], v[16:17], -v[18:19]
	v_fma_f64 v[16:17], v[22:23], v[24:25], v[40:41]
	v_add_f64 v[3:4], v[7:8], v[3:4]
	v_mul_f64 v[7:8], v[30:31], v[34:35]
	v_add_f64 v[5:6], v[9:10], v[5:6]
	v_fma_f64 v[9:10], v[20:21], v[24:25], -v[14:15]
	v_fma_f64 v[13:14], v[30:31], v[32:33], v[26:27]
	v_add_f64 v[3:4], v[3:4], v[11:12]
	v_fma_f64 v[7:8], v[28:29], v[32:33], -v[7:8]
	v_mad_u64_u32 v[11:12], s[4:5], s22, v1, 0
	v_add_f64 v[5:6], v[5:6], v[16:17]
	v_mov_b32_e32 v0, v12
	v_mad_u64_u32 v[0:1], s[4:5], s23, v1, v[0:1]
	v_add_f64 v[3:4], v[3:4], v[9:10]
	s_add_u32 s4, s14, s0
	s_addc_u32 s5, s15, s1
	v_add_f64 v[5:6], v[5:6], v[13:14]
	s_lshl_b64 s[0:1], s[2:3], 4
	v_mov_b32_e32 v12, v0
	s_add_u32 s0, s4, s0
	v_lshlrev_b64 v[0:1], 4, v[11:12]
	v_add_f64 v[3:4], v[3:4], v[7:8]
	s_addc_u32 s1, s5, s1
	v_mov_b32_e32 v11, s1
	v_mul_f64 v[7:8], s[24:25], v[5:6]
	v_mul_f64 v[9:10], s[26:27], v[5:6]
	v_add_co_u32_e32 v0, vcc, s0, v0
	v_addc_co_u32_e32 v1, vcc, v11, v1, vcc
	v_add_co_u32_e32 v0, vcc, v0, v2
	v_fma_f64 v[5:6], s[26:27], v[3:4], v[7:8]
	v_fma_f64 v[3:4], s[24:25], v[3:4], -v[9:10]
	v_addc_co_u32_e32 v1, vcc, 0, v1, vcc
	flat_store_dwordx4 v[0:1], v[3:6]
.LBB189_15:
	s_endpgm
	.section	.rodata,"a",@progbits
	.p2align	6, 0x0
	.amdhsa_kernel _ZL23rocblas_trmm_rTx_kernelILi16ELb0E19rocblas_complex_numIdES1_KPKS1_KPS1_Ev13rocblas_fill_17rocblas_diagonal_iiT2_lPT3_llSB_llPT4_lli
		.amdhsa_group_segment_fixed_size 8192
		.amdhsa_private_segment_fixed_size 0
		.amdhsa_kernarg_size 116
		.amdhsa_user_sgpr_count 6
		.amdhsa_user_sgpr_private_segment_buffer 1
		.amdhsa_user_sgpr_dispatch_ptr 0
		.amdhsa_user_sgpr_queue_ptr 0
		.amdhsa_user_sgpr_kernarg_segment_ptr 1
		.amdhsa_user_sgpr_dispatch_id 0
		.amdhsa_user_sgpr_flat_scratch_init 0
		.amdhsa_user_sgpr_private_segment_size 0
		.amdhsa_uses_dynamic_stack 0
		.amdhsa_system_sgpr_private_segment_wavefront_offset 0
		.amdhsa_system_sgpr_workgroup_id_x 1
		.amdhsa_system_sgpr_workgroup_id_y 0
		.amdhsa_system_sgpr_workgroup_id_z 1
		.amdhsa_system_sgpr_workgroup_info 0
		.amdhsa_system_vgpr_workitem_id 1
		.amdhsa_next_free_vgpr 48
		.amdhsa_next_free_sgpr 61
		.amdhsa_reserve_vcc 1
		.amdhsa_reserve_flat_scratch 0
		.amdhsa_float_round_mode_32 0
		.amdhsa_float_round_mode_16_64 0
		.amdhsa_float_denorm_mode_32 3
		.amdhsa_float_denorm_mode_16_64 3
		.amdhsa_dx10_clamp 1
		.amdhsa_ieee_mode 1
		.amdhsa_fp16_overflow 0
		.amdhsa_exception_fp_ieee_invalid_op 0
		.amdhsa_exception_fp_denorm_src 0
		.amdhsa_exception_fp_ieee_div_zero 0
		.amdhsa_exception_fp_ieee_overflow 0
		.amdhsa_exception_fp_ieee_underflow 0
		.amdhsa_exception_fp_ieee_inexact 0
		.amdhsa_exception_int_div_zero 0
	.end_amdhsa_kernel
	.section	.text._ZL23rocblas_trmm_rTx_kernelILi16ELb0E19rocblas_complex_numIdES1_KPKS1_KPS1_Ev13rocblas_fill_17rocblas_diagonal_iiT2_lPT3_llSB_llPT4_lli,"axG",@progbits,_ZL23rocblas_trmm_rTx_kernelILi16ELb0E19rocblas_complex_numIdES1_KPKS1_KPS1_Ev13rocblas_fill_17rocblas_diagonal_iiT2_lPT3_llSB_llPT4_lli,comdat
.Lfunc_end189:
	.size	_ZL23rocblas_trmm_rTx_kernelILi16ELb0E19rocblas_complex_numIdES1_KPKS1_KPS1_Ev13rocblas_fill_17rocblas_diagonal_iiT2_lPT3_llSB_llPT4_lli, .Lfunc_end189-_ZL23rocblas_trmm_rTx_kernelILi16ELb0E19rocblas_complex_numIdES1_KPKS1_KPS1_Ev13rocblas_fill_17rocblas_diagonal_iiT2_lPT3_llSB_llPT4_lli
                                        ; -- End function
	.set _ZL23rocblas_trmm_rTx_kernelILi16ELb0E19rocblas_complex_numIdES1_KPKS1_KPS1_Ev13rocblas_fill_17rocblas_diagonal_iiT2_lPT3_llSB_llPT4_lli.num_vgpr, 48
	.set _ZL23rocblas_trmm_rTx_kernelILi16ELb0E19rocblas_complex_numIdES1_KPKS1_KPS1_Ev13rocblas_fill_17rocblas_diagonal_iiT2_lPT3_llSB_llPT4_lli.num_agpr, 0
	.set _ZL23rocblas_trmm_rTx_kernelILi16ELb0E19rocblas_complex_numIdES1_KPKS1_KPS1_Ev13rocblas_fill_17rocblas_diagonal_iiT2_lPT3_llSB_llPT4_lli.numbered_sgpr, 38
	.set _ZL23rocblas_trmm_rTx_kernelILi16ELb0E19rocblas_complex_numIdES1_KPKS1_KPS1_Ev13rocblas_fill_17rocblas_diagonal_iiT2_lPT3_llSB_llPT4_lli.num_named_barrier, 0
	.set _ZL23rocblas_trmm_rTx_kernelILi16ELb0E19rocblas_complex_numIdES1_KPKS1_KPS1_Ev13rocblas_fill_17rocblas_diagonal_iiT2_lPT3_llSB_llPT4_lli.private_seg_size, 0
	.set _ZL23rocblas_trmm_rTx_kernelILi16ELb0E19rocblas_complex_numIdES1_KPKS1_KPS1_Ev13rocblas_fill_17rocblas_diagonal_iiT2_lPT3_llSB_llPT4_lli.uses_vcc, 1
	.set _ZL23rocblas_trmm_rTx_kernelILi16ELb0E19rocblas_complex_numIdES1_KPKS1_KPS1_Ev13rocblas_fill_17rocblas_diagonal_iiT2_lPT3_llSB_llPT4_lli.uses_flat_scratch, 0
	.set _ZL23rocblas_trmm_rTx_kernelILi16ELb0E19rocblas_complex_numIdES1_KPKS1_KPS1_Ev13rocblas_fill_17rocblas_diagonal_iiT2_lPT3_llSB_llPT4_lli.has_dyn_sized_stack, 0
	.set _ZL23rocblas_trmm_rTx_kernelILi16ELb0E19rocblas_complex_numIdES1_KPKS1_KPS1_Ev13rocblas_fill_17rocblas_diagonal_iiT2_lPT3_llSB_llPT4_lli.has_recursion, 0
	.set _ZL23rocblas_trmm_rTx_kernelILi16ELb0E19rocblas_complex_numIdES1_KPKS1_KPS1_Ev13rocblas_fill_17rocblas_diagonal_iiT2_lPT3_llSB_llPT4_lli.has_indirect_call, 0
	.section	.AMDGPU.csdata,"",@progbits
; Kernel info:
; codeLenInByte = 1828
; TotalNumSgprs: 42
; NumVgprs: 48
; ScratchSize: 0
; MemoryBound: 0
; FloatMode: 240
; IeeeMode: 1
; LDSByteSize: 8192 bytes/workgroup (compile time only)
; SGPRBlocks: 8
; VGPRBlocks: 11
; NumSGPRsForWavesPerEU: 65
; NumVGPRsForWavesPerEU: 48
; Occupancy: 5
; WaveLimiterHint : 1
; COMPUTE_PGM_RSRC2:SCRATCH_EN: 0
; COMPUTE_PGM_RSRC2:USER_SGPR: 6
; COMPUTE_PGM_RSRC2:TRAP_HANDLER: 0
; COMPUTE_PGM_RSRC2:TGID_X_EN: 1
; COMPUTE_PGM_RSRC2:TGID_Y_EN: 0
; COMPUTE_PGM_RSRC2:TGID_Z_EN: 1
; COMPUTE_PGM_RSRC2:TIDIG_COMP_CNT: 1
	.section	.text._ZL23rocblas_trmm_rTx_kernelILi16ELb1E19rocblas_complex_numIdEPKS1_KS3_KPS1_Ev13rocblas_fill_17rocblas_diagonal_iiT2_lPT3_llSB_llPT4_lli,"axG",@progbits,_ZL23rocblas_trmm_rTx_kernelILi16ELb1E19rocblas_complex_numIdEPKS1_KS3_KPS1_Ev13rocblas_fill_17rocblas_diagonal_iiT2_lPT3_llSB_llPT4_lli,comdat
	.globl	_ZL23rocblas_trmm_rTx_kernelILi16ELb1E19rocblas_complex_numIdEPKS1_KS3_KPS1_Ev13rocblas_fill_17rocblas_diagonal_iiT2_lPT3_llSB_llPT4_lli ; -- Begin function _ZL23rocblas_trmm_rTx_kernelILi16ELb1E19rocblas_complex_numIdEPKS1_KS3_KPS1_Ev13rocblas_fill_17rocblas_diagonal_iiT2_lPT3_llSB_llPT4_lli
	.p2align	8
	.type	_ZL23rocblas_trmm_rTx_kernelILi16ELb1E19rocblas_complex_numIdEPKS1_KS3_KPS1_Ev13rocblas_fill_17rocblas_diagonal_iiT2_lPT3_llSB_llPT4_lli,@function
_ZL23rocblas_trmm_rTx_kernelILi16ELb1E19rocblas_complex_numIdEPKS1_KS3_KPS1_Ev13rocblas_fill_17rocblas_diagonal_iiT2_lPT3_llSB_llPT4_lli: ; @_ZL23rocblas_trmm_rTx_kernelILi16ELb1E19rocblas_complex_numIdEPKS1_KS3_KPS1_Ev13rocblas_fill_17rocblas_diagonal_iiT2_lPT3_llSB_llPT4_lli
; %bb.0:
	s_load_dwordx16 s[8:23], s[4:5], 0x10
	s_waitcnt lgkmcnt(0)
	s_mul_i32 s0, s11, s7
	s_mul_hi_u32 s1, s10, s7
	s_add_i32 s1, s1, s0
	s_mul_i32 s0, s10, s7
	s_lshl_b64 s[0:1], s[0:1], 4
	s_add_u32 s0, s8, s0
	s_addc_u32 s1, s9, s1
	s_load_dwordx4 s[8:11], s[0:1], 0x0
	s_waitcnt lgkmcnt(0)
	v_cmp_neq_f64_e64 s[0:1], s[8:9], 0
	v_cmp_neq_f64_e64 s[2:3], s[10:11], 0
	s_or_b64 s[0:1], s[0:1], s[2:3]
	s_andn2_b64 vcc, exec, s[0:1]
	s_cbranch_vccnz .LBB190_15
; %bb.1:
	s_load_dwordx4 s[24:27], s[4:5], 0x0
	s_load_dwordx4 s[0:3], s[4:5], 0x50
	s_mov_b32 s28, s7
	s_mov_b32 s29, 0
	s_lshl_b64 s[36:37], s[28:29], 3
	s_add_u32 s18, s18, s36
	s_addc_u32 s19, s19, s37
	s_waitcnt lgkmcnt(0)
	s_add_u32 s0, s0, s36
	s_addc_u32 s1, s1, s37
	s_load_dwordx2 s[34:35], s[18:19], 0x0
	s_mov_b32 s28, s29
	s_load_dwordx2 s[18:19], s[0:1], 0x0
	v_lshlrev_b32_e32 v3, 4, v1
	s_mov_b32 s30, s29
	s_mov_b32 s31, s29
	v_mov_b32_e32 v5, s28
	v_cmp_gt_i32_e32 vcc, s27, v1
	v_cmp_gt_i32_e64 s[0:1], s27, v0
	v_add_lshl_u32 v4, v3, v0, 4
	v_mov_b32_e32 v6, s29
	v_mov_b32_e32 v7, s30
	;; [unrolled: 1-line block ×3, first 2 shown]
	s_and_b64 s[0:1], vcc, s[0:1]
	v_lshlrev_b32_e32 v2, 4, v0
	ds_write_b128 v4, v[5:8]
	ds_write_b128 v4, v[5:8] offset:4096
	s_and_saveexec_b64 s[28:29], s[0:1]
	s_cbranch_execz .LBB190_3
; %bb.2:
	v_mad_u64_u32 v[5:6], s[0:1], s14, v1, 0
	s_add_u32 s0, s12, s36
	s_addc_u32 s1, s13, s37
	s_load_dwordx2 s[0:1], s[0:1], 0x0
	v_mad_u64_u32 v[6:7], s[12:13], s15, v1, v[6:7]
	s_lshl_b64 s[12:13], s[16:17], 4
	s_waitcnt lgkmcnt(0)
	s_add_u32 s0, s0, s12
	v_lshlrev_b64 v[5:6], 4, v[5:6]
	s_addc_u32 s1, s1, s13
	v_mov_b32_e32 v7, s1
	v_add_co_u32_e64 v5, s[0:1], s0, v5
	v_addc_co_u32_e64 v6, s[0:1], v7, v6, s[0:1]
	v_add_co_u32_e64 v5, s[0:1], v5, v2
	v_addc_co_u32_e64 v6, s[0:1], 0, v6, s[0:1]
	flat_load_dwordx4 v[5:8], v[5:6]
	s_waitcnt vmcnt(0) lgkmcnt(0)
	v_xor_b32_e32 v8, 0x80000000, v8
	ds_write_b128 v4, v[5:8]
.LBB190_3:
	s_or_b64 exec, exec, s[28:29]
	s_add_i32 s0, s26, -1
	s_ashr_i32 s1, s0, 31
	s_lshr_b32 s1, s1, 28
	s_add_i32 s0, s0, s1
	s_ashr_i32 s1, s0, 4
	s_and_b32 s0, s0, -16
	s_sub_i32 s0, s26, s0
	s_cmp_ge_i32 s6, s1
	s_cselect_b32 s0, s0, 16
	s_lshl_b32 s6, s6, 4
	v_cmp_gt_i32_e64 s[0:1], s0, v0
	s_ashr_i32 s7, s6, 31
	s_and_b64 s[0:1], vcc, s[0:1]
	s_and_saveexec_b64 s[12:13], s[0:1]
	s_cbranch_execz .LBB190_5
; %bb.4:
	v_mad_u64_u32 v[5:6], s[14:15], s20, v1, 0
	s_lshl_b64 s[14:15], s[22:23], 4
	s_waitcnt lgkmcnt(0)
	s_add_u32 s16, s34, s14
	s_addc_u32 s17, s35, s15
	v_mad_u64_u32 v[6:7], s[14:15], s21, v1, v[6:7]
	s_lshl_b64 s[14:15], s[6:7], 4
	s_add_u32 s14, s16, s14
	v_lshlrev_b64 v[5:6], 4, v[5:6]
	s_addc_u32 s15, s17, s15
	v_mov_b32_e32 v7, s15
	v_add_co_u32_e32 v5, vcc, s14, v5
	v_addc_co_u32_e32 v6, vcc, v7, v6, vcc
	v_add_co_u32_e32 v5, vcc, v5, v2
	v_addc_co_u32_e32 v6, vcc, 0, v6, vcc
	flat_load_dwordx4 v[5:8], v[5:6]
	v_add_u32_e32 v9, 0x1000, v4
	s_waitcnt vmcnt(0) lgkmcnt(0)
	ds_write2_b64 v9, v[5:6], v[7:8] offset1:1
.LBB190_5:
	s_or_b64 exec, exec, s[12:13]
	s_cmpk_eq_i32 s25, 0x84
	s_cselect_b64 s[12:13], -1, 0
	v_cmp_eq_u32_e32 vcc, v1, v0
	s_and_b64 s[14:15], vcc, s[12:13]
	s_and_saveexec_b64 s[12:13], s[14:15]
; %bb.6:
	v_mov_b32_e32 v5, 0
	v_mov_b32_e32 v6, 0x3ff00000
	;; [unrolled: 1-line block ×4, first 2 shown]
	ds_write_b128 v4, v[5:8]
; %bb.7:
	s_or_b64 exec, exec, s[12:13]
	s_cmpk_lg_i32 s24, 0x79
	s_cbranch_scc0 .LBB190_9
; %bb.8:
	v_cmp_lt_u32_e32 vcc, v0, v1
	s_and_b64 s[12:13], vcc, exec
	s_cbranch_execz .LBB190_10
	s_branch .LBB190_11
.LBB190_9:
	s_mov_b64 s[12:13], 0
.LBB190_10:
	v_cmp_gt_u32_e32 vcc, v0, v1
	s_andn2_b64 s[12:13], s[12:13], exec
	s_and_b64 s[14:15], vcc, exec
	s_or_b64 s[12:13], s[12:13], s[14:15]
.LBB190_11:
	s_and_saveexec_b64 s[14:15], s[12:13]
; %bb.12:
	v_mov_b32_e32 v5, 0
	v_mov_b32_e32 v6, v5
	;; [unrolled: 1-line block ×4, first 2 shown]
	ds_write_b128 v4, v[5:8]
; %bb.13:
	s_or_b64 exec, exec, s[14:15]
	s_waitcnt lgkmcnt(0)
	s_barrier
	s_and_saveexec_b64 s[12:13], s[0:1]
	s_cbranch_execz .LBB190_15
; %bb.14:
	ds_read_b128 v[4:7], v2 offset:4096
	ds_read_b128 v[8:11], v3
	ds_read_b128 v[12:15], v3 offset:256
	ds_read_b128 v[16:19], v2 offset:4352
	;; [unrolled: 1-line block ×3, first 2 shown]
	s_load_dwordx2 s[0:1], s[4:5], 0x60
	s_waitcnt lgkmcnt(0)
	v_mul_f64 v[24:25], v[8:9], v[6:7]
	v_mul_f64 v[6:7], v[10:11], v[6:7]
	;; [unrolled: 1-line block ×4, first 2 shown]
	s_lshl_b64 s[0:1], s[0:1], 4
	v_fma_f64 v[10:11], v[10:11], v[4:5], v[24:25]
	ds_read_b128 v[24:27], v3 offset:512
	ds_read_b128 v[28:31], v3 offset:768
	;; [unrolled: 1-line block ×3, first 2 shown]
	v_fma_f64 v[40:41], v[8:9], v[4:5], -v[6:7]
	v_fma_f64 v[14:15], v[14:15], v[16:17], v[36:37]
	s_waitcnt lgkmcnt(2)
	v_mul_f64 v[38:39], v[24:25], v[22:23]
	v_mul_f64 v[22:23], v[26:27], v[22:23]
	s_waitcnt lgkmcnt(0)
	v_mul_f64 v[42:43], v[28:29], v[34:35]
	v_fma_f64 v[44:45], v[12:13], v[16:17], -v[18:19]
	v_add_f64 v[36:37], v[10:11], 0
	ds_read_b128 v[4:7], v2 offset:5120
	ds_read_b128 v[8:11], v3 offset:1024
	v_mul_f64 v[34:35], v[30:31], v[34:35]
	v_fma_f64 v[26:27], v[26:27], v[20:21], v[38:39]
	v_add_f64 v[38:39], v[40:41], 0
	s_waitcnt lgkmcnt(0)
	v_mul_f64 v[40:41], v[8:9], v[6:7]
	v_fma_f64 v[46:47], v[24:25], v[20:21], -v[22:23]
	v_add_f64 v[36:37], v[36:37], v[14:15]
	v_fma_f64 v[30:31], v[30:31], v[32:33], v[42:43]
	ds_read_b128 v[12:15], v3 offset:1280
	ds_read_b128 v[16:19], v2 offset:5376
	v_mul_f64 v[6:7], v[10:11], v[6:7]
	v_add_f64 v[38:39], v[38:39], v[44:45]
	v_fma_f64 v[44:45], v[28:29], v[32:33], -v[34:35]
	s_waitcnt lgkmcnt(0)
	v_mul_f64 v[42:43], v[12:13], v[18:19]
	v_add_f64 v[36:37], v[36:37], v[26:27]
	v_fma_f64 v[10:11], v[10:11], v[4:5], v[40:41]
	ds_read_b128 v[20:23], v2 offset:5632
	ds_read_b128 v[24:27], v3 offset:1536
	v_mul_f64 v[18:19], v[14:15], v[18:19]
	v_add_f64 v[38:39], v[38:39], v[46:47]
	v_fma_f64 v[46:47], v[8:9], v[4:5], -v[6:7]
	s_waitcnt lgkmcnt(0)
	v_mul_f64 v[40:41], v[24:25], v[22:23]
	;; [unrolled: 9-line block ×9, first 2 shown]
	v_add_f64 v[36:37], v[36:37], v[26:27]
	v_fma_f64 v[10:11], v[10:11], v[4:5], v[40:41]
	ds_read_b128 v[20:23], v3 offset:3584
	ds_read_b128 v[24:27], v2 offset:7680
	v_mul_f64 v[18:19], v[14:15], v[18:19]
	v_add_f64 v[38:39], v[38:39], v[46:47]
	s_waitcnt lgkmcnt(0)
	v_mul_f64 v[40:41], v[20:21], v[26:27]
	v_add_f64 v[36:37], v[36:37], v[30:31]
	ds_read_b128 v[28:31], v3 offset:3840
	ds_read_b128 v[32:35], v2 offset:7936
	v_fma_f64 v[3:4], v[8:9], v[4:5], -v[6:7]
	v_fma_f64 v[5:6], v[14:15], v[16:17], v[42:43]
	v_mul_f64 v[14:15], v[22:23], v[26:27]
	v_add_f64 v[7:8], v[38:39], v[44:45]
	s_waitcnt lgkmcnt(0)
	v_mul_f64 v[26:27], v[28:29], v[34:35]
	v_add_f64 v[9:10], v[36:37], v[10:11]
	v_fma_f64 v[11:12], v[12:13], v[16:17], -v[18:19]
	v_fma_f64 v[16:17], v[22:23], v[24:25], v[40:41]
	v_add_f64 v[3:4], v[7:8], v[3:4]
	v_mul_f64 v[7:8], v[30:31], v[34:35]
	v_add_f64 v[5:6], v[9:10], v[5:6]
	v_fma_f64 v[9:10], v[20:21], v[24:25], -v[14:15]
	v_fma_f64 v[13:14], v[30:31], v[32:33], v[26:27]
	v_add_f64 v[3:4], v[3:4], v[11:12]
	v_fma_f64 v[7:8], v[28:29], v[32:33], -v[7:8]
	v_mad_u64_u32 v[11:12], s[4:5], s2, v1, 0
	v_add_f64 v[5:6], v[5:6], v[16:17]
	v_mov_b32_e32 v0, v12
	v_mad_u64_u32 v[0:1], s[2:3], s3, v1, v[0:1]
	v_add_f64 v[3:4], v[3:4], v[9:10]
	s_add_u32 s2, s18, s0
	s_addc_u32 s3, s19, s1
	v_add_f64 v[5:6], v[5:6], v[13:14]
	s_lshl_b64 s[0:1], s[6:7], 4
	v_mov_b32_e32 v12, v0
	s_add_u32 s0, s2, s0
	v_lshlrev_b64 v[0:1], 4, v[11:12]
	v_add_f64 v[3:4], v[3:4], v[7:8]
	s_addc_u32 s1, s3, s1
	v_mov_b32_e32 v11, s1
	v_mul_f64 v[7:8], s[8:9], v[5:6]
	v_mul_f64 v[9:10], s[10:11], v[5:6]
	v_add_co_u32_e32 v0, vcc, s0, v0
	v_addc_co_u32_e32 v1, vcc, v11, v1, vcc
	v_add_co_u32_e32 v0, vcc, v0, v2
	v_fma_f64 v[5:6], s[10:11], v[3:4], v[7:8]
	v_fma_f64 v[3:4], s[8:9], v[3:4], -v[9:10]
	v_addc_co_u32_e32 v1, vcc, 0, v1, vcc
	flat_store_dwordx4 v[0:1], v[3:6]
.LBB190_15:
	s_endpgm
	.section	.rodata,"a",@progbits
	.p2align	6, 0x0
	.amdhsa_kernel _ZL23rocblas_trmm_rTx_kernelILi16ELb1E19rocblas_complex_numIdEPKS1_KS3_KPS1_Ev13rocblas_fill_17rocblas_diagonal_iiT2_lPT3_llSB_llPT4_lli
		.amdhsa_group_segment_fixed_size 8192
		.amdhsa_private_segment_fixed_size 0
		.amdhsa_kernarg_size 108
		.amdhsa_user_sgpr_count 6
		.amdhsa_user_sgpr_private_segment_buffer 1
		.amdhsa_user_sgpr_dispatch_ptr 0
		.amdhsa_user_sgpr_queue_ptr 0
		.amdhsa_user_sgpr_kernarg_segment_ptr 1
		.amdhsa_user_sgpr_dispatch_id 0
		.amdhsa_user_sgpr_flat_scratch_init 0
		.amdhsa_user_sgpr_private_segment_size 0
		.amdhsa_uses_dynamic_stack 0
		.amdhsa_system_sgpr_private_segment_wavefront_offset 0
		.amdhsa_system_sgpr_workgroup_id_x 1
		.amdhsa_system_sgpr_workgroup_id_y 0
		.amdhsa_system_sgpr_workgroup_id_z 1
		.amdhsa_system_sgpr_workgroup_info 0
		.amdhsa_system_vgpr_workitem_id 1
		.amdhsa_next_free_vgpr 48
		.amdhsa_next_free_sgpr 61
		.amdhsa_reserve_vcc 1
		.amdhsa_reserve_flat_scratch 0
		.amdhsa_float_round_mode_32 0
		.amdhsa_float_round_mode_16_64 0
		.amdhsa_float_denorm_mode_32 3
		.amdhsa_float_denorm_mode_16_64 3
		.amdhsa_dx10_clamp 1
		.amdhsa_ieee_mode 1
		.amdhsa_fp16_overflow 0
		.amdhsa_exception_fp_ieee_invalid_op 0
		.amdhsa_exception_fp_denorm_src 0
		.amdhsa_exception_fp_ieee_div_zero 0
		.amdhsa_exception_fp_ieee_overflow 0
		.amdhsa_exception_fp_ieee_underflow 0
		.amdhsa_exception_fp_ieee_inexact 0
		.amdhsa_exception_int_div_zero 0
	.end_amdhsa_kernel
	.section	.text._ZL23rocblas_trmm_rTx_kernelILi16ELb1E19rocblas_complex_numIdEPKS1_KS3_KPS1_Ev13rocblas_fill_17rocblas_diagonal_iiT2_lPT3_llSB_llPT4_lli,"axG",@progbits,_ZL23rocblas_trmm_rTx_kernelILi16ELb1E19rocblas_complex_numIdEPKS1_KS3_KPS1_Ev13rocblas_fill_17rocblas_diagonal_iiT2_lPT3_llSB_llPT4_lli,comdat
.Lfunc_end190:
	.size	_ZL23rocblas_trmm_rTx_kernelILi16ELb1E19rocblas_complex_numIdEPKS1_KS3_KPS1_Ev13rocblas_fill_17rocblas_diagonal_iiT2_lPT3_llSB_llPT4_lli, .Lfunc_end190-_ZL23rocblas_trmm_rTx_kernelILi16ELb1E19rocblas_complex_numIdEPKS1_KS3_KPS1_Ev13rocblas_fill_17rocblas_diagonal_iiT2_lPT3_llSB_llPT4_lli
                                        ; -- End function
	.set _ZL23rocblas_trmm_rTx_kernelILi16ELb1E19rocblas_complex_numIdEPKS1_KS3_KPS1_Ev13rocblas_fill_17rocblas_diagonal_iiT2_lPT3_llSB_llPT4_lli.num_vgpr, 48
	.set _ZL23rocblas_trmm_rTx_kernelILi16ELb1E19rocblas_complex_numIdEPKS1_KS3_KPS1_Ev13rocblas_fill_17rocblas_diagonal_iiT2_lPT3_llSB_llPT4_lli.num_agpr, 0
	.set _ZL23rocblas_trmm_rTx_kernelILi16ELb1E19rocblas_complex_numIdEPKS1_KS3_KPS1_Ev13rocblas_fill_17rocblas_diagonal_iiT2_lPT3_llSB_llPT4_lli.numbered_sgpr, 38
	.set _ZL23rocblas_trmm_rTx_kernelILi16ELb1E19rocblas_complex_numIdEPKS1_KS3_KPS1_Ev13rocblas_fill_17rocblas_diagonal_iiT2_lPT3_llSB_llPT4_lli.num_named_barrier, 0
	.set _ZL23rocblas_trmm_rTx_kernelILi16ELb1E19rocblas_complex_numIdEPKS1_KS3_KPS1_Ev13rocblas_fill_17rocblas_diagonal_iiT2_lPT3_llSB_llPT4_lli.private_seg_size, 0
	.set _ZL23rocblas_trmm_rTx_kernelILi16ELb1E19rocblas_complex_numIdEPKS1_KS3_KPS1_Ev13rocblas_fill_17rocblas_diagonal_iiT2_lPT3_llSB_llPT4_lli.uses_vcc, 1
	.set _ZL23rocblas_trmm_rTx_kernelILi16ELb1E19rocblas_complex_numIdEPKS1_KS3_KPS1_Ev13rocblas_fill_17rocblas_diagonal_iiT2_lPT3_llSB_llPT4_lli.uses_flat_scratch, 0
	.set _ZL23rocblas_trmm_rTx_kernelILi16ELb1E19rocblas_complex_numIdEPKS1_KS3_KPS1_Ev13rocblas_fill_17rocblas_diagonal_iiT2_lPT3_llSB_llPT4_lli.has_dyn_sized_stack, 0
	.set _ZL23rocblas_trmm_rTx_kernelILi16ELb1E19rocblas_complex_numIdEPKS1_KS3_KPS1_Ev13rocblas_fill_17rocblas_diagonal_iiT2_lPT3_llSB_llPT4_lli.has_recursion, 0
	.set _ZL23rocblas_trmm_rTx_kernelILi16ELb1E19rocblas_complex_numIdEPKS1_KS3_KPS1_Ev13rocblas_fill_17rocblas_diagonal_iiT2_lPT3_llSB_llPT4_lli.has_indirect_call, 0
	.section	.AMDGPU.csdata,"",@progbits
; Kernel info:
; codeLenInByte = 1876
; TotalNumSgprs: 42
; NumVgprs: 48
; ScratchSize: 0
; MemoryBound: 0
; FloatMode: 240
; IeeeMode: 1
; LDSByteSize: 8192 bytes/workgroup (compile time only)
; SGPRBlocks: 8
; VGPRBlocks: 11
; NumSGPRsForWavesPerEU: 65
; NumVGPRsForWavesPerEU: 48
; Occupancy: 5
; WaveLimiterHint : 1
; COMPUTE_PGM_RSRC2:SCRATCH_EN: 0
; COMPUTE_PGM_RSRC2:USER_SGPR: 6
; COMPUTE_PGM_RSRC2:TRAP_HANDLER: 0
; COMPUTE_PGM_RSRC2:TGID_X_EN: 1
; COMPUTE_PGM_RSRC2:TGID_Y_EN: 0
; COMPUTE_PGM_RSRC2:TGID_Z_EN: 1
; COMPUTE_PGM_RSRC2:TIDIG_COMP_CNT: 1
	.section	.text._ZL23rocblas_trmm_rTx_kernelILi16ELb1E19rocblas_complex_numIdES1_KPKS1_KPS1_Ev13rocblas_fill_17rocblas_diagonal_iiT2_lPT3_llSB_llPT4_lli,"axG",@progbits,_ZL23rocblas_trmm_rTx_kernelILi16ELb1E19rocblas_complex_numIdES1_KPKS1_KPS1_Ev13rocblas_fill_17rocblas_diagonal_iiT2_lPT3_llSB_llPT4_lli,comdat
	.globl	_ZL23rocblas_trmm_rTx_kernelILi16ELb1E19rocblas_complex_numIdES1_KPKS1_KPS1_Ev13rocblas_fill_17rocblas_diagonal_iiT2_lPT3_llSB_llPT4_lli ; -- Begin function _ZL23rocblas_trmm_rTx_kernelILi16ELb1E19rocblas_complex_numIdES1_KPKS1_KPS1_Ev13rocblas_fill_17rocblas_diagonal_iiT2_lPT3_llSB_llPT4_lli
	.p2align	8
	.type	_ZL23rocblas_trmm_rTx_kernelILi16ELb1E19rocblas_complex_numIdES1_KPKS1_KPS1_Ev13rocblas_fill_17rocblas_diagonal_iiT2_lPT3_llSB_llPT4_lli,@function
_ZL23rocblas_trmm_rTx_kernelILi16ELb1E19rocblas_complex_numIdES1_KPKS1_KPS1_Ev13rocblas_fill_17rocblas_diagonal_iiT2_lPT3_llSB_llPT4_lli: ; @_ZL23rocblas_trmm_rTx_kernelILi16ELb1E19rocblas_complex_numIdES1_KPKS1_KPS1_Ev13rocblas_fill_17rocblas_diagonal_iiT2_lPT3_llSB_llPT4_lli
; %bb.0:
	s_load_dwordx4 s[24:27], s[4:5], 0x10
	s_waitcnt lgkmcnt(0)
	v_cmp_neq_f64_e64 s[2:3], s[24:25], 0
	v_cmp_neq_f64_e64 s[8:9], s[26:27], 0
	s_or_b64 s[2:3], s[2:3], s[8:9]
	s_andn2_b64 vcc, exec, s[2:3]
	s_cbranch_vccnz .LBB191_15
; %bb.1:
	s_load_dwordx16 s[8:23], s[4:5], 0x28
	s_load_dwordx4 s[28:31], s[4:5], 0x0
	s_mov_b32 s0, s7
	s_mov_b32 s1, 0
	s_lshl_b64 s[36:37], s[0:1], 3
	s_waitcnt lgkmcnt(0)
	s_add_u32 s2, s14, s36
	s_addc_u32 s3, s15, s37
	s_load_dwordx2 s[34:35], s[2:3], 0x0
	s_add_u32 s2, s20, s36
	s_addc_u32 s3, s21, s37
	s_load_dwordx2 s[14:15], s[2:3], 0x0
	s_mov_b32 s3, s1
	s_mov_b32 s0, s1
	;; [unrolled: 1-line block ×3, first 2 shown]
	v_mov_b32_e32 v8, s3
	v_lshlrev_b32_e32 v3, 4, v1
	v_mov_b32_e32 v7, s2
	v_mov_b32_e32 v6, s1
	;; [unrolled: 1-line block ×3, first 2 shown]
	v_cmp_gt_i32_e32 vcc, s31, v1
	v_cmp_gt_i32_e64 s[0:1], s31, v0
	v_add_lshl_u32 v4, v3, v0, 4
	s_and_b64 s[0:1], vcc, s[0:1]
	v_lshlrev_b32_e32 v2, 4, v0
	ds_write_b128 v4, v[5:8]
	ds_write_b128 v4, v[5:8] offset:4096
	s_and_saveexec_b64 s[2:3], s[0:1]
	s_cbranch_execz .LBB191_3
; %bb.2:
	v_mad_u64_u32 v[5:6], s[0:1], s10, v1, 0
	s_add_u32 s0, s8, s36
	s_addc_u32 s1, s9, s37
	s_load_dwordx2 s[0:1], s[0:1], 0x0
	v_mad_u64_u32 v[6:7], s[8:9], s11, v1, v[6:7]
	s_lshl_b64 s[8:9], s[12:13], 4
	s_waitcnt lgkmcnt(0)
	s_add_u32 s0, s0, s8
	v_lshlrev_b64 v[5:6], 4, v[5:6]
	s_addc_u32 s1, s1, s9
	v_mov_b32_e32 v7, s1
	v_add_co_u32_e64 v5, s[0:1], s0, v5
	v_addc_co_u32_e64 v6, s[0:1], v7, v6, s[0:1]
	v_add_co_u32_e64 v5, s[0:1], v5, v2
	v_addc_co_u32_e64 v6, s[0:1], 0, v6, s[0:1]
	flat_load_dwordx4 v[5:8], v[5:6]
	s_waitcnt vmcnt(0) lgkmcnt(0)
	v_xor_b32_e32 v8, 0x80000000, v8
	ds_write_b128 v4, v[5:8]
.LBB191_3:
	s_or_b64 exec, exec, s[2:3]
	s_add_i32 s0, s30, -1
	s_ashr_i32 s1, s0, 31
	s_lshr_b32 s1, s1, 28
	s_add_i32 s0, s0, s1
	s_ashr_i32 s1, s0, 4
	s_and_b32 s0, s0, -16
	s_sub_i32 s0, s30, s0
	s_cmp_ge_i32 s6, s1
	s_cselect_b32 s0, s0, 16
	s_lshl_b32 s2, s6, 4
	v_cmp_gt_i32_e64 s[0:1], s0, v0
	s_ashr_i32 s3, s2, 31
	s_and_b64 s[0:1], vcc, s[0:1]
	s_and_saveexec_b64 s[6:7], s[0:1]
	s_cbranch_execz .LBB191_5
; %bb.4:
	v_mad_u64_u32 v[5:6], s[8:9], s16, v1, 0
	s_lshl_b64 s[8:9], s[18:19], 4
	s_waitcnt lgkmcnt(0)
	s_add_u32 s10, s34, s8
	s_addc_u32 s11, s35, s9
	v_mad_u64_u32 v[6:7], s[8:9], s17, v1, v[6:7]
	s_lshl_b64 s[8:9], s[2:3], 4
	s_add_u32 s8, s10, s8
	v_lshlrev_b64 v[5:6], 4, v[5:6]
	s_addc_u32 s9, s11, s9
	v_mov_b32_e32 v7, s9
	v_add_co_u32_e32 v5, vcc, s8, v5
	v_addc_co_u32_e32 v6, vcc, v7, v6, vcc
	v_add_co_u32_e32 v5, vcc, v5, v2
	v_addc_co_u32_e32 v6, vcc, 0, v6, vcc
	flat_load_dwordx4 v[5:8], v[5:6]
	v_add_u32_e32 v9, 0x1000, v4
	s_waitcnt vmcnt(0) lgkmcnt(0)
	ds_write2_b64 v9, v[5:6], v[7:8] offset1:1
.LBB191_5:
	s_or_b64 exec, exec, s[6:7]
	s_cmpk_eq_i32 s29, 0x84
	s_cselect_b64 s[6:7], -1, 0
	v_cmp_eq_u32_e32 vcc, v1, v0
	s_and_b64 s[8:9], vcc, s[6:7]
	s_and_saveexec_b64 s[6:7], s[8:9]
; %bb.6:
	v_mov_b32_e32 v5, 0
	v_mov_b32_e32 v6, 0x3ff00000
	;; [unrolled: 1-line block ×4, first 2 shown]
	ds_write_b128 v4, v[5:8]
; %bb.7:
	s_or_b64 exec, exec, s[6:7]
	s_cmpk_lg_i32 s28, 0x79
	s_cbranch_scc0 .LBB191_9
; %bb.8:
	v_cmp_lt_u32_e32 vcc, v0, v1
	s_and_b64 s[6:7], vcc, exec
	s_cbranch_execz .LBB191_10
	s_branch .LBB191_11
.LBB191_9:
	s_mov_b64 s[6:7], 0
.LBB191_10:
	v_cmp_gt_u32_e32 vcc, v0, v1
	s_andn2_b64 s[6:7], s[6:7], exec
	s_and_b64 s[8:9], vcc, exec
	s_or_b64 s[6:7], s[6:7], s[8:9]
.LBB191_11:
	s_and_saveexec_b64 s[8:9], s[6:7]
; %bb.12:
	v_mov_b32_e32 v5, 0
	v_mov_b32_e32 v6, v5
	;; [unrolled: 1-line block ×4, first 2 shown]
	ds_write_b128 v4, v[5:8]
; %bb.13:
	s_or_b64 exec, exec, s[8:9]
	s_waitcnt lgkmcnt(0)
	s_barrier
	s_and_saveexec_b64 s[6:7], s[0:1]
	s_cbranch_execz .LBB191_15
; %bb.14:
	ds_read_b128 v[4:7], v2 offset:4096
	ds_read_b128 v[8:11], v3
	ds_read_b128 v[12:15], v3 offset:256
	ds_read_b128 v[16:19], v2 offset:4352
	;; [unrolled: 1-line block ×3, first 2 shown]
	s_load_dwordx2 s[0:1], s[4:5], 0x68
	s_waitcnt lgkmcnt(0)
	v_mul_f64 v[24:25], v[8:9], v[6:7]
	v_mul_f64 v[6:7], v[10:11], v[6:7]
	;; [unrolled: 1-line block ×4, first 2 shown]
	s_lshl_b64 s[0:1], s[0:1], 4
	v_fma_f64 v[10:11], v[10:11], v[4:5], v[24:25]
	ds_read_b128 v[24:27], v3 offset:512
	ds_read_b128 v[28:31], v3 offset:768
	;; [unrolled: 1-line block ×3, first 2 shown]
	v_fma_f64 v[40:41], v[8:9], v[4:5], -v[6:7]
	v_fma_f64 v[14:15], v[14:15], v[16:17], v[36:37]
	s_waitcnt lgkmcnt(2)
	v_mul_f64 v[38:39], v[24:25], v[22:23]
	v_mul_f64 v[22:23], v[26:27], v[22:23]
	s_waitcnt lgkmcnt(0)
	v_mul_f64 v[42:43], v[28:29], v[34:35]
	v_fma_f64 v[44:45], v[12:13], v[16:17], -v[18:19]
	v_add_f64 v[36:37], v[10:11], 0
	ds_read_b128 v[4:7], v2 offset:5120
	ds_read_b128 v[8:11], v3 offset:1024
	v_mul_f64 v[34:35], v[30:31], v[34:35]
	v_fma_f64 v[26:27], v[26:27], v[20:21], v[38:39]
	v_add_f64 v[38:39], v[40:41], 0
	s_waitcnt lgkmcnt(0)
	v_mul_f64 v[40:41], v[8:9], v[6:7]
	v_fma_f64 v[46:47], v[24:25], v[20:21], -v[22:23]
	v_add_f64 v[36:37], v[36:37], v[14:15]
	v_fma_f64 v[30:31], v[30:31], v[32:33], v[42:43]
	ds_read_b128 v[12:15], v3 offset:1280
	ds_read_b128 v[16:19], v2 offset:5376
	v_mul_f64 v[6:7], v[10:11], v[6:7]
	v_add_f64 v[38:39], v[38:39], v[44:45]
	v_fma_f64 v[44:45], v[28:29], v[32:33], -v[34:35]
	s_waitcnt lgkmcnt(0)
	v_mul_f64 v[42:43], v[12:13], v[18:19]
	v_add_f64 v[36:37], v[36:37], v[26:27]
	v_fma_f64 v[10:11], v[10:11], v[4:5], v[40:41]
	ds_read_b128 v[20:23], v2 offset:5632
	ds_read_b128 v[24:27], v3 offset:1536
	v_mul_f64 v[18:19], v[14:15], v[18:19]
	v_add_f64 v[38:39], v[38:39], v[46:47]
	v_fma_f64 v[46:47], v[8:9], v[4:5], -v[6:7]
	s_waitcnt lgkmcnt(0)
	v_mul_f64 v[40:41], v[24:25], v[22:23]
	;; [unrolled: 9-line block ×9, first 2 shown]
	v_add_f64 v[36:37], v[36:37], v[26:27]
	v_fma_f64 v[10:11], v[10:11], v[4:5], v[40:41]
	ds_read_b128 v[20:23], v3 offset:3584
	ds_read_b128 v[24:27], v2 offset:7680
	v_mul_f64 v[18:19], v[14:15], v[18:19]
	v_add_f64 v[38:39], v[38:39], v[46:47]
	s_waitcnt lgkmcnt(0)
	v_mul_f64 v[40:41], v[20:21], v[26:27]
	v_add_f64 v[36:37], v[36:37], v[30:31]
	ds_read_b128 v[28:31], v3 offset:3840
	ds_read_b128 v[32:35], v2 offset:7936
	v_fma_f64 v[3:4], v[8:9], v[4:5], -v[6:7]
	v_fma_f64 v[5:6], v[14:15], v[16:17], v[42:43]
	v_mul_f64 v[14:15], v[22:23], v[26:27]
	v_add_f64 v[7:8], v[38:39], v[44:45]
	s_waitcnt lgkmcnt(0)
	v_mul_f64 v[26:27], v[28:29], v[34:35]
	v_add_f64 v[9:10], v[36:37], v[10:11]
	v_fma_f64 v[11:12], v[12:13], v[16:17], -v[18:19]
	v_fma_f64 v[16:17], v[22:23], v[24:25], v[40:41]
	v_add_f64 v[3:4], v[7:8], v[3:4]
	v_mul_f64 v[7:8], v[30:31], v[34:35]
	v_add_f64 v[5:6], v[9:10], v[5:6]
	v_fma_f64 v[9:10], v[20:21], v[24:25], -v[14:15]
	v_fma_f64 v[13:14], v[30:31], v[32:33], v[26:27]
	v_add_f64 v[3:4], v[3:4], v[11:12]
	v_fma_f64 v[7:8], v[28:29], v[32:33], -v[7:8]
	v_mad_u64_u32 v[11:12], s[4:5], s22, v1, 0
	v_add_f64 v[5:6], v[5:6], v[16:17]
	v_mov_b32_e32 v0, v12
	v_mad_u64_u32 v[0:1], s[4:5], s23, v1, v[0:1]
	v_add_f64 v[3:4], v[3:4], v[9:10]
	s_add_u32 s4, s14, s0
	s_addc_u32 s5, s15, s1
	v_add_f64 v[5:6], v[5:6], v[13:14]
	s_lshl_b64 s[0:1], s[2:3], 4
	v_mov_b32_e32 v12, v0
	s_add_u32 s0, s4, s0
	v_lshlrev_b64 v[0:1], 4, v[11:12]
	v_add_f64 v[3:4], v[3:4], v[7:8]
	s_addc_u32 s1, s5, s1
	v_mov_b32_e32 v11, s1
	v_mul_f64 v[7:8], s[24:25], v[5:6]
	v_mul_f64 v[9:10], s[26:27], v[5:6]
	v_add_co_u32_e32 v0, vcc, s0, v0
	v_addc_co_u32_e32 v1, vcc, v11, v1, vcc
	v_add_co_u32_e32 v0, vcc, v0, v2
	v_fma_f64 v[5:6], s[26:27], v[3:4], v[7:8]
	v_fma_f64 v[3:4], s[24:25], v[3:4], -v[9:10]
	v_addc_co_u32_e32 v1, vcc, 0, v1, vcc
	flat_store_dwordx4 v[0:1], v[3:6]
.LBB191_15:
	s_endpgm
	.section	.rodata,"a",@progbits
	.p2align	6, 0x0
	.amdhsa_kernel _ZL23rocblas_trmm_rTx_kernelILi16ELb1E19rocblas_complex_numIdES1_KPKS1_KPS1_Ev13rocblas_fill_17rocblas_diagonal_iiT2_lPT3_llSB_llPT4_lli
		.amdhsa_group_segment_fixed_size 8192
		.amdhsa_private_segment_fixed_size 0
		.amdhsa_kernarg_size 116
		.amdhsa_user_sgpr_count 6
		.amdhsa_user_sgpr_private_segment_buffer 1
		.amdhsa_user_sgpr_dispatch_ptr 0
		.amdhsa_user_sgpr_queue_ptr 0
		.amdhsa_user_sgpr_kernarg_segment_ptr 1
		.amdhsa_user_sgpr_dispatch_id 0
		.amdhsa_user_sgpr_flat_scratch_init 0
		.amdhsa_user_sgpr_private_segment_size 0
		.amdhsa_uses_dynamic_stack 0
		.amdhsa_system_sgpr_private_segment_wavefront_offset 0
		.amdhsa_system_sgpr_workgroup_id_x 1
		.amdhsa_system_sgpr_workgroup_id_y 0
		.amdhsa_system_sgpr_workgroup_id_z 1
		.amdhsa_system_sgpr_workgroup_info 0
		.amdhsa_system_vgpr_workitem_id 1
		.amdhsa_next_free_vgpr 48
		.amdhsa_next_free_sgpr 61
		.amdhsa_reserve_vcc 1
		.amdhsa_reserve_flat_scratch 0
		.amdhsa_float_round_mode_32 0
		.amdhsa_float_round_mode_16_64 0
		.amdhsa_float_denorm_mode_32 3
		.amdhsa_float_denorm_mode_16_64 3
		.amdhsa_dx10_clamp 1
		.amdhsa_ieee_mode 1
		.amdhsa_fp16_overflow 0
		.amdhsa_exception_fp_ieee_invalid_op 0
		.amdhsa_exception_fp_denorm_src 0
		.amdhsa_exception_fp_ieee_div_zero 0
		.amdhsa_exception_fp_ieee_overflow 0
		.amdhsa_exception_fp_ieee_underflow 0
		.amdhsa_exception_fp_ieee_inexact 0
		.amdhsa_exception_int_div_zero 0
	.end_amdhsa_kernel
	.section	.text._ZL23rocblas_trmm_rTx_kernelILi16ELb1E19rocblas_complex_numIdES1_KPKS1_KPS1_Ev13rocblas_fill_17rocblas_diagonal_iiT2_lPT3_llSB_llPT4_lli,"axG",@progbits,_ZL23rocblas_trmm_rTx_kernelILi16ELb1E19rocblas_complex_numIdES1_KPKS1_KPS1_Ev13rocblas_fill_17rocblas_diagonal_iiT2_lPT3_llSB_llPT4_lli,comdat
.Lfunc_end191:
	.size	_ZL23rocblas_trmm_rTx_kernelILi16ELb1E19rocblas_complex_numIdES1_KPKS1_KPS1_Ev13rocblas_fill_17rocblas_diagonal_iiT2_lPT3_llSB_llPT4_lli, .Lfunc_end191-_ZL23rocblas_trmm_rTx_kernelILi16ELb1E19rocblas_complex_numIdES1_KPKS1_KPS1_Ev13rocblas_fill_17rocblas_diagonal_iiT2_lPT3_llSB_llPT4_lli
                                        ; -- End function
	.set _ZL23rocblas_trmm_rTx_kernelILi16ELb1E19rocblas_complex_numIdES1_KPKS1_KPS1_Ev13rocblas_fill_17rocblas_diagonal_iiT2_lPT3_llSB_llPT4_lli.num_vgpr, 48
	.set _ZL23rocblas_trmm_rTx_kernelILi16ELb1E19rocblas_complex_numIdES1_KPKS1_KPS1_Ev13rocblas_fill_17rocblas_diagonal_iiT2_lPT3_llSB_llPT4_lli.num_agpr, 0
	.set _ZL23rocblas_trmm_rTx_kernelILi16ELb1E19rocblas_complex_numIdES1_KPKS1_KPS1_Ev13rocblas_fill_17rocblas_diagonal_iiT2_lPT3_llSB_llPT4_lli.numbered_sgpr, 38
	.set _ZL23rocblas_trmm_rTx_kernelILi16ELb1E19rocblas_complex_numIdES1_KPKS1_KPS1_Ev13rocblas_fill_17rocblas_diagonal_iiT2_lPT3_llSB_llPT4_lli.num_named_barrier, 0
	.set _ZL23rocblas_trmm_rTx_kernelILi16ELb1E19rocblas_complex_numIdES1_KPKS1_KPS1_Ev13rocblas_fill_17rocblas_diagonal_iiT2_lPT3_llSB_llPT4_lli.private_seg_size, 0
	.set _ZL23rocblas_trmm_rTx_kernelILi16ELb1E19rocblas_complex_numIdES1_KPKS1_KPS1_Ev13rocblas_fill_17rocblas_diagonal_iiT2_lPT3_llSB_llPT4_lli.uses_vcc, 1
	.set _ZL23rocblas_trmm_rTx_kernelILi16ELb1E19rocblas_complex_numIdES1_KPKS1_KPS1_Ev13rocblas_fill_17rocblas_diagonal_iiT2_lPT3_llSB_llPT4_lli.uses_flat_scratch, 0
	.set _ZL23rocblas_trmm_rTx_kernelILi16ELb1E19rocblas_complex_numIdES1_KPKS1_KPS1_Ev13rocblas_fill_17rocblas_diagonal_iiT2_lPT3_llSB_llPT4_lli.has_dyn_sized_stack, 0
	.set _ZL23rocblas_trmm_rTx_kernelILi16ELb1E19rocblas_complex_numIdES1_KPKS1_KPS1_Ev13rocblas_fill_17rocblas_diagonal_iiT2_lPT3_llSB_llPT4_lli.has_recursion, 0
	.set _ZL23rocblas_trmm_rTx_kernelILi16ELb1E19rocblas_complex_numIdES1_KPKS1_KPS1_Ev13rocblas_fill_17rocblas_diagonal_iiT2_lPT3_llSB_llPT4_lli.has_indirect_call, 0
	.section	.AMDGPU.csdata,"",@progbits
; Kernel info:
; codeLenInByte = 1836
; TotalNumSgprs: 42
; NumVgprs: 48
; ScratchSize: 0
; MemoryBound: 0
; FloatMode: 240
; IeeeMode: 1
; LDSByteSize: 8192 bytes/workgroup (compile time only)
; SGPRBlocks: 8
; VGPRBlocks: 11
; NumSGPRsForWavesPerEU: 65
; NumVGPRsForWavesPerEU: 48
; Occupancy: 5
; WaveLimiterHint : 1
; COMPUTE_PGM_RSRC2:SCRATCH_EN: 0
; COMPUTE_PGM_RSRC2:USER_SGPR: 6
; COMPUTE_PGM_RSRC2:TRAP_HANDLER: 0
; COMPUTE_PGM_RSRC2:TGID_X_EN: 1
; COMPUTE_PGM_RSRC2:TGID_Y_EN: 0
; COMPUTE_PGM_RSRC2:TGID_Z_EN: 1
; COMPUTE_PGM_RSRC2:TIDIG_COMP_CNT: 1
	.section	.text._ZL44rocblas_set_matrix_zero_if_alpha_zero_kernelILi16ELi16EPKfPKPfEviiT1_lT2_lli,"axG",@progbits,_ZL44rocblas_set_matrix_zero_if_alpha_zero_kernelILi16ELi16EPKfPKPfEviiT1_lT2_lli,comdat
	.globl	_ZL44rocblas_set_matrix_zero_if_alpha_zero_kernelILi16ELi16EPKfPKPfEviiT1_lT2_lli ; -- Begin function _ZL44rocblas_set_matrix_zero_if_alpha_zero_kernelILi16ELi16EPKfPKPfEviiT1_lT2_lli
	.p2align	8
	.type	_ZL44rocblas_set_matrix_zero_if_alpha_zero_kernelILi16ELi16EPKfPKPfEviiT1_lT2_lli,@function
_ZL44rocblas_set_matrix_zero_if_alpha_zero_kernelILi16ELi16EPKfPKPfEviiT1_lT2_lli: ; @_ZL44rocblas_set_matrix_zero_if_alpha_zero_kernelILi16ELi16EPKfPKPfEviiT1_lT2_lli
; %bb.0:
	s_load_dwordx8 s[12:19], s[4:5], 0x8
	s_waitcnt lgkmcnt(0)
	s_mul_i32 s0, s15, s8
	s_mul_hi_u32 s1, s14, s8
	s_add_i32 s1, s1, s0
	s_mul_i32 s0, s14, s8
	s_lshl_b64 s[0:1], s[0:1], 2
	s_add_u32 s0, s12, s0
	s_addc_u32 s1, s13, s1
	s_load_dword s0, s[0:1], 0x0
	s_waitcnt lgkmcnt(0)
	v_cmp_neq_f32_e64 s[0:1], s0, 0
	s_and_b64 vcc, exec, s[0:1]
	s_cbranch_vccnz .LBB192_4
; %bb.1:
	s_load_dwordx2 s[0:1], s[4:5], 0x0
	v_lshl_add_u32 v2, s6, 4, v0
	v_mov_b32_e32 v3, 0
	v_lshl_add_u32 v0, s7, 4, v1
	v_mov_b32_e32 v1, v3
	s_waitcnt lgkmcnt(0)
	s_ashr_i32 s3, s0, 31
	s_mov_b32 s2, s0
	v_cmp_gt_i64_e32 vcc, s[2:3], v[2:3]
	s_ashr_i32 s3, s1, 31
	s_mov_b32 s2, s1
	v_cmp_gt_i64_e64 s[0:1], s[2:3], v[0:1]
	s_and_b64 s[0:1], vcc, s[0:1]
	s_and_saveexec_b64 s[6:7], s[0:1]
	s_cbranch_execz .LBB192_4
; %bb.2:
	v_mad_u64_u32 v[4:5], s[6:7], s18, v0, 0
	s_mov_b32 s9, 0
	s_lshl_b64 s[0:1], s[8:9], 3
	s_load_dwordx2 s[6:7], s[4:5], 0x28
	s_load_dword s8, s[4:5], 0x3c
	v_mad_u64_u32 v[5:6], s[4:5], s19, v0, v[5:6]
	s_add_u32 s0, s16, s0
	s_addc_u32 s1, s17, s1
	v_lshlrev_b64 v[4:5], 2, v[4:5]
	s_waitcnt lgkmcnt(0)
	s_lshl_b64 s[4:5], s[6:7], 2
	s_load_dwordx2 s[0:1], s[0:1], 0x0
	v_mov_b32_e32 v6, s5
	v_add_co_u32_e32 v7, vcc, s4, v4
	v_addc_co_u32_e32 v6, vcc, v5, v6, vcc
	v_lshlrev_b64 v[4:5], 2, v[2:3]
	s_lshl_b32 s8, s8, 4
	v_add_co_u32_e32 v2, vcc, v7, v4
	v_addc_co_u32_e32 v5, vcc, v6, v5, vcc
	s_waitcnt lgkmcnt(0)
	v_mov_b32_e32 v6, s1
	v_add_co_u32_e32 v4, vcc, s0, v2
	s_mul_i32 s0, s19, s8
	s_mul_hi_u32 s1, s18, s8
	s_add_i32 s1, s1, s0
	s_mul_i32 s0, s18, s8
	s_lshl_b64 s[4:5], s[0:1], 2
	v_addc_co_u32_e32 v5, vcc, v6, v5, vcc
	s_mov_b64 s[6:7], 0
	v_mov_b32_e32 v2, s5
.LBB192_3:                              ; =>This Inner Loop Header: Depth=1
	v_add_co_u32_e32 v0, vcc, s8, v0
	v_addc_co_u32_e32 v1, vcc, 0, v1, vcc
	v_cmp_le_i64_e64 s[0:1], s[2:3], v[0:1]
	flat_store_dword v[4:5], v3
	v_add_co_u32_e32 v4, vcc, s4, v4
	s_or_b64 s[6:7], s[0:1], s[6:7]
	v_addc_co_u32_e32 v5, vcc, v5, v2, vcc
	s_andn2_b64 exec, exec, s[6:7]
	s_cbranch_execnz .LBB192_3
.LBB192_4:
	s_endpgm
	.section	.rodata,"a",@progbits
	.p2align	6, 0x0
	.amdhsa_kernel _ZL44rocblas_set_matrix_zero_if_alpha_zero_kernelILi16ELi16EPKfPKPfEviiT1_lT2_lli
		.amdhsa_group_segment_fixed_size 0
		.amdhsa_private_segment_fixed_size 0
		.amdhsa_kernarg_size 312
		.amdhsa_user_sgpr_count 6
		.amdhsa_user_sgpr_private_segment_buffer 1
		.amdhsa_user_sgpr_dispatch_ptr 0
		.amdhsa_user_sgpr_queue_ptr 0
		.amdhsa_user_sgpr_kernarg_segment_ptr 1
		.amdhsa_user_sgpr_dispatch_id 0
		.amdhsa_user_sgpr_flat_scratch_init 0
		.amdhsa_user_sgpr_private_segment_size 0
		.amdhsa_uses_dynamic_stack 0
		.amdhsa_system_sgpr_private_segment_wavefront_offset 0
		.amdhsa_system_sgpr_workgroup_id_x 1
		.amdhsa_system_sgpr_workgroup_id_y 1
		.amdhsa_system_sgpr_workgroup_id_z 1
		.amdhsa_system_sgpr_workgroup_info 0
		.amdhsa_system_vgpr_workitem_id 1
		.amdhsa_next_free_vgpr 8
		.amdhsa_next_free_sgpr 20
		.amdhsa_reserve_vcc 1
		.amdhsa_reserve_flat_scratch 0
		.amdhsa_float_round_mode_32 0
		.amdhsa_float_round_mode_16_64 0
		.amdhsa_float_denorm_mode_32 3
		.amdhsa_float_denorm_mode_16_64 3
		.amdhsa_dx10_clamp 1
		.amdhsa_ieee_mode 1
		.amdhsa_fp16_overflow 0
		.amdhsa_exception_fp_ieee_invalid_op 0
		.amdhsa_exception_fp_denorm_src 0
		.amdhsa_exception_fp_ieee_div_zero 0
		.amdhsa_exception_fp_ieee_overflow 0
		.amdhsa_exception_fp_ieee_underflow 0
		.amdhsa_exception_fp_ieee_inexact 0
		.amdhsa_exception_int_div_zero 0
	.end_amdhsa_kernel
	.section	.text._ZL44rocblas_set_matrix_zero_if_alpha_zero_kernelILi16ELi16EPKfPKPfEviiT1_lT2_lli,"axG",@progbits,_ZL44rocblas_set_matrix_zero_if_alpha_zero_kernelILi16ELi16EPKfPKPfEviiT1_lT2_lli,comdat
.Lfunc_end192:
	.size	_ZL44rocblas_set_matrix_zero_if_alpha_zero_kernelILi16ELi16EPKfPKPfEviiT1_lT2_lli, .Lfunc_end192-_ZL44rocblas_set_matrix_zero_if_alpha_zero_kernelILi16ELi16EPKfPKPfEviiT1_lT2_lli
                                        ; -- End function
	.set _ZL44rocblas_set_matrix_zero_if_alpha_zero_kernelILi16ELi16EPKfPKPfEviiT1_lT2_lli.num_vgpr, 8
	.set _ZL44rocblas_set_matrix_zero_if_alpha_zero_kernelILi16ELi16EPKfPKPfEviiT1_lT2_lli.num_agpr, 0
	.set _ZL44rocblas_set_matrix_zero_if_alpha_zero_kernelILi16ELi16EPKfPKPfEviiT1_lT2_lli.numbered_sgpr, 20
	.set _ZL44rocblas_set_matrix_zero_if_alpha_zero_kernelILi16ELi16EPKfPKPfEviiT1_lT2_lli.num_named_barrier, 0
	.set _ZL44rocblas_set_matrix_zero_if_alpha_zero_kernelILi16ELi16EPKfPKPfEviiT1_lT2_lli.private_seg_size, 0
	.set _ZL44rocblas_set_matrix_zero_if_alpha_zero_kernelILi16ELi16EPKfPKPfEviiT1_lT2_lli.uses_vcc, 1
	.set _ZL44rocblas_set_matrix_zero_if_alpha_zero_kernelILi16ELi16EPKfPKPfEviiT1_lT2_lli.uses_flat_scratch, 0
	.set _ZL44rocblas_set_matrix_zero_if_alpha_zero_kernelILi16ELi16EPKfPKPfEviiT1_lT2_lli.has_dyn_sized_stack, 0
	.set _ZL44rocblas_set_matrix_zero_if_alpha_zero_kernelILi16ELi16EPKfPKPfEviiT1_lT2_lli.has_recursion, 0
	.set _ZL44rocblas_set_matrix_zero_if_alpha_zero_kernelILi16ELi16EPKfPKPfEviiT1_lT2_lli.has_indirect_call, 0
	.section	.AMDGPU.csdata,"",@progbits
; Kernel info:
; codeLenInByte = 340
; TotalNumSgprs: 24
; NumVgprs: 8
; ScratchSize: 0
; MemoryBound: 0
; FloatMode: 240
; IeeeMode: 1
; LDSByteSize: 0 bytes/workgroup (compile time only)
; SGPRBlocks: 2
; VGPRBlocks: 1
; NumSGPRsForWavesPerEU: 24
; NumVGPRsForWavesPerEU: 8
; Occupancy: 10
; WaveLimiterHint : 0
; COMPUTE_PGM_RSRC2:SCRATCH_EN: 0
; COMPUTE_PGM_RSRC2:USER_SGPR: 6
; COMPUTE_PGM_RSRC2:TRAP_HANDLER: 0
; COMPUTE_PGM_RSRC2:TGID_X_EN: 1
; COMPUTE_PGM_RSRC2:TGID_Y_EN: 1
; COMPUTE_PGM_RSRC2:TGID_Z_EN: 1
; COMPUTE_PGM_RSRC2:TIDIG_COMP_CNT: 1
	.section	.text._ZL44rocblas_set_matrix_zero_if_alpha_zero_kernelILi16ELi16EfPKPfEviiT1_lT2_lli,"axG",@progbits,_ZL44rocblas_set_matrix_zero_if_alpha_zero_kernelILi16ELi16EfPKPfEviiT1_lT2_lli,comdat
	.globl	_ZL44rocblas_set_matrix_zero_if_alpha_zero_kernelILi16ELi16EfPKPfEviiT1_lT2_lli ; -- Begin function _ZL44rocblas_set_matrix_zero_if_alpha_zero_kernelILi16ELi16EfPKPfEviiT1_lT2_lli
	.p2align	8
	.type	_ZL44rocblas_set_matrix_zero_if_alpha_zero_kernelILi16ELi16EfPKPfEviiT1_lT2_lli,@function
_ZL44rocblas_set_matrix_zero_if_alpha_zero_kernelILi16ELi16EfPKPfEviiT1_lT2_lli: ; @_ZL44rocblas_set_matrix_zero_if_alpha_zero_kernelILi16ELi16EfPKPfEviiT1_lT2_lli
; %bb.0:
	s_load_dwordx4 s[0:3], s[4:5], 0x0
	s_waitcnt lgkmcnt(0)
	v_cmp_neq_f32_e64 s[2:3], s2, 0
	s_and_b64 vcc, exec, s[2:3]
	s_cbranch_vccnz .LBB193_4
; %bb.1:
	v_lshl_add_u32 v2, s6, 4, v0
	v_mov_b32_e32 v3, 0
	s_ashr_i32 s3, s0, 31
	s_mov_b32 s2, s0
	v_lshl_add_u32 v0, s7, 4, v1
	v_mov_b32_e32 v1, v3
	v_cmp_gt_i64_e32 vcc, s[2:3], v[2:3]
	s_ashr_i32 s3, s1, 31
	s_mov_b32 s2, s1
	v_cmp_gt_i64_e64 s[0:1], s[2:3], v[0:1]
	s_and_b64 s[0:1], vcc, s[0:1]
	s_and_saveexec_b64 s[6:7], s[0:1]
	s_cbranch_execz .LBB193_4
; %bb.2:
	s_load_dwordx4 s[12:15], s[4:5], 0x18
	s_load_dwordx2 s[0:1], s[4:5], 0x28
	s_mov_b32 s9, 0
	s_load_dword s10, s[4:5], 0x3c
	s_lshl_b64 s[4:5], s[8:9], 3
	s_waitcnt lgkmcnt(0)
	v_mad_u64_u32 v[4:5], s[6:7], s14, v0, 0
	s_add_u32 s4, s12, s4
	s_addc_u32 s5, s13, s5
	v_mad_u64_u32 v[5:6], s[6:7], s15, v0, v[5:6]
	s_lshl_b64 s[0:1], s[0:1], 2
	s_load_dwordx2 s[4:5], s[4:5], 0x0
	v_lshlrev_b64 v[4:5], 2, v[4:5]
	v_mov_b32_e32 v6, s1
	v_add_co_u32_e32 v7, vcc, s0, v4
	v_addc_co_u32_e32 v6, vcc, v5, v6, vcc
	v_lshlrev_b64 v[4:5], 2, v[2:3]
	s_lshl_b32 s8, s10, 4
	v_add_co_u32_e32 v2, vcc, v7, v4
	s_mul_i32 s0, s15, s8
	s_mul_hi_u32 s1, s14, s8
	v_addc_co_u32_e32 v5, vcc, v6, v5, vcc
	s_add_i32 s1, s1, s0
	s_mul_i32 s0, s14, s8
	s_waitcnt lgkmcnt(0)
	v_mov_b32_e32 v6, s5
	v_add_co_u32_e32 v4, vcc, s4, v2
	s_lshl_b64 s[4:5], s[0:1], 2
	v_addc_co_u32_e32 v5, vcc, v6, v5, vcc
	s_mov_b64 s[6:7], 0
	v_mov_b32_e32 v2, s5
.LBB193_3:                              ; =>This Inner Loop Header: Depth=1
	v_add_co_u32_e32 v0, vcc, s8, v0
	v_addc_co_u32_e32 v1, vcc, 0, v1, vcc
	v_cmp_le_i64_e64 s[0:1], s[2:3], v[0:1]
	flat_store_dword v[4:5], v3
	v_add_co_u32_e32 v4, vcc, s4, v4
	s_or_b64 s[6:7], s[0:1], s[6:7]
	v_addc_co_u32_e32 v5, vcc, v5, v2, vcc
	s_andn2_b64 exec, exec, s[6:7]
	s_cbranch_execnz .LBB193_3
.LBB193_4:
	s_endpgm
	.section	.rodata,"a",@progbits
	.p2align	6, 0x0
	.amdhsa_kernel _ZL44rocblas_set_matrix_zero_if_alpha_zero_kernelILi16ELi16EfPKPfEviiT1_lT2_lli
		.amdhsa_group_segment_fixed_size 0
		.amdhsa_private_segment_fixed_size 0
		.amdhsa_kernarg_size 312
		.amdhsa_user_sgpr_count 6
		.amdhsa_user_sgpr_private_segment_buffer 1
		.amdhsa_user_sgpr_dispatch_ptr 0
		.amdhsa_user_sgpr_queue_ptr 0
		.amdhsa_user_sgpr_kernarg_segment_ptr 1
		.amdhsa_user_sgpr_dispatch_id 0
		.amdhsa_user_sgpr_flat_scratch_init 0
		.amdhsa_user_sgpr_private_segment_size 0
		.amdhsa_uses_dynamic_stack 0
		.amdhsa_system_sgpr_private_segment_wavefront_offset 0
		.amdhsa_system_sgpr_workgroup_id_x 1
		.amdhsa_system_sgpr_workgroup_id_y 1
		.amdhsa_system_sgpr_workgroup_id_z 1
		.amdhsa_system_sgpr_workgroup_info 0
		.amdhsa_system_vgpr_workitem_id 1
		.amdhsa_next_free_vgpr 8
		.amdhsa_next_free_sgpr 16
		.amdhsa_reserve_vcc 1
		.amdhsa_reserve_flat_scratch 0
		.amdhsa_float_round_mode_32 0
		.amdhsa_float_round_mode_16_64 0
		.amdhsa_float_denorm_mode_32 3
		.amdhsa_float_denorm_mode_16_64 3
		.amdhsa_dx10_clamp 1
		.amdhsa_ieee_mode 1
		.amdhsa_fp16_overflow 0
		.amdhsa_exception_fp_ieee_invalid_op 0
		.amdhsa_exception_fp_denorm_src 0
		.amdhsa_exception_fp_ieee_div_zero 0
		.amdhsa_exception_fp_ieee_overflow 0
		.amdhsa_exception_fp_ieee_underflow 0
		.amdhsa_exception_fp_ieee_inexact 0
		.amdhsa_exception_int_div_zero 0
	.end_amdhsa_kernel
	.section	.text._ZL44rocblas_set_matrix_zero_if_alpha_zero_kernelILi16ELi16EfPKPfEviiT1_lT2_lli,"axG",@progbits,_ZL44rocblas_set_matrix_zero_if_alpha_zero_kernelILi16ELi16EfPKPfEviiT1_lT2_lli,comdat
.Lfunc_end193:
	.size	_ZL44rocblas_set_matrix_zero_if_alpha_zero_kernelILi16ELi16EfPKPfEviiT1_lT2_lli, .Lfunc_end193-_ZL44rocblas_set_matrix_zero_if_alpha_zero_kernelILi16ELi16EfPKPfEviiT1_lT2_lli
                                        ; -- End function
	.set _ZL44rocblas_set_matrix_zero_if_alpha_zero_kernelILi16ELi16EfPKPfEviiT1_lT2_lli.num_vgpr, 8
	.set _ZL44rocblas_set_matrix_zero_if_alpha_zero_kernelILi16ELi16EfPKPfEviiT1_lT2_lli.num_agpr, 0
	.set _ZL44rocblas_set_matrix_zero_if_alpha_zero_kernelILi16ELi16EfPKPfEviiT1_lT2_lli.numbered_sgpr, 16
	.set _ZL44rocblas_set_matrix_zero_if_alpha_zero_kernelILi16ELi16EfPKPfEviiT1_lT2_lli.num_named_barrier, 0
	.set _ZL44rocblas_set_matrix_zero_if_alpha_zero_kernelILi16ELi16EfPKPfEviiT1_lT2_lli.private_seg_size, 0
	.set _ZL44rocblas_set_matrix_zero_if_alpha_zero_kernelILi16ELi16EfPKPfEviiT1_lT2_lli.uses_vcc, 1
	.set _ZL44rocblas_set_matrix_zero_if_alpha_zero_kernelILi16ELi16EfPKPfEviiT1_lT2_lli.uses_flat_scratch, 0
	.set _ZL44rocblas_set_matrix_zero_if_alpha_zero_kernelILi16ELi16EfPKPfEviiT1_lT2_lli.has_dyn_sized_stack, 0
	.set _ZL44rocblas_set_matrix_zero_if_alpha_zero_kernelILi16ELi16EfPKPfEviiT1_lT2_lli.has_recursion, 0
	.set _ZL44rocblas_set_matrix_zero_if_alpha_zero_kernelILi16ELi16EfPKPfEviiT1_lT2_lli.has_indirect_call, 0
	.section	.AMDGPU.csdata,"",@progbits
; Kernel info:
; codeLenInByte = 296
; TotalNumSgprs: 20
; NumVgprs: 8
; ScratchSize: 0
; MemoryBound: 0
; FloatMode: 240
; IeeeMode: 1
; LDSByteSize: 0 bytes/workgroup (compile time only)
; SGPRBlocks: 2
; VGPRBlocks: 1
; NumSGPRsForWavesPerEU: 20
; NumVGPRsForWavesPerEU: 8
; Occupancy: 10
; WaveLimiterHint : 0
; COMPUTE_PGM_RSRC2:SCRATCH_EN: 0
; COMPUTE_PGM_RSRC2:USER_SGPR: 6
; COMPUTE_PGM_RSRC2:TRAP_HANDLER: 0
; COMPUTE_PGM_RSRC2:TGID_X_EN: 1
; COMPUTE_PGM_RSRC2:TGID_Y_EN: 1
; COMPUTE_PGM_RSRC2:TGID_Z_EN: 1
; COMPUTE_PGM_RSRC2:TIDIG_COMP_CNT: 1
	.section	.text._ZL44rocblas_set_matrix_zero_if_alpha_zero_kernelILi16ELi16EPKfPfEviiT1_lT2_lli,"axG",@progbits,_ZL44rocblas_set_matrix_zero_if_alpha_zero_kernelILi16ELi16EPKfPfEviiT1_lT2_lli,comdat
	.globl	_ZL44rocblas_set_matrix_zero_if_alpha_zero_kernelILi16ELi16EPKfPfEviiT1_lT2_lli ; -- Begin function _ZL44rocblas_set_matrix_zero_if_alpha_zero_kernelILi16ELi16EPKfPfEviiT1_lT2_lli
	.p2align	8
	.type	_ZL44rocblas_set_matrix_zero_if_alpha_zero_kernelILi16ELi16EPKfPfEviiT1_lT2_lli,@function
_ZL44rocblas_set_matrix_zero_if_alpha_zero_kernelILi16ELi16EPKfPfEviiT1_lT2_lli: ; @_ZL44rocblas_set_matrix_zero_if_alpha_zero_kernelILi16ELi16EPKfPfEviiT1_lT2_lli
; %bb.0:
	s_load_dwordx8 s[12:19], s[4:5], 0x8
	s_waitcnt lgkmcnt(0)
	s_mul_i32 s0, s15, s8
	s_mul_hi_u32 s1, s14, s8
	s_add_i32 s1, s1, s0
	s_mul_i32 s0, s14, s8
	s_lshl_b64 s[0:1], s[0:1], 2
	s_add_u32 s0, s12, s0
	s_addc_u32 s1, s13, s1
	s_load_dword s0, s[0:1], 0x0
	s_waitcnt lgkmcnt(0)
	v_cmp_neq_f32_e64 s[0:1], s0, 0
	s_and_b64 vcc, exec, s[0:1]
	s_cbranch_vccnz .LBB194_4
; %bb.1:
	s_load_dwordx2 s[0:1], s[4:5], 0x0
	v_lshl_add_u32 v2, s6, 4, v0
	v_mov_b32_e32 v3, 0
	v_lshl_add_u32 v0, s7, 4, v1
	v_mov_b32_e32 v1, v3
	s_waitcnt lgkmcnt(0)
	s_ashr_i32 s3, s0, 31
	s_mov_b32 s2, s0
	v_cmp_gt_i64_e32 vcc, s[2:3], v[2:3]
	s_ashr_i32 s3, s1, 31
	s_mov_b32 s2, s1
	v_cmp_gt_i64_e64 s[0:1], s[2:3], v[0:1]
	s_and_b64 s[0:1], vcc, s[0:1]
	s_and_saveexec_b64 s[6:7], s[0:1]
	s_cbranch_execz .LBB194_4
; %bb.2:
	s_load_dword s6, s[4:5], 0x3c
	s_load_dwordx2 s[0:1], s[4:5], 0x28
	v_mad_u64_u32 v[4:5], s[4:5], s18, v0, 0
	s_waitcnt lgkmcnt(0)
	s_lshl_b32 s9, s6, 4
	v_mad_u64_u32 v[5:6], s[4:5], s19, v0, v[5:6]
	s_mul_i32 s1, s1, s8
	s_mul_hi_u32 s6, s0, s8
	s_add_i32 s1, s6, s1
	s_mul_i32 s0, s0, s8
	v_lshlrev_b64 v[4:5], 2, v[4:5]
	s_lshl_b64 s[0:1], s[0:1], 2
	v_mov_b32_e32 v6, s1
	v_add_co_u32_e32 v7, vcc, s0, v4
	v_addc_co_u32_e32 v6, vcc, v6, v5, vcc
	v_lshlrev_b64 v[4:5], 2, v[2:3]
	s_mul_i32 s0, s19, s9
	v_add_co_u32_e32 v2, vcc, v7, v4
	s_mul_hi_u32 s1, s18, s9
	v_addc_co_u32_e32 v5, vcc, v6, v5, vcc
	s_add_i32 s1, s1, s0
	s_mul_i32 s0, s18, s9
	v_mov_b32_e32 v6, s17
	v_add_co_u32_e32 v4, vcc, s16, v2
	s_lshl_b64 s[4:5], s[0:1], 2
	v_addc_co_u32_e32 v5, vcc, v6, v5, vcc
	s_mov_b64 s[6:7], 0
	v_mov_b32_e32 v2, s5
.LBB194_3:                              ; =>This Inner Loop Header: Depth=1
	v_add_co_u32_e32 v0, vcc, s9, v0
	v_addc_co_u32_e32 v1, vcc, 0, v1, vcc
	v_cmp_le_i64_e64 s[0:1], s[2:3], v[0:1]
	global_store_dword v[4:5], v3, off
	v_add_co_u32_e32 v4, vcc, s4, v4
	s_or_b64 s[6:7], s[0:1], s[6:7]
	v_addc_co_u32_e32 v5, vcc, v5, v2, vcc
	s_andn2_b64 exec, exec, s[6:7]
	s_cbranch_execnz .LBB194_3
.LBB194_4:
	s_endpgm
	.section	.rodata,"a",@progbits
	.p2align	6, 0x0
	.amdhsa_kernel _ZL44rocblas_set_matrix_zero_if_alpha_zero_kernelILi16ELi16EPKfPfEviiT1_lT2_lli
		.amdhsa_group_segment_fixed_size 0
		.amdhsa_private_segment_fixed_size 0
		.amdhsa_kernarg_size 312
		.amdhsa_user_sgpr_count 6
		.amdhsa_user_sgpr_private_segment_buffer 1
		.amdhsa_user_sgpr_dispatch_ptr 0
		.amdhsa_user_sgpr_queue_ptr 0
		.amdhsa_user_sgpr_kernarg_segment_ptr 1
		.amdhsa_user_sgpr_dispatch_id 0
		.amdhsa_user_sgpr_flat_scratch_init 0
		.amdhsa_user_sgpr_private_segment_size 0
		.amdhsa_uses_dynamic_stack 0
		.amdhsa_system_sgpr_private_segment_wavefront_offset 0
		.amdhsa_system_sgpr_workgroup_id_x 1
		.amdhsa_system_sgpr_workgroup_id_y 1
		.amdhsa_system_sgpr_workgroup_id_z 1
		.amdhsa_system_sgpr_workgroup_info 0
		.amdhsa_system_vgpr_workitem_id 1
		.amdhsa_next_free_vgpr 8
		.amdhsa_next_free_sgpr 20
		.amdhsa_reserve_vcc 1
		.amdhsa_reserve_flat_scratch 0
		.amdhsa_float_round_mode_32 0
		.amdhsa_float_round_mode_16_64 0
		.amdhsa_float_denorm_mode_32 3
		.amdhsa_float_denorm_mode_16_64 3
		.amdhsa_dx10_clamp 1
		.amdhsa_ieee_mode 1
		.amdhsa_fp16_overflow 0
		.amdhsa_exception_fp_ieee_invalid_op 0
		.amdhsa_exception_fp_denorm_src 0
		.amdhsa_exception_fp_ieee_div_zero 0
		.amdhsa_exception_fp_ieee_overflow 0
		.amdhsa_exception_fp_ieee_underflow 0
		.amdhsa_exception_fp_ieee_inexact 0
		.amdhsa_exception_int_div_zero 0
	.end_amdhsa_kernel
	.section	.text._ZL44rocblas_set_matrix_zero_if_alpha_zero_kernelILi16ELi16EPKfPfEviiT1_lT2_lli,"axG",@progbits,_ZL44rocblas_set_matrix_zero_if_alpha_zero_kernelILi16ELi16EPKfPfEviiT1_lT2_lli,comdat
.Lfunc_end194:
	.size	_ZL44rocblas_set_matrix_zero_if_alpha_zero_kernelILi16ELi16EPKfPfEviiT1_lT2_lli, .Lfunc_end194-_ZL44rocblas_set_matrix_zero_if_alpha_zero_kernelILi16ELi16EPKfPfEviiT1_lT2_lli
                                        ; -- End function
	.set _ZL44rocblas_set_matrix_zero_if_alpha_zero_kernelILi16ELi16EPKfPfEviiT1_lT2_lli.num_vgpr, 8
	.set _ZL44rocblas_set_matrix_zero_if_alpha_zero_kernelILi16ELi16EPKfPfEviiT1_lT2_lli.num_agpr, 0
	.set _ZL44rocblas_set_matrix_zero_if_alpha_zero_kernelILi16ELi16EPKfPfEviiT1_lT2_lli.numbered_sgpr, 20
	.set _ZL44rocblas_set_matrix_zero_if_alpha_zero_kernelILi16ELi16EPKfPfEviiT1_lT2_lli.num_named_barrier, 0
	.set _ZL44rocblas_set_matrix_zero_if_alpha_zero_kernelILi16ELi16EPKfPfEviiT1_lT2_lli.private_seg_size, 0
	.set _ZL44rocblas_set_matrix_zero_if_alpha_zero_kernelILi16ELi16EPKfPfEviiT1_lT2_lli.uses_vcc, 1
	.set _ZL44rocblas_set_matrix_zero_if_alpha_zero_kernelILi16ELi16EPKfPfEviiT1_lT2_lli.uses_flat_scratch, 0
	.set _ZL44rocblas_set_matrix_zero_if_alpha_zero_kernelILi16ELi16EPKfPfEviiT1_lT2_lli.has_dyn_sized_stack, 0
	.set _ZL44rocblas_set_matrix_zero_if_alpha_zero_kernelILi16ELi16EPKfPfEviiT1_lT2_lli.has_recursion, 0
	.set _ZL44rocblas_set_matrix_zero_if_alpha_zero_kernelILi16ELi16EPKfPfEviiT1_lT2_lli.has_indirect_call, 0
	.section	.AMDGPU.csdata,"",@progbits
; Kernel info:
; codeLenInByte = 328
; TotalNumSgprs: 24
; NumVgprs: 8
; ScratchSize: 0
; MemoryBound: 0
; FloatMode: 240
; IeeeMode: 1
; LDSByteSize: 0 bytes/workgroup (compile time only)
; SGPRBlocks: 2
; VGPRBlocks: 1
; NumSGPRsForWavesPerEU: 24
; NumVGPRsForWavesPerEU: 8
; Occupancy: 10
; WaveLimiterHint : 0
; COMPUTE_PGM_RSRC2:SCRATCH_EN: 0
; COMPUTE_PGM_RSRC2:USER_SGPR: 6
; COMPUTE_PGM_RSRC2:TRAP_HANDLER: 0
; COMPUTE_PGM_RSRC2:TGID_X_EN: 1
; COMPUTE_PGM_RSRC2:TGID_Y_EN: 1
; COMPUTE_PGM_RSRC2:TGID_Z_EN: 1
; COMPUTE_PGM_RSRC2:TIDIG_COMP_CNT: 1
	.section	.text._ZL44rocblas_set_matrix_zero_if_alpha_zero_kernelILi16ELi16EfPfEviiT1_lT2_lli,"axG",@progbits,_ZL44rocblas_set_matrix_zero_if_alpha_zero_kernelILi16ELi16EfPfEviiT1_lT2_lli,comdat
	.globl	_ZL44rocblas_set_matrix_zero_if_alpha_zero_kernelILi16ELi16EfPfEviiT1_lT2_lli ; -- Begin function _ZL44rocblas_set_matrix_zero_if_alpha_zero_kernelILi16ELi16EfPfEviiT1_lT2_lli
	.p2align	8
	.type	_ZL44rocblas_set_matrix_zero_if_alpha_zero_kernelILi16ELi16EfPfEviiT1_lT2_lli,@function
_ZL44rocblas_set_matrix_zero_if_alpha_zero_kernelILi16ELi16EfPfEviiT1_lT2_lli: ; @_ZL44rocblas_set_matrix_zero_if_alpha_zero_kernelILi16ELi16EfPfEviiT1_lT2_lli
; %bb.0:
	s_load_dwordx4 s[0:3], s[4:5], 0x0
	s_waitcnt lgkmcnt(0)
	v_cmp_neq_f32_e64 s[2:3], s2, 0
	s_and_b64 vcc, exec, s[2:3]
	s_cbranch_vccnz .LBB195_4
; %bb.1:
	v_lshl_add_u32 v2, s6, 4, v0
	v_mov_b32_e32 v3, 0
	s_ashr_i32 s3, s0, 31
	s_mov_b32 s2, s0
	v_lshl_add_u32 v0, s7, 4, v1
	v_mov_b32_e32 v1, v3
	v_cmp_gt_i64_e32 vcc, s[2:3], v[2:3]
	s_ashr_i32 s3, s1, 31
	s_mov_b32 s2, s1
	v_cmp_gt_i64_e64 s[0:1], s[2:3], v[0:1]
	s_and_b64 s[0:1], vcc, s[0:1]
	s_and_saveexec_b64 s[6:7], s[0:1]
	s_cbranch_execz .LBB195_4
; %bb.2:
	s_load_dwordx4 s[12:15], s[4:5], 0x18
	s_load_dword s6, s[4:5], 0x3c
	s_load_dwordx2 s[0:1], s[4:5], 0x28
	s_waitcnt lgkmcnt(0)
	v_mad_u64_u32 v[4:5], s[4:5], s14, v0, 0
	s_lshl_b32 s9, s6, 4
	s_mul_i32 s1, s1, s8
	v_mad_u64_u32 v[5:6], s[4:5], s15, v0, v[5:6]
	s_mul_hi_u32 s6, s0, s8
	s_mul_i32 s0, s0, s8
	s_add_i32 s1, s6, s1
	v_lshlrev_b64 v[4:5], 2, v[4:5]
	s_lshl_b64 s[0:1], s[0:1], 2
	v_mov_b32_e32 v6, s1
	v_add_co_u32_e32 v7, vcc, s0, v4
	v_addc_co_u32_e32 v6, vcc, v6, v5, vcc
	v_lshlrev_b64 v[4:5], 2, v[2:3]
	s_mul_i32 s0, s15, s9
	v_add_co_u32_e32 v2, vcc, v7, v4
	s_mul_hi_u32 s1, s14, s9
	v_addc_co_u32_e32 v5, vcc, v6, v5, vcc
	s_add_i32 s1, s1, s0
	s_mul_i32 s0, s14, s9
	v_mov_b32_e32 v6, s13
	v_add_co_u32_e32 v4, vcc, s12, v2
	s_lshl_b64 s[4:5], s[0:1], 2
	v_addc_co_u32_e32 v5, vcc, v6, v5, vcc
	s_mov_b64 s[6:7], 0
	v_mov_b32_e32 v2, s5
.LBB195_3:                              ; =>This Inner Loop Header: Depth=1
	v_add_co_u32_e32 v0, vcc, s9, v0
	v_addc_co_u32_e32 v1, vcc, 0, v1, vcc
	v_cmp_le_i64_e64 s[0:1], s[2:3], v[0:1]
	global_store_dword v[4:5], v3, off
	v_add_co_u32_e32 v4, vcc, s4, v4
	s_or_b64 s[6:7], s[0:1], s[6:7]
	v_addc_co_u32_e32 v5, vcc, v5, v2, vcc
	s_andn2_b64 exec, exec, s[6:7]
	s_cbranch_execnz .LBB195_3
.LBB195_4:
	s_endpgm
	.section	.rodata,"a",@progbits
	.p2align	6, 0x0
	.amdhsa_kernel _ZL44rocblas_set_matrix_zero_if_alpha_zero_kernelILi16ELi16EfPfEviiT1_lT2_lli
		.amdhsa_group_segment_fixed_size 0
		.amdhsa_private_segment_fixed_size 0
		.amdhsa_kernarg_size 312
		.amdhsa_user_sgpr_count 6
		.amdhsa_user_sgpr_private_segment_buffer 1
		.amdhsa_user_sgpr_dispatch_ptr 0
		.amdhsa_user_sgpr_queue_ptr 0
		.amdhsa_user_sgpr_kernarg_segment_ptr 1
		.amdhsa_user_sgpr_dispatch_id 0
		.amdhsa_user_sgpr_flat_scratch_init 0
		.amdhsa_user_sgpr_private_segment_size 0
		.amdhsa_uses_dynamic_stack 0
		.amdhsa_system_sgpr_private_segment_wavefront_offset 0
		.amdhsa_system_sgpr_workgroup_id_x 1
		.amdhsa_system_sgpr_workgroup_id_y 1
		.amdhsa_system_sgpr_workgroup_id_z 1
		.amdhsa_system_sgpr_workgroup_info 0
		.amdhsa_system_vgpr_workitem_id 1
		.amdhsa_next_free_vgpr 8
		.amdhsa_next_free_sgpr 16
		.amdhsa_reserve_vcc 1
		.amdhsa_reserve_flat_scratch 0
		.amdhsa_float_round_mode_32 0
		.amdhsa_float_round_mode_16_64 0
		.amdhsa_float_denorm_mode_32 3
		.amdhsa_float_denorm_mode_16_64 3
		.amdhsa_dx10_clamp 1
		.amdhsa_ieee_mode 1
		.amdhsa_fp16_overflow 0
		.amdhsa_exception_fp_ieee_invalid_op 0
		.amdhsa_exception_fp_denorm_src 0
		.amdhsa_exception_fp_ieee_div_zero 0
		.amdhsa_exception_fp_ieee_overflow 0
		.amdhsa_exception_fp_ieee_underflow 0
		.amdhsa_exception_fp_ieee_inexact 0
		.amdhsa_exception_int_div_zero 0
	.end_amdhsa_kernel
	.section	.text._ZL44rocblas_set_matrix_zero_if_alpha_zero_kernelILi16ELi16EfPfEviiT1_lT2_lli,"axG",@progbits,_ZL44rocblas_set_matrix_zero_if_alpha_zero_kernelILi16ELi16EfPfEviiT1_lT2_lli,comdat
.Lfunc_end195:
	.size	_ZL44rocblas_set_matrix_zero_if_alpha_zero_kernelILi16ELi16EfPfEviiT1_lT2_lli, .Lfunc_end195-_ZL44rocblas_set_matrix_zero_if_alpha_zero_kernelILi16ELi16EfPfEviiT1_lT2_lli
                                        ; -- End function
	.set _ZL44rocblas_set_matrix_zero_if_alpha_zero_kernelILi16ELi16EfPfEviiT1_lT2_lli.num_vgpr, 8
	.set _ZL44rocblas_set_matrix_zero_if_alpha_zero_kernelILi16ELi16EfPfEviiT1_lT2_lli.num_agpr, 0
	.set _ZL44rocblas_set_matrix_zero_if_alpha_zero_kernelILi16ELi16EfPfEviiT1_lT2_lli.numbered_sgpr, 16
	.set _ZL44rocblas_set_matrix_zero_if_alpha_zero_kernelILi16ELi16EfPfEviiT1_lT2_lli.num_named_barrier, 0
	.set _ZL44rocblas_set_matrix_zero_if_alpha_zero_kernelILi16ELi16EfPfEviiT1_lT2_lli.private_seg_size, 0
	.set _ZL44rocblas_set_matrix_zero_if_alpha_zero_kernelILi16ELi16EfPfEviiT1_lT2_lli.uses_vcc, 1
	.set _ZL44rocblas_set_matrix_zero_if_alpha_zero_kernelILi16ELi16EfPfEviiT1_lT2_lli.uses_flat_scratch, 0
	.set _ZL44rocblas_set_matrix_zero_if_alpha_zero_kernelILi16ELi16EfPfEviiT1_lT2_lli.has_dyn_sized_stack, 0
	.set _ZL44rocblas_set_matrix_zero_if_alpha_zero_kernelILi16ELi16EfPfEviiT1_lT2_lli.has_recursion, 0
	.set _ZL44rocblas_set_matrix_zero_if_alpha_zero_kernelILi16ELi16EfPfEviiT1_lT2_lli.has_indirect_call, 0
	.section	.AMDGPU.csdata,"",@progbits
; Kernel info:
; codeLenInByte = 284
; TotalNumSgprs: 20
; NumVgprs: 8
; ScratchSize: 0
; MemoryBound: 0
; FloatMode: 240
; IeeeMode: 1
; LDSByteSize: 0 bytes/workgroup (compile time only)
; SGPRBlocks: 2
; VGPRBlocks: 1
; NumSGPRsForWavesPerEU: 20
; NumVGPRsForWavesPerEU: 8
; Occupancy: 10
; WaveLimiterHint : 0
; COMPUTE_PGM_RSRC2:SCRATCH_EN: 0
; COMPUTE_PGM_RSRC2:USER_SGPR: 6
; COMPUTE_PGM_RSRC2:TRAP_HANDLER: 0
; COMPUTE_PGM_RSRC2:TGID_X_EN: 1
; COMPUTE_PGM_RSRC2:TGID_Y_EN: 1
; COMPUTE_PGM_RSRC2:TGID_Z_EN: 1
; COMPUTE_PGM_RSRC2:TIDIG_COMP_CNT: 1
	.section	.text._ZL44rocblas_set_matrix_zero_if_alpha_zero_kernelILi16ELi16EPKdPdEviiT1_lT2_lli,"axG",@progbits,_ZL44rocblas_set_matrix_zero_if_alpha_zero_kernelILi16ELi16EPKdPdEviiT1_lT2_lli,comdat
	.globl	_ZL44rocblas_set_matrix_zero_if_alpha_zero_kernelILi16ELi16EPKdPdEviiT1_lT2_lli ; -- Begin function _ZL44rocblas_set_matrix_zero_if_alpha_zero_kernelILi16ELi16EPKdPdEviiT1_lT2_lli
	.p2align	8
	.type	_ZL44rocblas_set_matrix_zero_if_alpha_zero_kernelILi16ELi16EPKdPdEviiT1_lT2_lli,@function
_ZL44rocblas_set_matrix_zero_if_alpha_zero_kernelILi16ELi16EPKdPdEviiT1_lT2_lli: ; @_ZL44rocblas_set_matrix_zero_if_alpha_zero_kernelILi16ELi16EPKdPdEviiT1_lT2_lli
; %bb.0:
	s_load_dwordx8 s[12:19], s[4:5], 0x8
	s_waitcnt lgkmcnt(0)
	s_mul_i32 s0, s15, s8
	s_mul_hi_u32 s1, s14, s8
	s_add_i32 s1, s1, s0
	s_mul_i32 s0, s14, s8
	s_lshl_b64 s[0:1], s[0:1], 3
	s_add_u32 s0, s12, s0
	s_addc_u32 s1, s13, s1
	s_load_dwordx2 s[0:1], s[0:1], 0x0
	s_waitcnt lgkmcnt(0)
	v_cmp_neq_f64_e64 s[0:1], s[0:1], 0
	s_and_b64 vcc, exec, s[0:1]
	s_cbranch_vccnz .LBB196_4
; %bb.1:
	s_load_dwordx2 s[0:1], s[4:5], 0x0
	v_lshl_add_u32 v2, s6, 4, v0
	v_mov_b32_e32 v3, 0
	v_lshl_add_u32 v0, s7, 4, v1
	v_mov_b32_e32 v1, v3
	s_waitcnt lgkmcnt(0)
	s_ashr_i32 s3, s0, 31
	s_mov_b32 s2, s0
	v_cmp_gt_i64_e32 vcc, s[2:3], v[2:3]
	s_ashr_i32 s3, s1, 31
	s_mov_b32 s2, s1
	v_cmp_gt_i64_e64 s[0:1], s[2:3], v[0:1]
	s_and_b64 s[0:1], vcc, s[0:1]
	s_and_saveexec_b64 s[6:7], s[0:1]
	s_cbranch_execz .LBB196_4
; %bb.2:
	s_load_dword s6, s[4:5], 0x3c
	s_load_dwordx2 s[0:1], s[4:5], 0x28
	v_mad_u64_u32 v[4:5], s[4:5], s18, v0, 0
	s_waitcnt lgkmcnt(0)
	s_lshl_b32 s9, s6, 4
	v_mad_u64_u32 v[5:6], s[4:5], s19, v0, v[5:6]
	s_mul_i32 s1, s1, s8
	s_mul_hi_u32 s6, s0, s8
	s_add_i32 s1, s6, s1
	s_mul_i32 s0, s0, s8
	v_lshlrev_b64 v[4:5], 3, v[4:5]
	s_lshl_b64 s[0:1], s[0:1], 3
	v_mov_b32_e32 v6, s1
	v_add_co_u32_e32 v7, vcc, s0, v4
	v_addc_co_u32_e32 v6, vcc, v6, v5, vcc
	v_lshlrev_b64 v[4:5], 3, v[2:3]
	s_mul_i32 s0, s19, s9
	v_add_co_u32_e32 v2, vcc, v7, v4
	s_mul_hi_u32 s1, s18, s9
	v_addc_co_u32_e32 v5, vcc, v6, v5, vcc
	s_add_i32 s1, s1, s0
	s_mul_i32 s0, s18, s9
	v_mov_b32_e32 v6, s17
	v_add_co_u32_e32 v4, vcc, s16, v2
	s_lshl_b64 s[4:5], s[0:1], 3
	v_addc_co_u32_e32 v5, vcc, v6, v5, vcc
	s_mov_b64 s[6:7], 0
	v_mov_b32_e32 v2, v3
	v_mov_b32_e32 v6, s5
.LBB196_3:                              ; =>This Inner Loop Header: Depth=1
	v_add_co_u32_e32 v0, vcc, s9, v0
	v_addc_co_u32_e32 v1, vcc, 0, v1, vcc
	v_cmp_le_i64_e64 s[0:1], s[2:3], v[0:1]
	global_store_dwordx2 v[4:5], v[2:3], off
	v_add_co_u32_e32 v4, vcc, s4, v4
	s_or_b64 s[6:7], s[0:1], s[6:7]
	v_addc_co_u32_e32 v5, vcc, v5, v6, vcc
	s_andn2_b64 exec, exec, s[6:7]
	s_cbranch_execnz .LBB196_3
.LBB196_4:
	s_endpgm
	.section	.rodata,"a",@progbits
	.p2align	6, 0x0
	.amdhsa_kernel _ZL44rocblas_set_matrix_zero_if_alpha_zero_kernelILi16ELi16EPKdPdEviiT1_lT2_lli
		.amdhsa_group_segment_fixed_size 0
		.amdhsa_private_segment_fixed_size 0
		.amdhsa_kernarg_size 312
		.amdhsa_user_sgpr_count 6
		.amdhsa_user_sgpr_private_segment_buffer 1
		.amdhsa_user_sgpr_dispatch_ptr 0
		.amdhsa_user_sgpr_queue_ptr 0
		.amdhsa_user_sgpr_kernarg_segment_ptr 1
		.amdhsa_user_sgpr_dispatch_id 0
		.amdhsa_user_sgpr_flat_scratch_init 0
		.amdhsa_user_sgpr_private_segment_size 0
		.amdhsa_uses_dynamic_stack 0
		.amdhsa_system_sgpr_private_segment_wavefront_offset 0
		.amdhsa_system_sgpr_workgroup_id_x 1
		.amdhsa_system_sgpr_workgroup_id_y 1
		.amdhsa_system_sgpr_workgroup_id_z 1
		.amdhsa_system_sgpr_workgroup_info 0
		.amdhsa_system_vgpr_workitem_id 1
		.amdhsa_next_free_vgpr 8
		.amdhsa_next_free_sgpr 20
		.amdhsa_reserve_vcc 1
		.amdhsa_reserve_flat_scratch 0
		.amdhsa_float_round_mode_32 0
		.amdhsa_float_round_mode_16_64 0
		.amdhsa_float_denorm_mode_32 3
		.amdhsa_float_denorm_mode_16_64 3
		.amdhsa_dx10_clamp 1
		.amdhsa_ieee_mode 1
		.amdhsa_fp16_overflow 0
		.amdhsa_exception_fp_ieee_invalid_op 0
		.amdhsa_exception_fp_denorm_src 0
		.amdhsa_exception_fp_ieee_div_zero 0
		.amdhsa_exception_fp_ieee_overflow 0
		.amdhsa_exception_fp_ieee_underflow 0
		.amdhsa_exception_fp_ieee_inexact 0
		.amdhsa_exception_int_div_zero 0
	.end_amdhsa_kernel
	.section	.text._ZL44rocblas_set_matrix_zero_if_alpha_zero_kernelILi16ELi16EPKdPdEviiT1_lT2_lli,"axG",@progbits,_ZL44rocblas_set_matrix_zero_if_alpha_zero_kernelILi16ELi16EPKdPdEviiT1_lT2_lli,comdat
.Lfunc_end196:
	.size	_ZL44rocblas_set_matrix_zero_if_alpha_zero_kernelILi16ELi16EPKdPdEviiT1_lT2_lli, .Lfunc_end196-_ZL44rocblas_set_matrix_zero_if_alpha_zero_kernelILi16ELi16EPKdPdEviiT1_lT2_lli
                                        ; -- End function
	.set _ZL44rocblas_set_matrix_zero_if_alpha_zero_kernelILi16ELi16EPKdPdEviiT1_lT2_lli.num_vgpr, 8
	.set _ZL44rocblas_set_matrix_zero_if_alpha_zero_kernelILi16ELi16EPKdPdEviiT1_lT2_lli.num_agpr, 0
	.set _ZL44rocblas_set_matrix_zero_if_alpha_zero_kernelILi16ELi16EPKdPdEviiT1_lT2_lli.numbered_sgpr, 20
	.set _ZL44rocblas_set_matrix_zero_if_alpha_zero_kernelILi16ELi16EPKdPdEviiT1_lT2_lli.num_named_barrier, 0
	.set _ZL44rocblas_set_matrix_zero_if_alpha_zero_kernelILi16ELi16EPKdPdEviiT1_lT2_lli.private_seg_size, 0
	.set _ZL44rocblas_set_matrix_zero_if_alpha_zero_kernelILi16ELi16EPKdPdEviiT1_lT2_lli.uses_vcc, 1
	.set _ZL44rocblas_set_matrix_zero_if_alpha_zero_kernelILi16ELi16EPKdPdEviiT1_lT2_lli.uses_flat_scratch, 0
	.set _ZL44rocblas_set_matrix_zero_if_alpha_zero_kernelILi16ELi16EPKdPdEviiT1_lT2_lli.has_dyn_sized_stack, 0
	.set _ZL44rocblas_set_matrix_zero_if_alpha_zero_kernelILi16ELi16EPKdPdEviiT1_lT2_lli.has_recursion, 0
	.set _ZL44rocblas_set_matrix_zero_if_alpha_zero_kernelILi16ELi16EPKdPdEviiT1_lT2_lli.has_indirect_call, 0
	.section	.AMDGPU.csdata,"",@progbits
; Kernel info:
; codeLenInByte = 332
; TotalNumSgprs: 24
; NumVgprs: 8
; ScratchSize: 0
; MemoryBound: 0
; FloatMode: 240
; IeeeMode: 1
; LDSByteSize: 0 bytes/workgroup (compile time only)
; SGPRBlocks: 2
; VGPRBlocks: 1
; NumSGPRsForWavesPerEU: 24
; NumVGPRsForWavesPerEU: 8
; Occupancy: 10
; WaveLimiterHint : 0
; COMPUTE_PGM_RSRC2:SCRATCH_EN: 0
; COMPUTE_PGM_RSRC2:USER_SGPR: 6
; COMPUTE_PGM_RSRC2:TRAP_HANDLER: 0
; COMPUTE_PGM_RSRC2:TGID_X_EN: 1
; COMPUTE_PGM_RSRC2:TGID_Y_EN: 1
; COMPUTE_PGM_RSRC2:TGID_Z_EN: 1
; COMPUTE_PGM_RSRC2:TIDIG_COMP_CNT: 1
	.section	.text._ZL44rocblas_set_matrix_zero_if_alpha_zero_kernelILi16ELi16EdPdEviiT1_lT2_lli,"axG",@progbits,_ZL44rocblas_set_matrix_zero_if_alpha_zero_kernelILi16ELi16EdPdEviiT1_lT2_lli,comdat
	.globl	_ZL44rocblas_set_matrix_zero_if_alpha_zero_kernelILi16ELi16EdPdEviiT1_lT2_lli ; -- Begin function _ZL44rocblas_set_matrix_zero_if_alpha_zero_kernelILi16ELi16EdPdEviiT1_lT2_lli
	.p2align	8
	.type	_ZL44rocblas_set_matrix_zero_if_alpha_zero_kernelILi16ELi16EdPdEviiT1_lT2_lli,@function
_ZL44rocblas_set_matrix_zero_if_alpha_zero_kernelILi16ELi16EdPdEviiT1_lT2_lli: ; @_ZL44rocblas_set_matrix_zero_if_alpha_zero_kernelILi16ELi16EdPdEviiT1_lT2_lli
; %bb.0:
	s_load_dwordx2 s[0:1], s[4:5], 0x8
	s_waitcnt lgkmcnt(0)
	v_cmp_neq_f64_e64 s[0:1], s[0:1], 0
	s_and_b64 vcc, exec, s[0:1]
	s_cbranch_vccnz .LBB197_4
; %bb.1:
	s_load_dwordx2 s[0:1], s[4:5], 0x0
	v_lshl_add_u32 v2, s6, 4, v0
	v_mov_b32_e32 v3, 0
	v_lshl_add_u32 v0, s7, 4, v1
	v_mov_b32_e32 v1, v3
	s_waitcnt lgkmcnt(0)
	s_ashr_i32 s3, s0, 31
	s_mov_b32 s2, s0
	v_cmp_gt_i64_e32 vcc, s[2:3], v[2:3]
	s_ashr_i32 s3, s1, 31
	s_mov_b32 s2, s1
	v_cmp_gt_i64_e64 s[0:1], s[2:3], v[0:1]
	s_and_b64 s[0:1], vcc, s[0:1]
	s_and_saveexec_b64 s[6:7], s[0:1]
	s_cbranch_execz .LBB197_4
; %bb.2:
	s_load_dwordx4 s[12:15], s[4:5], 0x18
	s_load_dword s6, s[4:5], 0x3c
	s_load_dwordx2 s[0:1], s[4:5], 0x28
	s_waitcnt lgkmcnt(0)
	v_mad_u64_u32 v[4:5], s[4:5], s14, v0, 0
	s_lshl_b32 s9, s6, 4
	s_mul_i32 s1, s1, s8
	v_mad_u64_u32 v[5:6], s[4:5], s15, v0, v[5:6]
	s_mul_hi_u32 s6, s0, s8
	s_mul_i32 s0, s0, s8
	s_add_i32 s1, s6, s1
	v_lshlrev_b64 v[4:5], 3, v[4:5]
	s_lshl_b64 s[0:1], s[0:1], 3
	v_mov_b32_e32 v6, s1
	v_add_co_u32_e32 v7, vcc, s0, v4
	v_addc_co_u32_e32 v6, vcc, v6, v5, vcc
	v_lshlrev_b64 v[4:5], 3, v[2:3]
	s_mul_i32 s0, s15, s9
	v_add_co_u32_e32 v2, vcc, v7, v4
	s_mul_hi_u32 s1, s14, s9
	v_addc_co_u32_e32 v5, vcc, v6, v5, vcc
	s_add_i32 s1, s1, s0
	s_mul_i32 s0, s14, s9
	v_mov_b32_e32 v6, s13
	v_add_co_u32_e32 v4, vcc, s12, v2
	s_lshl_b64 s[4:5], s[0:1], 3
	v_addc_co_u32_e32 v5, vcc, v6, v5, vcc
	s_mov_b64 s[6:7], 0
	v_mov_b32_e32 v2, v3
	v_mov_b32_e32 v6, s5
.LBB197_3:                              ; =>This Inner Loop Header: Depth=1
	v_add_co_u32_e32 v0, vcc, s9, v0
	v_addc_co_u32_e32 v1, vcc, 0, v1, vcc
	v_cmp_le_i64_e64 s[0:1], s[2:3], v[0:1]
	global_store_dwordx2 v[4:5], v[2:3], off
	v_add_co_u32_e32 v4, vcc, s4, v4
	s_or_b64 s[6:7], s[0:1], s[6:7]
	v_addc_co_u32_e32 v5, vcc, v5, v6, vcc
	s_andn2_b64 exec, exec, s[6:7]
	s_cbranch_execnz .LBB197_3
.LBB197_4:
	s_endpgm
	.section	.rodata,"a",@progbits
	.p2align	6, 0x0
	.amdhsa_kernel _ZL44rocblas_set_matrix_zero_if_alpha_zero_kernelILi16ELi16EdPdEviiT1_lT2_lli
		.amdhsa_group_segment_fixed_size 0
		.amdhsa_private_segment_fixed_size 0
		.amdhsa_kernarg_size 312
		.amdhsa_user_sgpr_count 6
		.amdhsa_user_sgpr_private_segment_buffer 1
		.amdhsa_user_sgpr_dispatch_ptr 0
		.amdhsa_user_sgpr_queue_ptr 0
		.amdhsa_user_sgpr_kernarg_segment_ptr 1
		.amdhsa_user_sgpr_dispatch_id 0
		.amdhsa_user_sgpr_flat_scratch_init 0
		.amdhsa_user_sgpr_private_segment_size 0
		.amdhsa_uses_dynamic_stack 0
		.amdhsa_system_sgpr_private_segment_wavefront_offset 0
		.amdhsa_system_sgpr_workgroup_id_x 1
		.amdhsa_system_sgpr_workgroup_id_y 1
		.amdhsa_system_sgpr_workgroup_id_z 1
		.amdhsa_system_sgpr_workgroup_info 0
		.amdhsa_system_vgpr_workitem_id 1
		.amdhsa_next_free_vgpr 8
		.amdhsa_next_free_sgpr 16
		.amdhsa_reserve_vcc 1
		.amdhsa_reserve_flat_scratch 0
		.amdhsa_float_round_mode_32 0
		.amdhsa_float_round_mode_16_64 0
		.amdhsa_float_denorm_mode_32 3
		.amdhsa_float_denorm_mode_16_64 3
		.amdhsa_dx10_clamp 1
		.amdhsa_ieee_mode 1
		.amdhsa_fp16_overflow 0
		.amdhsa_exception_fp_ieee_invalid_op 0
		.amdhsa_exception_fp_denorm_src 0
		.amdhsa_exception_fp_ieee_div_zero 0
		.amdhsa_exception_fp_ieee_overflow 0
		.amdhsa_exception_fp_ieee_underflow 0
		.amdhsa_exception_fp_ieee_inexact 0
		.amdhsa_exception_int_div_zero 0
	.end_amdhsa_kernel
	.section	.text._ZL44rocblas_set_matrix_zero_if_alpha_zero_kernelILi16ELi16EdPdEviiT1_lT2_lli,"axG",@progbits,_ZL44rocblas_set_matrix_zero_if_alpha_zero_kernelILi16ELi16EdPdEviiT1_lT2_lli,comdat
.Lfunc_end197:
	.size	_ZL44rocblas_set_matrix_zero_if_alpha_zero_kernelILi16ELi16EdPdEviiT1_lT2_lli, .Lfunc_end197-_ZL44rocblas_set_matrix_zero_if_alpha_zero_kernelILi16ELi16EdPdEviiT1_lT2_lli
                                        ; -- End function
	.set _ZL44rocblas_set_matrix_zero_if_alpha_zero_kernelILi16ELi16EdPdEviiT1_lT2_lli.num_vgpr, 8
	.set _ZL44rocblas_set_matrix_zero_if_alpha_zero_kernelILi16ELi16EdPdEviiT1_lT2_lli.num_agpr, 0
	.set _ZL44rocblas_set_matrix_zero_if_alpha_zero_kernelILi16ELi16EdPdEviiT1_lT2_lli.numbered_sgpr, 16
	.set _ZL44rocblas_set_matrix_zero_if_alpha_zero_kernelILi16ELi16EdPdEviiT1_lT2_lli.num_named_barrier, 0
	.set _ZL44rocblas_set_matrix_zero_if_alpha_zero_kernelILi16ELi16EdPdEviiT1_lT2_lli.private_seg_size, 0
	.set _ZL44rocblas_set_matrix_zero_if_alpha_zero_kernelILi16ELi16EdPdEviiT1_lT2_lli.uses_vcc, 1
	.set _ZL44rocblas_set_matrix_zero_if_alpha_zero_kernelILi16ELi16EdPdEviiT1_lT2_lli.uses_flat_scratch, 0
	.set _ZL44rocblas_set_matrix_zero_if_alpha_zero_kernelILi16ELi16EdPdEviiT1_lT2_lli.has_dyn_sized_stack, 0
	.set _ZL44rocblas_set_matrix_zero_if_alpha_zero_kernelILi16ELi16EdPdEviiT1_lT2_lli.has_recursion, 0
	.set _ZL44rocblas_set_matrix_zero_if_alpha_zero_kernelILi16ELi16EdPdEviiT1_lT2_lli.has_indirect_call, 0
	.section	.AMDGPU.csdata,"",@progbits
; Kernel info:
; codeLenInByte = 300
; TotalNumSgprs: 20
; NumVgprs: 8
; ScratchSize: 0
; MemoryBound: 0
; FloatMode: 240
; IeeeMode: 1
; LDSByteSize: 0 bytes/workgroup (compile time only)
; SGPRBlocks: 2
; VGPRBlocks: 1
; NumSGPRsForWavesPerEU: 20
; NumVGPRsForWavesPerEU: 8
; Occupancy: 10
; WaveLimiterHint : 0
; COMPUTE_PGM_RSRC2:SCRATCH_EN: 0
; COMPUTE_PGM_RSRC2:USER_SGPR: 6
; COMPUTE_PGM_RSRC2:TRAP_HANDLER: 0
; COMPUTE_PGM_RSRC2:TGID_X_EN: 1
; COMPUTE_PGM_RSRC2:TGID_Y_EN: 1
; COMPUTE_PGM_RSRC2:TGID_Z_EN: 1
; COMPUTE_PGM_RSRC2:TIDIG_COMP_CNT: 1
	.section	.text._ZL44rocblas_set_matrix_zero_if_alpha_zero_kernelILi16ELi16EPKdPKPdEviiT1_lT2_lli,"axG",@progbits,_ZL44rocblas_set_matrix_zero_if_alpha_zero_kernelILi16ELi16EPKdPKPdEviiT1_lT2_lli,comdat
	.globl	_ZL44rocblas_set_matrix_zero_if_alpha_zero_kernelILi16ELi16EPKdPKPdEviiT1_lT2_lli ; -- Begin function _ZL44rocblas_set_matrix_zero_if_alpha_zero_kernelILi16ELi16EPKdPKPdEviiT1_lT2_lli
	.p2align	8
	.type	_ZL44rocblas_set_matrix_zero_if_alpha_zero_kernelILi16ELi16EPKdPKPdEviiT1_lT2_lli,@function
_ZL44rocblas_set_matrix_zero_if_alpha_zero_kernelILi16ELi16EPKdPKPdEviiT1_lT2_lli: ; @_ZL44rocblas_set_matrix_zero_if_alpha_zero_kernelILi16ELi16EPKdPKPdEviiT1_lT2_lli
; %bb.0:
	s_load_dwordx8 s[12:19], s[4:5], 0x8
	s_waitcnt lgkmcnt(0)
	s_mul_i32 s0, s15, s8
	s_mul_hi_u32 s1, s14, s8
	s_add_i32 s1, s1, s0
	s_mul_i32 s0, s14, s8
	s_lshl_b64 s[0:1], s[0:1], 3
	s_add_u32 s0, s12, s0
	s_addc_u32 s1, s13, s1
	s_load_dwordx2 s[0:1], s[0:1], 0x0
	s_waitcnt lgkmcnt(0)
	v_cmp_neq_f64_e64 s[0:1], s[0:1], 0
	s_and_b64 vcc, exec, s[0:1]
	s_cbranch_vccnz .LBB198_4
; %bb.1:
	s_load_dwordx2 s[0:1], s[4:5], 0x0
	v_lshl_add_u32 v2, s6, 4, v0
	v_mov_b32_e32 v3, 0
	v_lshl_add_u32 v0, s7, 4, v1
	v_mov_b32_e32 v1, v3
	s_waitcnt lgkmcnt(0)
	s_ashr_i32 s3, s0, 31
	s_mov_b32 s2, s0
	v_cmp_gt_i64_e32 vcc, s[2:3], v[2:3]
	s_ashr_i32 s3, s1, 31
	s_mov_b32 s2, s1
	v_cmp_gt_i64_e64 s[0:1], s[2:3], v[0:1]
	s_and_b64 s[0:1], vcc, s[0:1]
	s_and_saveexec_b64 s[6:7], s[0:1]
	s_cbranch_execz .LBB198_4
; %bb.2:
	v_mad_u64_u32 v[4:5], s[6:7], s18, v0, 0
	s_mov_b32 s9, 0
	s_lshl_b64 s[0:1], s[8:9], 3
	s_load_dwordx2 s[6:7], s[4:5], 0x28
	s_load_dword s8, s[4:5], 0x3c
	v_mad_u64_u32 v[5:6], s[4:5], s19, v0, v[5:6]
	s_add_u32 s0, s16, s0
	s_addc_u32 s1, s17, s1
	v_lshlrev_b64 v[4:5], 3, v[4:5]
	s_waitcnt lgkmcnt(0)
	s_lshl_b64 s[4:5], s[6:7], 3
	s_load_dwordx2 s[0:1], s[0:1], 0x0
	v_mov_b32_e32 v6, s5
	v_add_co_u32_e32 v7, vcc, s4, v4
	v_addc_co_u32_e32 v6, vcc, v5, v6, vcc
	v_lshlrev_b64 v[4:5], 3, v[2:3]
	s_lshl_b32 s8, s8, 4
	v_add_co_u32_e32 v2, vcc, v7, v4
	v_addc_co_u32_e32 v5, vcc, v6, v5, vcc
	s_waitcnt lgkmcnt(0)
	v_mov_b32_e32 v6, s1
	v_add_co_u32_e32 v4, vcc, s0, v2
	s_mul_i32 s0, s19, s8
	s_mul_hi_u32 s1, s18, s8
	s_add_i32 s1, s1, s0
	s_mul_i32 s0, s18, s8
	s_lshl_b64 s[4:5], s[0:1], 3
	v_addc_co_u32_e32 v5, vcc, v6, v5, vcc
	s_mov_b64 s[6:7], 0
	v_mov_b32_e32 v2, v3
	v_mov_b32_e32 v6, s5
.LBB198_3:                              ; =>This Inner Loop Header: Depth=1
	v_add_co_u32_e32 v0, vcc, s8, v0
	v_addc_co_u32_e32 v1, vcc, 0, v1, vcc
	v_cmp_le_i64_e64 s[0:1], s[2:3], v[0:1]
	flat_store_dwordx2 v[4:5], v[2:3]
	v_add_co_u32_e32 v4, vcc, s4, v4
	s_or_b64 s[6:7], s[0:1], s[6:7]
	v_addc_co_u32_e32 v5, vcc, v5, v6, vcc
	s_andn2_b64 exec, exec, s[6:7]
	s_cbranch_execnz .LBB198_3
.LBB198_4:
	s_endpgm
	.section	.rodata,"a",@progbits
	.p2align	6, 0x0
	.amdhsa_kernel _ZL44rocblas_set_matrix_zero_if_alpha_zero_kernelILi16ELi16EPKdPKPdEviiT1_lT2_lli
		.amdhsa_group_segment_fixed_size 0
		.amdhsa_private_segment_fixed_size 0
		.amdhsa_kernarg_size 312
		.amdhsa_user_sgpr_count 6
		.amdhsa_user_sgpr_private_segment_buffer 1
		.amdhsa_user_sgpr_dispatch_ptr 0
		.amdhsa_user_sgpr_queue_ptr 0
		.amdhsa_user_sgpr_kernarg_segment_ptr 1
		.amdhsa_user_sgpr_dispatch_id 0
		.amdhsa_user_sgpr_flat_scratch_init 0
		.amdhsa_user_sgpr_private_segment_size 0
		.amdhsa_uses_dynamic_stack 0
		.amdhsa_system_sgpr_private_segment_wavefront_offset 0
		.amdhsa_system_sgpr_workgroup_id_x 1
		.amdhsa_system_sgpr_workgroup_id_y 1
		.amdhsa_system_sgpr_workgroup_id_z 1
		.amdhsa_system_sgpr_workgroup_info 0
		.amdhsa_system_vgpr_workitem_id 1
		.amdhsa_next_free_vgpr 8
		.amdhsa_next_free_sgpr 20
		.amdhsa_reserve_vcc 1
		.amdhsa_reserve_flat_scratch 0
		.amdhsa_float_round_mode_32 0
		.amdhsa_float_round_mode_16_64 0
		.amdhsa_float_denorm_mode_32 3
		.amdhsa_float_denorm_mode_16_64 3
		.amdhsa_dx10_clamp 1
		.amdhsa_ieee_mode 1
		.amdhsa_fp16_overflow 0
		.amdhsa_exception_fp_ieee_invalid_op 0
		.amdhsa_exception_fp_denorm_src 0
		.amdhsa_exception_fp_ieee_div_zero 0
		.amdhsa_exception_fp_ieee_overflow 0
		.amdhsa_exception_fp_ieee_underflow 0
		.amdhsa_exception_fp_ieee_inexact 0
		.amdhsa_exception_int_div_zero 0
	.end_amdhsa_kernel
	.section	.text._ZL44rocblas_set_matrix_zero_if_alpha_zero_kernelILi16ELi16EPKdPKPdEviiT1_lT2_lli,"axG",@progbits,_ZL44rocblas_set_matrix_zero_if_alpha_zero_kernelILi16ELi16EPKdPKPdEviiT1_lT2_lli,comdat
.Lfunc_end198:
	.size	_ZL44rocblas_set_matrix_zero_if_alpha_zero_kernelILi16ELi16EPKdPKPdEviiT1_lT2_lli, .Lfunc_end198-_ZL44rocblas_set_matrix_zero_if_alpha_zero_kernelILi16ELi16EPKdPKPdEviiT1_lT2_lli
                                        ; -- End function
	.set _ZL44rocblas_set_matrix_zero_if_alpha_zero_kernelILi16ELi16EPKdPKPdEviiT1_lT2_lli.num_vgpr, 8
	.set _ZL44rocblas_set_matrix_zero_if_alpha_zero_kernelILi16ELi16EPKdPKPdEviiT1_lT2_lli.num_agpr, 0
	.set _ZL44rocblas_set_matrix_zero_if_alpha_zero_kernelILi16ELi16EPKdPKPdEviiT1_lT2_lli.numbered_sgpr, 20
	.set _ZL44rocblas_set_matrix_zero_if_alpha_zero_kernelILi16ELi16EPKdPKPdEviiT1_lT2_lli.num_named_barrier, 0
	.set _ZL44rocblas_set_matrix_zero_if_alpha_zero_kernelILi16ELi16EPKdPKPdEviiT1_lT2_lli.private_seg_size, 0
	.set _ZL44rocblas_set_matrix_zero_if_alpha_zero_kernelILi16ELi16EPKdPKPdEviiT1_lT2_lli.uses_vcc, 1
	.set _ZL44rocblas_set_matrix_zero_if_alpha_zero_kernelILi16ELi16EPKdPKPdEviiT1_lT2_lli.uses_flat_scratch, 0
	.set _ZL44rocblas_set_matrix_zero_if_alpha_zero_kernelILi16ELi16EPKdPKPdEviiT1_lT2_lli.has_dyn_sized_stack, 0
	.set _ZL44rocblas_set_matrix_zero_if_alpha_zero_kernelILi16ELi16EPKdPKPdEviiT1_lT2_lli.has_recursion, 0
	.set _ZL44rocblas_set_matrix_zero_if_alpha_zero_kernelILi16ELi16EPKdPKPdEviiT1_lT2_lli.has_indirect_call, 0
	.section	.AMDGPU.csdata,"",@progbits
; Kernel info:
; codeLenInByte = 344
; TotalNumSgprs: 24
; NumVgprs: 8
; ScratchSize: 0
; MemoryBound: 0
; FloatMode: 240
; IeeeMode: 1
; LDSByteSize: 0 bytes/workgroup (compile time only)
; SGPRBlocks: 2
; VGPRBlocks: 1
; NumSGPRsForWavesPerEU: 24
; NumVGPRsForWavesPerEU: 8
; Occupancy: 10
; WaveLimiterHint : 0
; COMPUTE_PGM_RSRC2:SCRATCH_EN: 0
; COMPUTE_PGM_RSRC2:USER_SGPR: 6
; COMPUTE_PGM_RSRC2:TRAP_HANDLER: 0
; COMPUTE_PGM_RSRC2:TGID_X_EN: 1
; COMPUTE_PGM_RSRC2:TGID_Y_EN: 1
; COMPUTE_PGM_RSRC2:TGID_Z_EN: 1
; COMPUTE_PGM_RSRC2:TIDIG_COMP_CNT: 1
	.section	.text._ZL44rocblas_set_matrix_zero_if_alpha_zero_kernelILi16ELi16EdPKPdEviiT1_lT2_lli,"axG",@progbits,_ZL44rocblas_set_matrix_zero_if_alpha_zero_kernelILi16ELi16EdPKPdEviiT1_lT2_lli,comdat
	.globl	_ZL44rocblas_set_matrix_zero_if_alpha_zero_kernelILi16ELi16EdPKPdEviiT1_lT2_lli ; -- Begin function _ZL44rocblas_set_matrix_zero_if_alpha_zero_kernelILi16ELi16EdPKPdEviiT1_lT2_lli
	.p2align	8
	.type	_ZL44rocblas_set_matrix_zero_if_alpha_zero_kernelILi16ELi16EdPKPdEviiT1_lT2_lli,@function
_ZL44rocblas_set_matrix_zero_if_alpha_zero_kernelILi16ELi16EdPKPdEviiT1_lT2_lli: ; @_ZL44rocblas_set_matrix_zero_if_alpha_zero_kernelILi16ELi16EdPKPdEviiT1_lT2_lli
; %bb.0:
	s_load_dwordx2 s[0:1], s[4:5], 0x8
	s_waitcnt lgkmcnt(0)
	v_cmp_neq_f64_e64 s[0:1], s[0:1], 0
	s_and_b64 vcc, exec, s[0:1]
	s_cbranch_vccnz .LBB199_4
; %bb.1:
	s_load_dwordx2 s[0:1], s[4:5], 0x0
	v_lshl_add_u32 v2, s6, 4, v0
	v_mov_b32_e32 v3, 0
	v_lshl_add_u32 v0, s7, 4, v1
	v_mov_b32_e32 v1, v3
	s_waitcnt lgkmcnt(0)
	s_ashr_i32 s3, s0, 31
	s_mov_b32 s2, s0
	v_cmp_gt_i64_e32 vcc, s[2:3], v[2:3]
	s_ashr_i32 s3, s1, 31
	s_mov_b32 s2, s1
	v_cmp_gt_i64_e64 s[0:1], s[2:3], v[0:1]
	s_and_b64 s[0:1], vcc, s[0:1]
	s_and_saveexec_b64 s[6:7], s[0:1]
	s_cbranch_execz .LBB199_4
; %bb.2:
	s_load_dwordx4 s[12:15], s[4:5], 0x18
	s_load_dwordx2 s[0:1], s[4:5], 0x28
	s_mov_b32 s9, 0
	s_load_dword s10, s[4:5], 0x3c
	s_lshl_b64 s[4:5], s[8:9], 3
	s_waitcnt lgkmcnt(0)
	v_mad_u64_u32 v[4:5], s[6:7], s14, v0, 0
	s_add_u32 s4, s12, s4
	s_addc_u32 s5, s13, s5
	v_mad_u64_u32 v[5:6], s[6:7], s15, v0, v[5:6]
	s_lshl_b64 s[0:1], s[0:1], 3
	s_load_dwordx2 s[4:5], s[4:5], 0x0
	v_lshlrev_b64 v[4:5], 3, v[4:5]
	v_mov_b32_e32 v6, s1
	v_add_co_u32_e32 v7, vcc, s0, v4
	v_addc_co_u32_e32 v6, vcc, v5, v6, vcc
	v_lshlrev_b64 v[4:5], 3, v[2:3]
	s_lshl_b32 s8, s10, 4
	v_add_co_u32_e32 v2, vcc, v7, v4
	s_mul_i32 s0, s15, s8
	s_mul_hi_u32 s1, s14, s8
	v_addc_co_u32_e32 v5, vcc, v6, v5, vcc
	s_add_i32 s1, s1, s0
	s_mul_i32 s0, s14, s8
	s_waitcnt lgkmcnt(0)
	v_mov_b32_e32 v6, s5
	v_add_co_u32_e32 v4, vcc, s4, v2
	s_lshl_b64 s[4:5], s[0:1], 3
	v_addc_co_u32_e32 v5, vcc, v6, v5, vcc
	s_mov_b64 s[6:7], 0
	v_mov_b32_e32 v2, v3
	v_mov_b32_e32 v6, s5
.LBB199_3:                              ; =>This Inner Loop Header: Depth=1
	v_add_co_u32_e32 v0, vcc, s8, v0
	v_addc_co_u32_e32 v1, vcc, 0, v1, vcc
	v_cmp_le_i64_e64 s[0:1], s[2:3], v[0:1]
	flat_store_dwordx2 v[4:5], v[2:3]
	v_add_co_u32_e32 v4, vcc, s4, v4
	s_or_b64 s[6:7], s[0:1], s[6:7]
	v_addc_co_u32_e32 v5, vcc, v5, v6, vcc
	s_andn2_b64 exec, exec, s[6:7]
	s_cbranch_execnz .LBB199_3
.LBB199_4:
	s_endpgm
	.section	.rodata,"a",@progbits
	.p2align	6, 0x0
	.amdhsa_kernel _ZL44rocblas_set_matrix_zero_if_alpha_zero_kernelILi16ELi16EdPKPdEviiT1_lT2_lli
		.amdhsa_group_segment_fixed_size 0
		.amdhsa_private_segment_fixed_size 0
		.amdhsa_kernarg_size 312
		.amdhsa_user_sgpr_count 6
		.amdhsa_user_sgpr_private_segment_buffer 1
		.amdhsa_user_sgpr_dispatch_ptr 0
		.amdhsa_user_sgpr_queue_ptr 0
		.amdhsa_user_sgpr_kernarg_segment_ptr 1
		.amdhsa_user_sgpr_dispatch_id 0
		.amdhsa_user_sgpr_flat_scratch_init 0
		.amdhsa_user_sgpr_private_segment_size 0
		.amdhsa_uses_dynamic_stack 0
		.amdhsa_system_sgpr_private_segment_wavefront_offset 0
		.amdhsa_system_sgpr_workgroup_id_x 1
		.amdhsa_system_sgpr_workgroup_id_y 1
		.amdhsa_system_sgpr_workgroup_id_z 1
		.amdhsa_system_sgpr_workgroup_info 0
		.amdhsa_system_vgpr_workitem_id 1
		.amdhsa_next_free_vgpr 8
		.amdhsa_next_free_sgpr 16
		.amdhsa_reserve_vcc 1
		.amdhsa_reserve_flat_scratch 0
		.amdhsa_float_round_mode_32 0
		.amdhsa_float_round_mode_16_64 0
		.amdhsa_float_denorm_mode_32 3
		.amdhsa_float_denorm_mode_16_64 3
		.amdhsa_dx10_clamp 1
		.amdhsa_ieee_mode 1
		.amdhsa_fp16_overflow 0
		.amdhsa_exception_fp_ieee_invalid_op 0
		.amdhsa_exception_fp_denorm_src 0
		.amdhsa_exception_fp_ieee_div_zero 0
		.amdhsa_exception_fp_ieee_overflow 0
		.amdhsa_exception_fp_ieee_underflow 0
		.amdhsa_exception_fp_ieee_inexact 0
		.amdhsa_exception_int_div_zero 0
	.end_amdhsa_kernel
	.section	.text._ZL44rocblas_set_matrix_zero_if_alpha_zero_kernelILi16ELi16EdPKPdEviiT1_lT2_lli,"axG",@progbits,_ZL44rocblas_set_matrix_zero_if_alpha_zero_kernelILi16ELi16EdPKPdEviiT1_lT2_lli,comdat
.Lfunc_end199:
	.size	_ZL44rocblas_set_matrix_zero_if_alpha_zero_kernelILi16ELi16EdPKPdEviiT1_lT2_lli, .Lfunc_end199-_ZL44rocblas_set_matrix_zero_if_alpha_zero_kernelILi16ELi16EdPKPdEviiT1_lT2_lli
                                        ; -- End function
	.set _ZL44rocblas_set_matrix_zero_if_alpha_zero_kernelILi16ELi16EdPKPdEviiT1_lT2_lli.num_vgpr, 8
	.set _ZL44rocblas_set_matrix_zero_if_alpha_zero_kernelILi16ELi16EdPKPdEviiT1_lT2_lli.num_agpr, 0
	.set _ZL44rocblas_set_matrix_zero_if_alpha_zero_kernelILi16ELi16EdPKPdEviiT1_lT2_lli.numbered_sgpr, 16
	.set _ZL44rocblas_set_matrix_zero_if_alpha_zero_kernelILi16ELi16EdPKPdEviiT1_lT2_lli.num_named_barrier, 0
	.set _ZL44rocblas_set_matrix_zero_if_alpha_zero_kernelILi16ELi16EdPKPdEviiT1_lT2_lli.private_seg_size, 0
	.set _ZL44rocblas_set_matrix_zero_if_alpha_zero_kernelILi16ELi16EdPKPdEviiT1_lT2_lli.uses_vcc, 1
	.set _ZL44rocblas_set_matrix_zero_if_alpha_zero_kernelILi16ELi16EdPKPdEviiT1_lT2_lli.uses_flat_scratch, 0
	.set _ZL44rocblas_set_matrix_zero_if_alpha_zero_kernelILi16ELi16EdPKPdEviiT1_lT2_lli.has_dyn_sized_stack, 0
	.set _ZL44rocblas_set_matrix_zero_if_alpha_zero_kernelILi16ELi16EdPKPdEviiT1_lT2_lli.has_recursion, 0
	.set _ZL44rocblas_set_matrix_zero_if_alpha_zero_kernelILi16ELi16EdPKPdEviiT1_lT2_lli.has_indirect_call, 0
	.section	.AMDGPU.csdata,"",@progbits
; Kernel info:
; codeLenInByte = 312
; TotalNumSgprs: 20
; NumVgprs: 8
; ScratchSize: 0
; MemoryBound: 0
; FloatMode: 240
; IeeeMode: 1
; LDSByteSize: 0 bytes/workgroup (compile time only)
; SGPRBlocks: 2
; VGPRBlocks: 1
; NumSGPRsForWavesPerEU: 20
; NumVGPRsForWavesPerEU: 8
; Occupancy: 10
; WaveLimiterHint : 0
; COMPUTE_PGM_RSRC2:SCRATCH_EN: 0
; COMPUTE_PGM_RSRC2:USER_SGPR: 6
; COMPUTE_PGM_RSRC2:TRAP_HANDLER: 0
; COMPUTE_PGM_RSRC2:TGID_X_EN: 1
; COMPUTE_PGM_RSRC2:TGID_Y_EN: 1
; COMPUTE_PGM_RSRC2:TGID_Z_EN: 1
; COMPUTE_PGM_RSRC2:TIDIG_COMP_CNT: 1
	.section	.text._ZL44rocblas_set_matrix_zero_if_alpha_zero_kernelILi16ELi16EPK19rocblas_complex_numIfEPKPS1_EviiT1_lT2_lli,"axG",@progbits,_ZL44rocblas_set_matrix_zero_if_alpha_zero_kernelILi16ELi16EPK19rocblas_complex_numIfEPKPS1_EviiT1_lT2_lli,comdat
	.globl	_ZL44rocblas_set_matrix_zero_if_alpha_zero_kernelILi16ELi16EPK19rocblas_complex_numIfEPKPS1_EviiT1_lT2_lli ; -- Begin function _ZL44rocblas_set_matrix_zero_if_alpha_zero_kernelILi16ELi16EPK19rocblas_complex_numIfEPKPS1_EviiT1_lT2_lli
	.p2align	8
	.type	_ZL44rocblas_set_matrix_zero_if_alpha_zero_kernelILi16ELi16EPK19rocblas_complex_numIfEPKPS1_EviiT1_lT2_lli,@function
_ZL44rocblas_set_matrix_zero_if_alpha_zero_kernelILi16ELi16EPK19rocblas_complex_numIfEPKPS1_EviiT1_lT2_lli: ; @_ZL44rocblas_set_matrix_zero_if_alpha_zero_kernelILi16ELi16EPK19rocblas_complex_numIfEPKPS1_EviiT1_lT2_lli
; %bb.0:
	s_load_dwordx8 s[12:19], s[4:5], 0x8
	s_waitcnt lgkmcnt(0)
	s_mul_i32 s0, s15, s8
	s_mul_hi_u32 s1, s14, s8
	s_add_i32 s1, s1, s0
	s_mul_i32 s0, s14, s8
	s_lshl_b64 s[0:1], s[0:1], 3
	s_add_u32 s0, s12, s0
	s_addc_u32 s1, s13, s1
	s_load_dwordx2 s[2:3], s[0:1], 0x0
	s_waitcnt lgkmcnt(0)
	v_cmp_eq_f32_e64 s[0:1], s2, 0
	v_cmp_eq_f32_e64 s[2:3], s3, 0
	s_and_b64 s[0:1], s[0:1], s[2:3]
	s_andn2_b64 vcc, exec, s[0:1]
	s_cbranch_vccnz .LBB200_4
; %bb.1:
	s_load_dwordx2 s[0:1], s[4:5], 0x0
	v_lshl_add_u32 v2, s6, 4, v0
	v_mov_b32_e32 v3, 0
	v_lshl_add_u32 v0, s7, 4, v1
	v_mov_b32_e32 v1, v3
	s_waitcnt lgkmcnt(0)
	s_ashr_i32 s3, s0, 31
	s_mov_b32 s2, s0
	v_cmp_gt_i64_e32 vcc, s[2:3], v[2:3]
	s_ashr_i32 s3, s1, 31
	s_mov_b32 s2, s1
	v_cmp_gt_i64_e64 s[0:1], s[2:3], v[0:1]
	s_and_b64 s[0:1], vcc, s[0:1]
	s_and_saveexec_b64 s[6:7], s[0:1]
	s_cbranch_execz .LBB200_4
; %bb.2:
	v_mad_u64_u32 v[4:5], s[0:1], s18, v0, 0
	s_mov_b32 s9, 0
	s_lshl_b64 s[0:1], s[8:9], 3
	s_load_dwordx2 s[6:7], s[4:5], 0x28
	s_load_dword s8, s[4:5], 0x3c
	v_mad_u64_u32 v[5:6], s[4:5], s19, v0, v[5:6]
	s_add_u32 s0, s16, s0
	s_addc_u32 s1, s17, s1
	v_lshlrev_b64 v[4:5], 3, v[4:5]
	s_waitcnt lgkmcnt(0)
	s_lshl_b64 s[4:5], s[6:7], 3
	s_lshl_b32 s8, s8, 4
	v_mov_b32_e32 v6, s5
	v_add_co_u32_e32 v7, vcc, s4, v4
	v_addc_co_u32_e32 v6, vcc, v5, v6, vcc
	v_lshlrev_b64 v[4:5], 3, v[2:3]
	s_mul_i32 s4, s19, s8
	s_mul_hi_u32 s5, s18, s8
	s_add_i32 s5, s5, s4
	s_mul_i32 s4, s18, s8
	v_add_co_u32_e32 v4, vcc, v7, v4
	s_lshl_b64 s[4:5], s[4:5], 3
	v_addc_co_u32_e32 v5, vcc, v6, v5, vcc
	s_mov_b64 s[6:7], 0
	v_mov_b32_e32 v2, v3
	v_mov_b32_e32 v6, s5
.LBB200_3:                              ; =>This Inner Loop Header: Depth=1
	global_load_dwordx2 v[7:8], v3, s[0:1]
	v_add_co_u32_e32 v0, vcc, s8, v0
	v_addc_co_u32_e32 v1, vcc, 0, v1, vcc
	v_cmp_le_i64_e32 vcc, s[2:3], v[0:1]
	s_or_b64 s[6:7], vcc, s[6:7]
	s_waitcnt vmcnt(0)
	v_add_co_u32_e32 v7, vcc, v7, v4
	v_addc_co_u32_e32 v8, vcc, v8, v5, vcc
	v_add_co_u32_e32 v4, vcc, s4, v4
	v_addc_co_u32_e32 v5, vcc, v5, v6, vcc
	flat_store_dwordx2 v[7:8], v[2:3]
	s_andn2_b64 exec, exec, s[6:7]
	s_cbranch_execnz .LBB200_3
.LBB200_4:
	s_endpgm
	.section	.rodata,"a",@progbits
	.p2align	6, 0x0
	.amdhsa_kernel _ZL44rocblas_set_matrix_zero_if_alpha_zero_kernelILi16ELi16EPK19rocblas_complex_numIfEPKPS1_EviiT1_lT2_lli
		.amdhsa_group_segment_fixed_size 0
		.amdhsa_private_segment_fixed_size 0
		.amdhsa_kernarg_size 312
		.amdhsa_user_sgpr_count 6
		.amdhsa_user_sgpr_private_segment_buffer 1
		.amdhsa_user_sgpr_dispatch_ptr 0
		.amdhsa_user_sgpr_queue_ptr 0
		.amdhsa_user_sgpr_kernarg_segment_ptr 1
		.amdhsa_user_sgpr_dispatch_id 0
		.amdhsa_user_sgpr_flat_scratch_init 0
		.amdhsa_user_sgpr_private_segment_size 0
		.amdhsa_uses_dynamic_stack 0
		.amdhsa_system_sgpr_private_segment_wavefront_offset 0
		.amdhsa_system_sgpr_workgroup_id_x 1
		.amdhsa_system_sgpr_workgroup_id_y 1
		.amdhsa_system_sgpr_workgroup_id_z 1
		.amdhsa_system_sgpr_workgroup_info 0
		.amdhsa_system_vgpr_workitem_id 1
		.amdhsa_next_free_vgpr 9
		.amdhsa_next_free_sgpr 20
		.amdhsa_reserve_vcc 1
		.amdhsa_reserve_flat_scratch 0
		.amdhsa_float_round_mode_32 0
		.amdhsa_float_round_mode_16_64 0
		.amdhsa_float_denorm_mode_32 3
		.amdhsa_float_denorm_mode_16_64 3
		.amdhsa_dx10_clamp 1
		.amdhsa_ieee_mode 1
		.amdhsa_fp16_overflow 0
		.amdhsa_exception_fp_ieee_invalid_op 0
		.amdhsa_exception_fp_denorm_src 0
		.amdhsa_exception_fp_ieee_div_zero 0
		.amdhsa_exception_fp_ieee_overflow 0
		.amdhsa_exception_fp_ieee_underflow 0
		.amdhsa_exception_fp_ieee_inexact 0
		.amdhsa_exception_int_div_zero 0
	.end_amdhsa_kernel
	.section	.text._ZL44rocblas_set_matrix_zero_if_alpha_zero_kernelILi16ELi16EPK19rocblas_complex_numIfEPKPS1_EviiT1_lT2_lli,"axG",@progbits,_ZL44rocblas_set_matrix_zero_if_alpha_zero_kernelILi16ELi16EPK19rocblas_complex_numIfEPKPS1_EviiT1_lT2_lli,comdat
.Lfunc_end200:
	.size	_ZL44rocblas_set_matrix_zero_if_alpha_zero_kernelILi16ELi16EPK19rocblas_complex_numIfEPKPS1_EviiT1_lT2_lli, .Lfunc_end200-_ZL44rocblas_set_matrix_zero_if_alpha_zero_kernelILi16ELi16EPK19rocblas_complex_numIfEPKPS1_EviiT1_lT2_lli
                                        ; -- End function
	.set _ZL44rocblas_set_matrix_zero_if_alpha_zero_kernelILi16ELi16EPK19rocblas_complex_numIfEPKPS1_EviiT1_lT2_lli.num_vgpr, 9
	.set _ZL44rocblas_set_matrix_zero_if_alpha_zero_kernelILi16ELi16EPK19rocblas_complex_numIfEPKPS1_EviiT1_lT2_lli.num_agpr, 0
	.set _ZL44rocblas_set_matrix_zero_if_alpha_zero_kernelILi16ELi16EPK19rocblas_complex_numIfEPKPS1_EviiT1_lT2_lli.numbered_sgpr, 20
	.set _ZL44rocblas_set_matrix_zero_if_alpha_zero_kernelILi16ELi16EPK19rocblas_complex_numIfEPKPS1_EviiT1_lT2_lli.num_named_barrier, 0
	.set _ZL44rocblas_set_matrix_zero_if_alpha_zero_kernelILi16ELi16EPK19rocblas_complex_numIfEPKPS1_EviiT1_lT2_lli.private_seg_size, 0
	.set _ZL44rocblas_set_matrix_zero_if_alpha_zero_kernelILi16ELi16EPK19rocblas_complex_numIfEPKPS1_EviiT1_lT2_lli.uses_vcc, 1
	.set _ZL44rocblas_set_matrix_zero_if_alpha_zero_kernelILi16ELi16EPK19rocblas_complex_numIfEPKPS1_EviiT1_lT2_lli.uses_flat_scratch, 0
	.set _ZL44rocblas_set_matrix_zero_if_alpha_zero_kernelILi16ELi16EPK19rocblas_complex_numIfEPKPS1_EviiT1_lT2_lli.has_dyn_sized_stack, 0
	.set _ZL44rocblas_set_matrix_zero_if_alpha_zero_kernelILi16ELi16EPK19rocblas_complex_numIfEPKPS1_EviiT1_lT2_lli.has_recursion, 0
	.set _ZL44rocblas_set_matrix_zero_if_alpha_zero_kernelILi16ELi16EPK19rocblas_complex_numIfEPKPS1_EviiT1_lT2_lli.has_indirect_call, 0
	.section	.AMDGPU.csdata,"",@progbits
; Kernel info:
; codeLenInByte = 348
; TotalNumSgprs: 24
; NumVgprs: 9
; ScratchSize: 0
; MemoryBound: 0
; FloatMode: 240
; IeeeMode: 1
; LDSByteSize: 0 bytes/workgroup (compile time only)
; SGPRBlocks: 2
; VGPRBlocks: 2
; NumSGPRsForWavesPerEU: 24
; NumVGPRsForWavesPerEU: 9
; Occupancy: 10
; WaveLimiterHint : 1
; COMPUTE_PGM_RSRC2:SCRATCH_EN: 0
; COMPUTE_PGM_RSRC2:USER_SGPR: 6
; COMPUTE_PGM_RSRC2:TRAP_HANDLER: 0
; COMPUTE_PGM_RSRC2:TGID_X_EN: 1
; COMPUTE_PGM_RSRC2:TGID_Y_EN: 1
; COMPUTE_PGM_RSRC2:TGID_Z_EN: 1
; COMPUTE_PGM_RSRC2:TIDIG_COMP_CNT: 1
	.section	.text._ZL44rocblas_set_matrix_zero_if_alpha_zero_kernelILi16ELi16E19rocblas_complex_numIfEPKPS1_EviiT1_lT2_lli,"axG",@progbits,_ZL44rocblas_set_matrix_zero_if_alpha_zero_kernelILi16ELi16E19rocblas_complex_numIfEPKPS1_EviiT1_lT2_lli,comdat
	.globl	_ZL44rocblas_set_matrix_zero_if_alpha_zero_kernelILi16ELi16E19rocblas_complex_numIfEPKPS1_EviiT1_lT2_lli ; -- Begin function _ZL44rocblas_set_matrix_zero_if_alpha_zero_kernelILi16ELi16E19rocblas_complex_numIfEPKPS1_EviiT1_lT2_lli
	.p2align	8
	.type	_ZL44rocblas_set_matrix_zero_if_alpha_zero_kernelILi16ELi16E19rocblas_complex_numIfEPKPS1_EviiT1_lT2_lli,@function
_ZL44rocblas_set_matrix_zero_if_alpha_zero_kernelILi16ELi16E19rocblas_complex_numIfEPKPS1_EviiT1_lT2_lli: ; @_ZL44rocblas_set_matrix_zero_if_alpha_zero_kernelILi16ELi16E19rocblas_complex_numIfEPKPS1_EviiT1_lT2_lli
; %bb.0:
	s_load_dwordx4 s[0:3], s[4:5], 0x0
	s_waitcnt lgkmcnt(0)
	v_cmp_eq_f32_e64 s[10:11], s2, 0
	v_cmp_eq_f32_e64 s[2:3], s3, 0
	s_and_b64 s[2:3], s[10:11], s[2:3]
	s_andn2_b64 vcc, exec, s[2:3]
	s_cbranch_vccnz .LBB201_4
; %bb.1:
	v_lshl_add_u32 v2, s6, 4, v0
	v_mov_b32_e32 v3, 0
	s_ashr_i32 s3, s0, 31
	s_mov_b32 s2, s0
	v_lshl_add_u32 v0, s7, 4, v1
	v_mov_b32_e32 v1, v3
	v_cmp_gt_i64_e32 vcc, s[2:3], v[2:3]
	s_ashr_i32 s3, s1, 31
	s_mov_b32 s2, s1
	v_cmp_gt_i64_e64 s[0:1], s[2:3], v[0:1]
	s_and_b64 s[0:1], vcc, s[0:1]
	s_and_saveexec_b64 s[6:7], s[0:1]
	s_cbranch_execz .LBB201_4
; %bb.2:
	s_load_dwordx4 s[12:15], s[4:5], 0x18
	s_load_dwordx2 s[6:7], s[4:5], 0x28
	s_load_dword s10, s[4:5], 0x3c
	s_mov_b32 s9, 0
	s_waitcnt lgkmcnt(0)
	v_mad_u64_u32 v[4:5], s[0:1], s14, v0, 0
	s_lshl_b64 s[0:1], s[8:9], 3
	s_add_u32 s0, s12, s0
	v_mad_u64_u32 v[5:6], s[4:5], s15, v0, v[5:6]
	s_addc_u32 s1, s13, s1
	s_lshl_b64 s[4:5], s[6:7], 3
	v_lshlrev_b64 v[4:5], 3, v[4:5]
	s_lshl_b32 s8, s10, 4
	v_mov_b32_e32 v6, s5
	v_add_co_u32_e32 v7, vcc, s4, v4
	v_addc_co_u32_e32 v6, vcc, v5, v6, vcc
	v_lshlrev_b64 v[4:5], 3, v[2:3]
	s_mul_i32 s4, s15, s8
	s_mul_hi_u32 s5, s14, s8
	s_add_i32 s5, s5, s4
	s_mul_i32 s4, s14, s8
	v_add_co_u32_e32 v4, vcc, v7, v4
	s_lshl_b64 s[4:5], s[4:5], 3
	v_addc_co_u32_e32 v5, vcc, v6, v5, vcc
	s_mov_b64 s[6:7], 0
	v_mov_b32_e32 v2, v3
	v_mov_b32_e32 v6, s5
.LBB201_3:                              ; =>This Inner Loop Header: Depth=1
	global_load_dwordx2 v[7:8], v3, s[0:1]
	v_add_co_u32_e32 v0, vcc, s8, v0
	v_addc_co_u32_e32 v1, vcc, 0, v1, vcc
	v_cmp_le_i64_e32 vcc, s[2:3], v[0:1]
	s_or_b64 s[6:7], vcc, s[6:7]
	s_waitcnt vmcnt(0)
	v_add_co_u32_e32 v7, vcc, v7, v4
	v_addc_co_u32_e32 v8, vcc, v8, v5, vcc
	v_add_co_u32_e32 v4, vcc, s4, v4
	v_addc_co_u32_e32 v5, vcc, v5, v6, vcc
	flat_store_dwordx2 v[7:8], v[2:3]
	s_andn2_b64 exec, exec, s[6:7]
	s_cbranch_execnz .LBB201_3
.LBB201_4:
	s_endpgm
	.section	.rodata,"a",@progbits
	.p2align	6, 0x0
	.amdhsa_kernel _ZL44rocblas_set_matrix_zero_if_alpha_zero_kernelILi16ELi16E19rocblas_complex_numIfEPKPS1_EviiT1_lT2_lli
		.amdhsa_group_segment_fixed_size 0
		.amdhsa_private_segment_fixed_size 0
		.amdhsa_kernarg_size 312
		.amdhsa_user_sgpr_count 6
		.amdhsa_user_sgpr_private_segment_buffer 1
		.amdhsa_user_sgpr_dispatch_ptr 0
		.amdhsa_user_sgpr_queue_ptr 0
		.amdhsa_user_sgpr_kernarg_segment_ptr 1
		.amdhsa_user_sgpr_dispatch_id 0
		.amdhsa_user_sgpr_flat_scratch_init 0
		.amdhsa_user_sgpr_private_segment_size 0
		.amdhsa_uses_dynamic_stack 0
		.amdhsa_system_sgpr_private_segment_wavefront_offset 0
		.amdhsa_system_sgpr_workgroup_id_x 1
		.amdhsa_system_sgpr_workgroup_id_y 1
		.amdhsa_system_sgpr_workgroup_id_z 1
		.amdhsa_system_sgpr_workgroup_info 0
		.amdhsa_system_vgpr_workitem_id 1
		.amdhsa_next_free_vgpr 9
		.amdhsa_next_free_sgpr 16
		.amdhsa_reserve_vcc 1
		.amdhsa_reserve_flat_scratch 0
		.amdhsa_float_round_mode_32 0
		.amdhsa_float_round_mode_16_64 0
		.amdhsa_float_denorm_mode_32 3
		.amdhsa_float_denorm_mode_16_64 3
		.amdhsa_dx10_clamp 1
		.amdhsa_ieee_mode 1
		.amdhsa_fp16_overflow 0
		.amdhsa_exception_fp_ieee_invalid_op 0
		.amdhsa_exception_fp_denorm_src 0
		.amdhsa_exception_fp_ieee_div_zero 0
		.amdhsa_exception_fp_ieee_overflow 0
		.amdhsa_exception_fp_ieee_underflow 0
		.amdhsa_exception_fp_ieee_inexact 0
		.amdhsa_exception_int_div_zero 0
	.end_amdhsa_kernel
	.section	.text._ZL44rocblas_set_matrix_zero_if_alpha_zero_kernelILi16ELi16E19rocblas_complex_numIfEPKPS1_EviiT1_lT2_lli,"axG",@progbits,_ZL44rocblas_set_matrix_zero_if_alpha_zero_kernelILi16ELi16E19rocblas_complex_numIfEPKPS1_EviiT1_lT2_lli,comdat
.Lfunc_end201:
	.size	_ZL44rocblas_set_matrix_zero_if_alpha_zero_kernelILi16ELi16E19rocblas_complex_numIfEPKPS1_EviiT1_lT2_lli, .Lfunc_end201-_ZL44rocblas_set_matrix_zero_if_alpha_zero_kernelILi16ELi16E19rocblas_complex_numIfEPKPS1_EviiT1_lT2_lli
                                        ; -- End function
	.set _ZL44rocblas_set_matrix_zero_if_alpha_zero_kernelILi16ELi16E19rocblas_complex_numIfEPKPS1_EviiT1_lT2_lli.num_vgpr, 9
	.set _ZL44rocblas_set_matrix_zero_if_alpha_zero_kernelILi16ELi16E19rocblas_complex_numIfEPKPS1_EviiT1_lT2_lli.num_agpr, 0
	.set _ZL44rocblas_set_matrix_zero_if_alpha_zero_kernelILi16ELi16E19rocblas_complex_numIfEPKPS1_EviiT1_lT2_lli.numbered_sgpr, 16
	.set _ZL44rocblas_set_matrix_zero_if_alpha_zero_kernelILi16ELi16E19rocblas_complex_numIfEPKPS1_EviiT1_lT2_lli.num_named_barrier, 0
	.set _ZL44rocblas_set_matrix_zero_if_alpha_zero_kernelILi16ELi16E19rocblas_complex_numIfEPKPS1_EviiT1_lT2_lli.private_seg_size, 0
	.set _ZL44rocblas_set_matrix_zero_if_alpha_zero_kernelILi16ELi16E19rocblas_complex_numIfEPKPS1_EviiT1_lT2_lli.uses_vcc, 1
	.set _ZL44rocblas_set_matrix_zero_if_alpha_zero_kernelILi16ELi16E19rocblas_complex_numIfEPKPS1_EviiT1_lT2_lli.uses_flat_scratch, 0
	.set _ZL44rocblas_set_matrix_zero_if_alpha_zero_kernelILi16ELi16E19rocblas_complex_numIfEPKPS1_EviiT1_lT2_lli.has_dyn_sized_stack, 0
	.set _ZL44rocblas_set_matrix_zero_if_alpha_zero_kernelILi16ELi16E19rocblas_complex_numIfEPKPS1_EviiT1_lT2_lli.has_recursion, 0
	.set _ZL44rocblas_set_matrix_zero_if_alpha_zero_kernelILi16ELi16E19rocblas_complex_numIfEPKPS1_EviiT1_lT2_lli.has_indirect_call, 0
	.section	.AMDGPU.csdata,"",@progbits
; Kernel info:
; codeLenInByte = 304
; TotalNumSgprs: 20
; NumVgprs: 9
; ScratchSize: 0
; MemoryBound: 0
; FloatMode: 240
; IeeeMode: 1
; LDSByteSize: 0 bytes/workgroup (compile time only)
; SGPRBlocks: 2
; VGPRBlocks: 2
; NumSGPRsForWavesPerEU: 20
; NumVGPRsForWavesPerEU: 9
; Occupancy: 10
; WaveLimiterHint : 1
; COMPUTE_PGM_RSRC2:SCRATCH_EN: 0
; COMPUTE_PGM_RSRC2:USER_SGPR: 6
; COMPUTE_PGM_RSRC2:TRAP_HANDLER: 0
; COMPUTE_PGM_RSRC2:TGID_X_EN: 1
; COMPUTE_PGM_RSRC2:TGID_Y_EN: 1
; COMPUTE_PGM_RSRC2:TGID_Z_EN: 1
; COMPUTE_PGM_RSRC2:TIDIG_COMP_CNT: 1
	.section	.text._ZL44rocblas_set_matrix_zero_if_alpha_zero_kernelILi16ELi16EPK19rocblas_complex_numIfEPS1_EviiT1_lT2_lli,"axG",@progbits,_ZL44rocblas_set_matrix_zero_if_alpha_zero_kernelILi16ELi16EPK19rocblas_complex_numIfEPS1_EviiT1_lT2_lli,comdat
	.globl	_ZL44rocblas_set_matrix_zero_if_alpha_zero_kernelILi16ELi16EPK19rocblas_complex_numIfEPS1_EviiT1_lT2_lli ; -- Begin function _ZL44rocblas_set_matrix_zero_if_alpha_zero_kernelILi16ELi16EPK19rocblas_complex_numIfEPS1_EviiT1_lT2_lli
	.p2align	8
	.type	_ZL44rocblas_set_matrix_zero_if_alpha_zero_kernelILi16ELi16EPK19rocblas_complex_numIfEPS1_EviiT1_lT2_lli,@function
_ZL44rocblas_set_matrix_zero_if_alpha_zero_kernelILi16ELi16EPK19rocblas_complex_numIfEPS1_EviiT1_lT2_lli: ; @_ZL44rocblas_set_matrix_zero_if_alpha_zero_kernelILi16ELi16EPK19rocblas_complex_numIfEPS1_EviiT1_lT2_lli
; %bb.0:
	s_load_dwordx8 s[12:19], s[4:5], 0x8
	s_waitcnt lgkmcnt(0)
	s_mul_i32 s0, s15, s8
	s_mul_hi_u32 s1, s14, s8
	s_add_i32 s1, s1, s0
	s_mul_i32 s0, s14, s8
	s_lshl_b64 s[0:1], s[0:1], 3
	s_add_u32 s0, s12, s0
	s_addc_u32 s1, s13, s1
	s_load_dwordx2 s[2:3], s[0:1], 0x0
	s_waitcnt lgkmcnt(0)
	v_cmp_eq_f32_e64 s[0:1], s2, 0
	v_cmp_eq_f32_e64 s[2:3], s3, 0
	s_and_b64 s[0:1], s[0:1], s[2:3]
	s_andn2_b64 vcc, exec, s[0:1]
	s_cbranch_vccnz .LBB202_4
; %bb.1:
	s_load_dwordx2 s[0:1], s[4:5], 0x0
	v_lshl_add_u32 v2, s6, 4, v0
	v_mov_b32_e32 v3, 0
	v_lshl_add_u32 v0, s7, 4, v1
	v_mov_b32_e32 v1, v3
	s_waitcnt lgkmcnt(0)
	s_ashr_i32 s3, s0, 31
	s_mov_b32 s2, s0
	v_cmp_gt_i64_e32 vcc, s[2:3], v[2:3]
	s_ashr_i32 s3, s1, 31
	s_mov_b32 s2, s1
	v_cmp_gt_i64_e64 s[0:1], s[2:3], v[0:1]
	s_and_b64 s[0:1], vcc, s[0:1]
	s_and_saveexec_b64 s[6:7], s[0:1]
	s_cbranch_execz .LBB202_4
; %bb.2:
	s_load_dword s6, s[4:5], 0x3c
	s_load_dwordx2 s[0:1], s[4:5], 0x28
	v_mad_u64_u32 v[4:5], s[4:5], s18, v0, 0
	s_waitcnt lgkmcnt(0)
	s_lshl_b32 s9, s6, 4
	v_mad_u64_u32 v[5:6], s[4:5], s19, v0, v[5:6]
	s_mul_i32 s1, s1, s8
	s_mul_hi_u32 s6, s0, s8
	s_add_i32 s1, s6, s1
	s_mul_i32 s0, s0, s8
	v_lshlrev_b64 v[4:5], 3, v[4:5]
	s_lshl_b64 s[0:1], s[0:1], 3
	v_mov_b32_e32 v6, s1
	v_add_co_u32_e32 v7, vcc, s0, v4
	v_addc_co_u32_e32 v6, vcc, v6, v5, vcc
	v_lshlrev_b64 v[4:5], 3, v[2:3]
	s_mul_i32 s0, s19, s9
	v_add_co_u32_e32 v2, vcc, v7, v4
	v_addc_co_u32_e32 v4, vcc, v6, v5, vcc
	v_mov_b32_e32 v5, s17
	v_add_co_u32_e32 v2, vcc, s16, v2
	s_mul_hi_u32 s1, s18, s9
	v_addc_co_u32_e32 v5, vcc, v5, v4, vcc
	s_add_i32 s1, s1, s0
	s_mul_i32 s0, s18, s9
	v_add_co_u32_e32 v4, vcc, 4, v2
	s_lshl_b64 s[4:5], s[0:1], 3
	v_addc_co_u32_e32 v5, vcc, 0, v5, vcc
	s_mov_b64 s[6:7], 0
	v_mov_b32_e32 v2, v3
	v_mov_b32_e32 v6, s5
.LBB202_3:                              ; =>This Inner Loop Header: Depth=1
	v_add_co_u32_e32 v0, vcc, s9, v0
	v_addc_co_u32_e32 v1, vcc, 0, v1, vcc
	v_cmp_le_i64_e64 s[0:1], s[2:3], v[0:1]
	global_store_dwordx2 v[4:5], v[2:3], off offset:-4
	v_add_co_u32_e32 v4, vcc, s4, v4
	s_or_b64 s[6:7], s[0:1], s[6:7]
	v_addc_co_u32_e32 v5, vcc, v5, v6, vcc
	s_andn2_b64 exec, exec, s[6:7]
	s_cbranch_execnz .LBB202_3
.LBB202_4:
	s_endpgm
	.section	.rodata,"a",@progbits
	.p2align	6, 0x0
	.amdhsa_kernel _ZL44rocblas_set_matrix_zero_if_alpha_zero_kernelILi16ELi16EPK19rocblas_complex_numIfEPS1_EviiT1_lT2_lli
		.amdhsa_group_segment_fixed_size 0
		.amdhsa_private_segment_fixed_size 0
		.amdhsa_kernarg_size 312
		.amdhsa_user_sgpr_count 6
		.amdhsa_user_sgpr_private_segment_buffer 1
		.amdhsa_user_sgpr_dispatch_ptr 0
		.amdhsa_user_sgpr_queue_ptr 0
		.amdhsa_user_sgpr_kernarg_segment_ptr 1
		.amdhsa_user_sgpr_dispatch_id 0
		.amdhsa_user_sgpr_flat_scratch_init 0
		.amdhsa_user_sgpr_private_segment_size 0
		.amdhsa_uses_dynamic_stack 0
		.amdhsa_system_sgpr_private_segment_wavefront_offset 0
		.amdhsa_system_sgpr_workgroup_id_x 1
		.amdhsa_system_sgpr_workgroup_id_y 1
		.amdhsa_system_sgpr_workgroup_id_z 1
		.amdhsa_system_sgpr_workgroup_info 0
		.amdhsa_system_vgpr_workitem_id 1
		.amdhsa_next_free_vgpr 8
		.amdhsa_next_free_sgpr 20
		.amdhsa_reserve_vcc 1
		.amdhsa_reserve_flat_scratch 0
		.amdhsa_float_round_mode_32 0
		.amdhsa_float_round_mode_16_64 0
		.amdhsa_float_denorm_mode_32 3
		.amdhsa_float_denorm_mode_16_64 3
		.amdhsa_dx10_clamp 1
		.amdhsa_ieee_mode 1
		.amdhsa_fp16_overflow 0
		.amdhsa_exception_fp_ieee_invalid_op 0
		.amdhsa_exception_fp_denorm_src 0
		.amdhsa_exception_fp_ieee_div_zero 0
		.amdhsa_exception_fp_ieee_overflow 0
		.amdhsa_exception_fp_ieee_underflow 0
		.amdhsa_exception_fp_ieee_inexact 0
		.amdhsa_exception_int_div_zero 0
	.end_amdhsa_kernel
	.section	.text._ZL44rocblas_set_matrix_zero_if_alpha_zero_kernelILi16ELi16EPK19rocblas_complex_numIfEPS1_EviiT1_lT2_lli,"axG",@progbits,_ZL44rocblas_set_matrix_zero_if_alpha_zero_kernelILi16ELi16EPK19rocblas_complex_numIfEPS1_EviiT1_lT2_lli,comdat
.Lfunc_end202:
	.size	_ZL44rocblas_set_matrix_zero_if_alpha_zero_kernelILi16ELi16EPK19rocblas_complex_numIfEPS1_EviiT1_lT2_lli, .Lfunc_end202-_ZL44rocblas_set_matrix_zero_if_alpha_zero_kernelILi16ELi16EPK19rocblas_complex_numIfEPS1_EviiT1_lT2_lli
                                        ; -- End function
	.set _ZL44rocblas_set_matrix_zero_if_alpha_zero_kernelILi16ELi16EPK19rocblas_complex_numIfEPS1_EviiT1_lT2_lli.num_vgpr, 8
	.set _ZL44rocblas_set_matrix_zero_if_alpha_zero_kernelILi16ELi16EPK19rocblas_complex_numIfEPS1_EviiT1_lT2_lli.num_agpr, 0
	.set _ZL44rocblas_set_matrix_zero_if_alpha_zero_kernelILi16ELi16EPK19rocblas_complex_numIfEPS1_EviiT1_lT2_lli.numbered_sgpr, 20
	.set _ZL44rocblas_set_matrix_zero_if_alpha_zero_kernelILi16ELi16EPK19rocblas_complex_numIfEPS1_EviiT1_lT2_lli.num_named_barrier, 0
	.set _ZL44rocblas_set_matrix_zero_if_alpha_zero_kernelILi16ELi16EPK19rocblas_complex_numIfEPS1_EviiT1_lT2_lli.private_seg_size, 0
	.set _ZL44rocblas_set_matrix_zero_if_alpha_zero_kernelILi16ELi16EPK19rocblas_complex_numIfEPS1_EviiT1_lT2_lli.uses_vcc, 1
	.set _ZL44rocblas_set_matrix_zero_if_alpha_zero_kernelILi16ELi16EPK19rocblas_complex_numIfEPS1_EviiT1_lT2_lli.uses_flat_scratch, 0
	.set _ZL44rocblas_set_matrix_zero_if_alpha_zero_kernelILi16ELi16EPK19rocblas_complex_numIfEPS1_EviiT1_lT2_lli.has_dyn_sized_stack, 0
	.set _ZL44rocblas_set_matrix_zero_if_alpha_zero_kernelILi16ELi16EPK19rocblas_complex_numIfEPS1_EviiT1_lT2_lli.has_recursion, 0
	.set _ZL44rocblas_set_matrix_zero_if_alpha_zero_kernelILi16ELi16EPK19rocblas_complex_numIfEPS1_EviiT1_lT2_lli.has_indirect_call, 0
	.section	.AMDGPU.csdata,"",@progbits
; Kernel info:
; codeLenInByte = 352
; TotalNumSgprs: 24
; NumVgprs: 8
; ScratchSize: 0
; MemoryBound: 0
; FloatMode: 240
; IeeeMode: 1
; LDSByteSize: 0 bytes/workgroup (compile time only)
; SGPRBlocks: 2
; VGPRBlocks: 1
; NumSGPRsForWavesPerEU: 24
; NumVGPRsForWavesPerEU: 8
; Occupancy: 10
; WaveLimiterHint : 0
; COMPUTE_PGM_RSRC2:SCRATCH_EN: 0
; COMPUTE_PGM_RSRC2:USER_SGPR: 6
; COMPUTE_PGM_RSRC2:TRAP_HANDLER: 0
; COMPUTE_PGM_RSRC2:TGID_X_EN: 1
; COMPUTE_PGM_RSRC2:TGID_Y_EN: 1
; COMPUTE_PGM_RSRC2:TGID_Z_EN: 1
; COMPUTE_PGM_RSRC2:TIDIG_COMP_CNT: 1
	.section	.text._ZL44rocblas_set_matrix_zero_if_alpha_zero_kernelILi16ELi16E19rocblas_complex_numIfEPS1_EviiT1_lT2_lli,"axG",@progbits,_ZL44rocblas_set_matrix_zero_if_alpha_zero_kernelILi16ELi16E19rocblas_complex_numIfEPS1_EviiT1_lT2_lli,comdat
	.globl	_ZL44rocblas_set_matrix_zero_if_alpha_zero_kernelILi16ELi16E19rocblas_complex_numIfEPS1_EviiT1_lT2_lli ; -- Begin function _ZL44rocblas_set_matrix_zero_if_alpha_zero_kernelILi16ELi16E19rocblas_complex_numIfEPS1_EviiT1_lT2_lli
	.p2align	8
	.type	_ZL44rocblas_set_matrix_zero_if_alpha_zero_kernelILi16ELi16E19rocblas_complex_numIfEPS1_EviiT1_lT2_lli,@function
_ZL44rocblas_set_matrix_zero_if_alpha_zero_kernelILi16ELi16E19rocblas_complex_numIfEPS1_EviiT1_lT2_lli: ; @_ZL44rocblas_set_matrix_zero_if_alpha_zero_kernelILi16ELi16E19rocblas_complex_numIfEPS1_EviiT1_lT2_lli
; %bb.0:
	s_load_dwordx4 s[0:3], s[4:5], 0x0
	s_waitcnt lgkmcnt(0)
	v_cmp_eq_f32_e64 s[10:11], s2, 0
	v_cmp_eq_f32_e64 s[2:3], s3, 0
	s_and_b64 s[2:3], s[10:11], s[2:3]
	s_andn2_b64 vcc, exec, s[2:3]
	s_cbranch_vccnz .LBB203_4
; %bb.1:
	v_lshl_add_u32 v2, s6, 4, v0
	v_mov_b32_e32 v3, 0
	s_ashr_i32 s3, s0, 31
	s_mov_b32 s2, s0
	v_lshl_add_u32 v0, s7, 4, v1
	v_mov_b32_e32 v1, v3
	v_cmp_gt_i64_e32 vcc, s[2:3], v[2:3]
	s_ashr_i32 s3, s1, 31
	s_mov_b32 s2, s1
	v_cmp_gt_i64_e64 s[0:1], s[2:3], v[0:1]
	s_and_b64 s[0:1], vcc, s[0:1]
	s_and_saveexec_b64 s[6:7], s[0:1]
	s_cbranch_execz .LBB203_4
; %bb.2:
	s_load_dwordx4 s[12:15], s[4:5], 0x18
	s_load_dword s6, s[4:5], 0x3c
	s_load_dwordx2 s[0:1], s[4:5], 0x28
	s_waitcnt lgkmcnt(0)
	v_mad_u64_u32 v[4:5], s[4:5], s14, v0, 0
	s_lshl_b32 s9, s6, 4
	s_mul_i32 s1, s1, s8
	v_mad_u64_u32 v[5:6], s[4:5], s15, v0, v[5:6]
	s_mul_hi_u32 s6, s0, s8
	s_mul_i32 s0, s0, s8
	s_add_i32 s1, s6, s1
	v_lshlrev_b64 v[4:5], 3, v[4:5]
	s_lshl_b64 s[0:1], s[0:1], 3
	v_mov_b32_e32 v6, s1
	v_add_co_u32_e32 v7, vcc, s0, v4
	v_addc_co_u32_e32 v6, vcc, v6, v5, vcc
	v_lshlrev_b64 v[4:5], 3, v[2:3]
	s_mul_i32 s0, s15, s9
	v_add_co_u32_e32 v2, vcc, v7, v4
	v_addc_co_u32_e32 v4, vcc, v6, v5, vcc
	v_mov_b32_e32 v5, s13
	v_add_co_u32_e32 v2, vcc, s12, v2
	s_mul_hi_u32 s1, s14, s9
	v_addc_co_u32_e32 v5, vcc, v5, v4, vcc
	s_add_i32 s1, s1, s0
	s_mul_i32 s0, s14, s9
	v_add_co_u32_e32 v4, vcc, 4, v2
	s_lshl_b64 s[4:5], s[0:1], 3
	v_addc_co_u32_e32 v5, vcc, 0, v5, vcc
	s_mov_b64 s[6:7], 0
	v_mov_b32_e32 v2, v3
	v_mov_b32_e32 v6, s5
.LBB203_3:                              ; =>This Inner Loop Header: Depth=1
	v_add_co_u32_e32 v0, vcc, s9, v0
	v_addc_co_u32_e32 v1, vcc, 0, v1, vcc
	v_cmp_le_i64_e64 s[0:1], s[2:3], v[0:1]
	global_store_dwordx2 v[4:5], v[2:3], off offset:-4
	v_add_co_u32_e32 v4, vcc, s4, v4
	s_or_b64 s[6:7], s[0:1], s[6:7]
	v_addc_co_u32_e32 v5, vcc, v5, v6, vcc
	s_andn2_b64 exec, exec, s[6:7]
	s_cbranch_execnz .LBB203_3
.LBB203_4:
	s_endpgm
	.section	.rodata,"a",@progbits
	.p2align	6, 0x0
	.amdhsa_kernel _ZL44rocblas_set_matrix_zero_if_alpha_zero_kernelILi16ELi16E19rocblas_complex_numIfEPS1_EviiT1_lT2_lli
		.amdhsa_group_segment_fixed_size 0
		.amdhsa_private_segment_fixed_size 0
		.amdhsa_kernarg_size 312
		.amdhsa_user_sgpr_count 6
		.amdhsa_user_sgpr_private_segment_buffer 1
		.amdhsa_user_sgpr_dispatch_ptr 0
		.amdhsa_user_sgpr_queue_ptr 0
		.amdhsa_user_sgpr_kernarg_segment_ptr 1
		.amdhsa_user_sgpr_dispatch_id 0
		.amdhsa_user_sgpr_flat_scratch_init 0
		.amdhsa_user_sgpr_private_segment_size 0
		.amdhsa_uses_dynamic_stack 0
		.amdhsa_system_sgpr_private_segment_wavefront_offset 0
		.amdhsa_system_sgpr_workgroup_id_x 1
		.amdhsa_system_sgpr_workgroup_id_y 1
		.amdhsa_system_sgpr_workgroup_id_z 1
		.amdhsa_system_sgpr_workgroup_info 0
		.amdhsa_system_vgpr_workitem_id 1
		.amdhsa_next_free_vgpr 8
		.amdhsa_next_free_sgpr 16
		.amdhsa_reserve_vcc 1
		.amdhsa_reserve_flat_scratch 0
		.amdhsa_float_round_mode_32 0
		.amdhsa_float_round_mode_16_64 0
		.amdhsa_float_denorm_mode_32 3
		.amdhsa_float_denorm_mode_16_64 3
		.amdhsa_dx10_clamp 1
		.amdhsa_ieee_mode 1
		.amdhsa_fp16_overflow 0
		.amdhsa_exception_fp_ieee_invalid_op 0
		.amdhsa_exception_fp_denorm_src 0
		.amdhsa_exception_fp_ieee_div_zero 0
		.amdhsa_exception_fp_ieee_overflow 0
		.amdhsa_exception_fp_ieee_underflow 0
		.amdhsa_exception_fp_ieee_inexact 0
		.amdhsa_exception_int_div_zero 0
	.end_amdhsa_kernel
	.section	.text._ZL44rocblas_set_matrix_zero_if_alpha_zero_kernelILi16ELi16E19rocblas_complex_numIfEPS1_EviiT1_lT2_lli,"axG",@progbits,_ZL44rocblas_set_matrix_zero_if_alpha_zero_kernelILi16ELi16E19rocblas_complex_numIfEPS1_EviiT1_lT2_lli,comdat
.Lfunc_end203:
	.size	_ZL44rocblas_set_matrix_zero_if_alpha_zero_kernelILi16ELi16E19rocblas_complex_numIfEPS1_EviiT1_lT2_lli, .Lfunc_end203-_ZL44rocblas_set_matrix_zero_if_alpha_zero_kernelILi16ELi16E19rocblas_complex_numIfEPS1_EviiT1_lT2_lli
                                        ; -- End function
	.set _ZL44rocblas_set_matrix_zero_if_alpha_zero_kernelILi16ELi16E19rocblas_complex_numIfEPS1_EviiT1_lT2_lli.num_vgpr, 8
	.set _ZL44rocblas_set_matrix_zero_if_alpha_zero_kernelILi16ELi16E19rocblas_complex_numIfEPS1_EviiT1_lT2_lli.num_agpr, 0
	.set _ZL44rocblas_set_matrix_zero_if_alpha_zero_kernelILi16ELi16E19rocblas_complex_numIfEPS1_EviiT1_lT2_lli.numbered_sgpr, 16
	.set _ZL44rocblas_set_matrix_zero_if_alpha_zero_kernelILi16ELi16E19rocblas_complex_numIfEPS1_EviiT1_lT2_lli.num_named_barrier, 0
	.set _ZL44rocblas_set_matrix_zero_if_alpha_zero_kernelILi16ELi16E19rocblas_complex_numIfEPS1_EviiT1_lT2_lli.private_seg_size, 0
	.set _ZL44rocblas_set_matrix_zero_if_alpha_zero_kernelILi16ELi16E19rocblas_complex_numIfEPS1_EviiT1_lT2_lli.uses_vcc, 1
	.set _ZL44rocblas_set_matrix_zero_if_alpha_zero_kernelILi16ELi16E19rocblas_complex_numIfEPS1_EviiT1_lT2_lli.uses_flat_scratch, 0
	.set _ZL44rocblas_set_matrix_zero_if_alpha_zero_kernelILi16ELi16E19rocblas_complex_numIfEPS1_EviiT1_lT2_lli.has_dyn_sized_stack, 0
	.set _ZL44rocblas_set_matrix_zero_if_alpha_zero_kernelILi16ELi16E19rocblas_complex_numIfEPS1_EviiT1_lT2_lli.has_recursion, 0
	.set _ZL44rocblas_set_matrix_zero_if_alpha_zero_kernelILi16ELi16E19rocblas_complex_numIfEPS1_EviiT1_lT2_lli.has_indirect_call, 0
	.section	.AMDGPU.csdata,"",@progbits
; Kernel info:
; codeLenInByte = 308
; TotalNumSgprs: 20
; NumVgprs: 8
; ScratchSize: 0
; MemoryBound: 0
; FloatMode: 240
; IeeeMode: 1
; LDSByteSize: 0 bytes/workgroup (compile time only)
; SGPRBlocks: 2
; VGPRBlocks: 1
; NumSGPRsForWavesPerEU: 20
; NumVGPRsForWavesPerEU: 8
; Occupancy: 10
; WaveLimiterHint : 0
; COMPUTE_PGM_RSRC2:SCRATCH_EN: 0
; COMPUTE_PGM_RSRC2:USER_SGPR: 6
; COMPUTE_PGM_RSRC2:TRAP_HANDLER: 0
; COMPUTE_PGM_RSRC2:TGID_X_EN: 1
; COMPUTE_PGM_RSRC2:TGID_Y_EN: 1
; COMPUTE_PGM_RSRC2:TGID_Z_EN: 1
; COMPUTE_PGM_RSRC2:TIDIG_COMP_CNT: 1
	.section	.text._ZL44rocblas_set_matrix_zero_if_alpha_zero_kernelILi16ELi16EPK19rocblas_complex_numIdEPKPS1_EviiT1_lT2_lli,"axG",@progbits,_ZL44rocblas_set_matrix_zero_if_alpha_zero_kernelILi16ELi16EPK19rocblas_complex_numIdEPKPS1_EviiT1_lT2_lli,comdat
	.globl	_ZL44rocblas_set_matrix_zero_if_alpha_zero_kernelILi16ELi16EPK19rocblas_complex_numIdEPKPS1_EviiT1_lT2_lli ; -- Begin function _ZL44rocblas_set_matrix_zero_if_alpha_zero_kernelILi16ELi16EPK19rocblas_complex_numIdEPKPS1_EviiT1_lT2_lli
	.p2align	8
	.type	_ZL44rocblas_set_matrix_zero_if_alpha_zero_kernelILi16ELi16EPK19rocblas_complex_numIdEPKPS1_EviiT1_lT2_lli,@function
_ZL44rocblas_set_matrix_zero_if_alpha_zero_kernelILi16ELi16EPK19rocblas_complex_numIdEPKPS1_EviiT1_lT2_lli: ; @_ZL44rocblas_set_matrix_zero_if_alpha_zero_kernelILi16ELi16EPK19rocblas_complex_numIdEPKPS1_EviiT1_lT2_lli
; %bb.0:
	s_load_dwordx8 s[12:19], s[4:5], 0x8
	s_waitcnt lgkmcnt(0)
	s_mul_i32 s0, s15, s8
	s_mul_hi_u32 s1, s14, s8
	s_add_i32 s1, s1, s0
	s_mul_i32 s0, s14, s8
	s_lshl_b64 s[0:1], s[0:1], 4
	s_add_u32 s10, s12, s0
	s_addc_u32 s11, s13, s1
	s_load_dwordx4 s[0:3], s[10:11], 0x0
	s_waitcnt lgkmcnt(0)
	v_cmp_eq_f64_e64 s[0:1], s[0:1], 0
	v_cmp_eq_f64_e64 s[2:3], s[2:3], 0
	s_and_b64 s[0:1], s[0:1], s[2:3]
	s_andn2_b64 vcc, exec, s[0:1]
	s_cbranch_vccnz .LBB204_4
; %bb.1:
	s_load_dwordx2 s[0:1], s[4:5], 0x0
	v_lshl_add_u32 v2, s6, 4, v0
	v_mov_b32_e32 v0, 0
	v_mov_b32_e32 v3, v0
	v_lshl_add_u32 v4, s7, 4, v1
	s_waitcnt lgkmcnt(0)
	s_ashr_i32 s3, s0, 31
	s_mov_b32 s2, s0
	v_mov_b32_e32 v5, v0
	v_cmp_gt_i64_e32 vcc, s[2:3], v[2:3]
	s_ashr_i32 s3, s1, 31
	s_mov_b32 s2, s1
	v_cmp_gt_i64_e64 s[0:1], s[2:3], v[4:5]
	s_and_b64 s[0:1], vcc, s[0:1]
	s_and_saveexec_b64 s[6:7], s[0:1]
	s_cbranch_execz .LBB204_4
; %bb.2:
	v_mad_u64_u32 v[6:7], s[6:7], s18, v4, 0
	s_mov_b32 s9, 0
	s_lshl_b64 s[0:1], s[8:9], 3
	v_mov_b32_e32 v1, v7
	s_load_dwordx2 s[6:7], s[4:5], 0x28
	s_load_dword s8, s[4:5], 0x3c
	v_mad_u64_u32 v[7:8], s[4:5], s19, v4, v[1:2]
	s_add_u32 s0, s16, s0
	s_addc_u32 s1, s17, s1
	v_lshlrev_b64 v[6:7], 4, v[6:7]
	s_waitcnt lgkmcnt(0)
	s_lshl_b64 s[4:5], s[6:7], 4
	s_load_dwordx2 s[0:1], s[0:1], 0x0
	v_mov_b32_e32 v1, s5
	v_add_co_u32_e32 v6, vcc, s4, v6
	v_addc_co_u32_e32 v7, vcc, v7, v1, vcc
	v_lshlrev_b64 v[1:2], 4, v[2:3]
	s_lshl_b32 s8, s8, 4
	v_add_co_u32_e32 v1, vcc, v6, v1
	v_addc_co_u32_e32 v2, vcc, v7, v2, vcc
	s_waitcnt lgkmcnt(0)
	v_mov_b32_e32 v3, s1
	v_add_co_u32_e32 v6, vcc, s0, v1
	s_mul_i32 s0, s19, s8
	s_mul_hi_u32 s1, s18, s8
	s_add_i32 s1, s1, s0
	s_mul_i32 s0, s18, s8
	s_lshl_b64 s[4:5], s[0:1], 4
	v_addc_co_u32_e32 v7, vcc, v3, v2, vcc
	s_mov_b64 s[6:7], 0
	v_mov_b32_e32 v8, s5
.LBB204_3:                              ; =>This Inner Loop Header: Depth=1
	v_add_co_u32_e32 v4, vcc, s8, v4
	v_addc_co_u32_e32 v5, vcc, 0, v5, vcc
	v_mov_b32_e32 v1, v0
	v_mov_b32_e32 v2, v0
	;; [unrolled: 1-line block ×3, first 2 shown]
	v_cmp_le_i64_e32 vcc, s[2:3], v[4:5]
	flat_store_dwordx4 v[6:7], v[0:3]
	v_add_co_u32_e64 v6, s[0:1], s4, v6
	s_or_b64 s[6:7], vcc, s[6:7]
	v_addc_co_u32_e64 v7, vcc, v7, v8, s[0:1]
	s_andn2_b64 exec, exec, s[6:7]
	s_cbranch_execnz .LBB204_3
.LBB204_4:
	s_endpgm
	.section	.rodata,"a",@progbits
	.p2align	6, 0x0
	.amdhsa_kernel _ZL44rocblas_set_matrix_zero_if_alpha_zero_kernelILi16ELi16EPK19rocblas_complex_numIdEPKPS1_EviiT1_lT2_lli
		.amdhsa_group_segment_fixed_size 0
		.amdhsa_private_segment_fixed_size 0
		.amdhsa_kernarg_size 312
		.amdhsa_user_sgpr_count 6
		.amdhsa_user_sgpr_private_segment_buffer 1
		.amdhsa_user_sgpr_dispatch_ptr 0
		.amdhsa_user_sgpr_queue_ptr 0
		.amdhsa_user_sgpr_kernarg_segment_ptr 1
		.amdhsa_user_sgpr_dispatch_id 0
		.amdhsa_user_sgpr_flat_scratch_init 0
		.amdhsa_user_sgpr_private_segment_size 0
		.amdhsa_uses_dynamic_stack 0
		.amdhsa_system_sgpr_private_segment_wavefront_offset 0
		.amdhsa_system_sgpr_workgroup_id_x 1
		.amdhsa_system_sgpr_workgroup_id_y 1
		.amdhsa_system_sgpr_workgroup_id_z 1
		.amdhsa_system_sgpr_workgroup_info 0
		.amdhsa_system_vgpr_workitem_id 1
		.amdhsa_next_free_vgpr 9
		.amdhsa_next_free_sgpr 20
		.amdhsa_reserve_vcc 1
		.amdhsa_reserve_flat_scratch 0
		.amdhsa_float_round_mode_32 0
		.amdhsa_float_round_mode_16_64 0
		.amdhsa_float_denorm_mode_32 3
		.amdhsa_float_denorm_mode_16_64 3
		.amdhsa_dx10_clamp 1
		.amdhsa_ieee_mode 1
		.amdhsa_fp16_overflow 0
		.amdhsa_exception_fp_ieee_invalid_op 0
		.amdhsa_exception_fp_denorm_src 0
		.amdhsa_exception_fp_ieee_div_zero 0
		.amdhsa_exception_fp_ieee_overflow 0
		.amdhsa_exception_fp_ieee_underflow 0
		.amdhsa_exception_fp_ieee_inexact 0
		.amdhsa_exception_int_div_zero 0
	.end_amdhsa_kernel
	.section	.text._ZL44rocblas_set_matrix_zero_if_alpha_zero_kernelILi16ELi16EPK19rocblas_complex_numIdEPKPS1_EviiT1_lT2_lli,"axG",@progbits,_ZL44rocblas_set_matrix_zero_if_alpha_zero_kernelILi16ELi16EPK19rocblas_complex_numIdEPKPS1_EviiT1_lT2_lli,comdat
.Lfunc_end204:
	.size	_ZL44rocblas_set_matrix_zero_if_alpha_zero_kernelILi16ELi16EPK19rocblas_complex_numIdEPKPS1_EviiT1_lT2_lli, .Lfunc_end204-_ZL44rocblas_set_matrix_zero_if_alpha_zero_kernelILi16ELi16EPK19rocblas_complex_numIdEPKPS1_EviiT1_lT2_lli
                                        ; -- End function
	.set _ZL44rocblas_set_matrix_zero_if_alpha_zero_kernelILi16ELi16EPK19rocblas_complex_numIdEPKPS1_EviiT1_lT2_lli.num_vgpr, 9
	.set _ZL44rocblas_set_matrix_zero_if_alpha_zero_kernelILi16ELi16EPK19rocblas_complex_numIdEPKPS1_EviiT1_lT2_lli.num_agpr, 0
	.set _ZL44rocblas_set_matrix_zero_if_alpha_zero_kernelILi16ELi16EPK19rocblas_complex_numIdEPKPS1_EviiT1_lT2_lli.numbered_sgpr, 20
	.set _ZL44rocblas_set_matrix_zero_if_alpha_zero_kernelILi16ELi16EPK19rocblas_complex_numIdEPKPS1_EviiT1_lT2_lli.num_named_barrier, 0
	.set _ZL44rocblas_set_matrix_zero_if_alpha_zero_kernelILi16ELi16EPK19rocblas_complex_numIdEPKPS1_EviiT1_lT2_lli.private_seg_size, 0
	.set _ZL44rocblas_set_matrix_zero_if_alpha_zero_kernelILi16ELi16EPK19rocblas_complex_numIdEPKPS1_EviiT1_lT2_lli.uses_vcc, 1
	.set _ZL44rocblas_set_matrix_zero_if_alpha_zero_kernelILi16ELi16EPK19rocblas_complex_numIdEPKPS1_EviiT1_lT2_lli.uses_flat_scratch, 0
	.set _ZL44rocblas_set_matrix_zero_if_alpha_zero_kernelILi16ELi16EPK19rocblas_complex_numIdEPKPS1_EviiT1_lT2_lli.has_dyn_sized_stack, 0
	.set _ZL44rocblas_set_matrix_zero_if_alpha_zero_kernelILi16ELi16EPK19rocblas_complex_numIdEPKPS1_EviiT1_lT2_lli.has_recursion, 0
	.set _ZL44rocblas_set_matrix_zero_if_alpha_zero_kernelILi16ELi16EPK19rocblas_complex_numIdEPKPS1_EviiT1_lT2_lli.has_indirect_call, 0
	.section	.AMDGPU.csdata,"",@progbits
; Kernel info:
; codeLenInByte = 376
; TotalNumSgprs: 24
; NumVgprs: 9
; ScratchSize: 0
; MemoryBound: 0
; FloatMode: 240
; IeeeMode: 1
; LDSByteSize: 0 bytes/workgroup (compile time only)
; SGPRBlocks: 2
; VGPRBlocks: 2
; NumSGPRsForWavesPerEU: 24
; NumVGPRsForWavesPerEU: 9
; Occupancy: 10
; WaveLimiterHint : 0
; COMPUTE_PGM_RSRC2:SCRATCH_EN: 0
; COMPUTE_PGM_RSRC2:USER_SGPR: 6
; COMPUTE_PGM_RSRC2:TRAP_HANDLER: 0
; COMPUTE_PGM_RSRC2:TGID_X_EN: 1
; COMPUTE_PGM_RSRC2:TGID_Y_EN: 1
; COMPUTE_PGM_RSRC2:TGID_Z_EN: 1
; COMPUTE_PGM_RSRC2:TIDIG_COMP_CNT: 1
	.section	.text._ZL44rocblas_set_matrix_zero_if_alpha_zero_kernelILi16ELi16E19rocblas_complex_numIdEPKPS1_EviiT1_lT2_lli,"axG",@progbits,_ZL44rocblas_set_matrix_zero_if_alpha_zero_kernelILi16ELi16E19rocblas_complex_numIdEPKPS1_EviiT1_lT2_lli,comdat
	.globl	_ZL44rocblas_set_matrix_zero_if_alpha_zero_kernelILi16ELi16E19rocblas_complex_numIdEPKPS1_EviiT1_lT2_lli ; -- Begin function _ZL44rocblas_set_matrix_zero_if_alpha_zero_kernelILi16ELi16E19rocblas_complex_numIdEPKPS1_EviiT1_lT2_lli
	.p2align	8
	.type	_ZL44rocblas_set_matrix_zero_if_alpha_zero_kernelILi16ELi16E19rocblas_complex_numIdEPKPS1_EviiT1_lT2_lli,@function
_ZL44rocblas_set_matrix_zero_if_alpha_zero_kernelILi16ELi16E19rocblas_complex_numIdEPKPS1_EviiT1_lT2_lli: ; @_ZL44rocblas_set_matrix_zero_if_alpha_zero_kernelILi16ELi16E19rocblas_complex_numIdEPKPS1_EviiT1_lT2_lli
; %bb.0:
	s_load_dwordx4 s[0:3], s[4:5], 0x8
	s_waitcnt lgkmcnt(0)
	v_cmp_eq_f64_e64 s[0:1], s[0:1], 0
	v_cmp_eq_f64_e64 s[2:3], s[2:3], 0
	s_and_b64 s[0:1], s[0:1], s[2:3]
	s_andn2_b64 vcc, exec, s[0:1]
	s_cbranch_vccnz .LBB205_4
; %bb.1:
	s_load_dwordx2 s[0:1], s[4:5], 0x0
	v_lshl_add_u32 v2, s6, 4, v0
	v_mov_b32_e32 v0, 0
	v_mov_b32_e32 v3, v0
	v_lshl_add_u32 v4, s7, 4, v1
	s_waitcnt lgkmcnt(0)
	s_ashr_i32 s3, s0, 31
	s_mov_b32 s2, s0
	v_mov_b32_e32 v5, v0
	v_cmp_gt_i64_e32 vcc, s[2:3], v[2:3]
	s_ashr_i32 s3, s1, 31
	s_mov_b32 s2, s1
	v_cmp_gt_i64_e64 s[0:1], s[2:3], v[4:5]
	s_and_b64 s[0:1], vcc, s[0:1]
	s_and_saveexec_b64 s[6:7], s[0:1]
	s_cbranch_execz .LBB205_4
; %bb.2:
	s_load_dwordx4 s[12:15], s[4:5], 0x20
	s_load_dwordx2 s[0:1], s[4:5], 0x30
	s_mov_b32 s9, 0
	s_load_dword s10, s[4:5], 0x44
	s_lshl_b64 s[4:5], s[8:9], 3
	s_waitcnt lgkmcnt(0)
	v_mad_u64_u32 v[6:7], s[6:7], s14, v4, 0
	s_add_u32 s4, s12, s4
	s_addc_u32 s5, s13, s5
	v_mov_b32_e32 v1, v7
	v_mad_u64_u32 v[7:8], s[6:7], s15, v4, v[1:2]
	s_lshl_b64 s[0:1], s[0:1], 4
	s_load_dwordx2 s[4:5], s[4:5], 0x0
	v_lshlrev_b64 v[6:7], 4, v[6:7]
	v_mov_b32_e32 v1, s1
	v_add_co_u32_e32 v6, vcc, s0, v6
	v_addc_co_u32_e32 v7, vcc, v7, v1, vcc
	v_lshlrev_b64 v[1:2], 4, v[2:3]
	s_lshl_b32 s8, s10, 4
	v_add_co_u32_e32 v1, vcc, v6, v1
	s_mul_i32 s0, s15, s8
	s_mul_hi_u32 s1, s14, s8
	v_addc_co_u32_e32 v2, vcc, v7, v2, vcc
	s_add_i32 s1, s1, s0
	s_mul_i32 s0, s14, s8
	s_waitcnt lgkmcnt(0)
	v_mov_b32_e32 v3, s5
	v_add_co_u32_e32 v6, vcc, s4, v1
	s_lshl_b64 s[4:5], s[0:1], 4
	v_addc_co_u32_e32 v7, vcc, v3, v2, vcc
	s_mov_b64 s[6:7], 0
	v_mov_b32_e32 v8, s5
.LBB205_3:                              ; =>This Inner Loop Header: Depth=1
	v_add_co_u32_e32 v4, vcc, s8, v4
	v_addc_co_u32_e32 v5, vcc, 0, v5, vcc
	v_mov_b32_e32 v1, v0
	v_mov_b32_e32 v2, v0
	;; [unrolled: 1-line block ×3, first 2 shown]
	v_cmp_le_i64_e32 vcc, s[2:3], v[4:5]
	flat_store_dwordx4 v[6:7], v[0:3]
	v_add_co_u32_e64 v6, s[0:1], s4, v6
	s_or_b64 s[6:7], vcc, s[6:7]
	v_addc_co_u32_e64 v7, vcc, v7, v8, s[0:1]
	s_andn2_b64 exec, exec, s[6:7]
	s_cbranch_execnz .LBB205_3
.LBB205_4:
	s_endpgm
	.section	.rodata,"a",@progbits
	.p2align	6, 0x0
	.amdhsa_kernel _ZL44rocblas_set_matrix_zero_if_alpha_zero_kernelILi16ELi16E19rocblas_complex_numIdEPKPS1_EviiT1_lT2_lli
		.amdhsa_group_segment_fixed_size 0
		.amdhsa_private_segment_fixed_size 0
		.amdhsa_kernarg_size 320
		.amdhsa_user_sgpr_count 6
		.amdhsa_user_sgpr_private_segment_buffer 1
		.amdhsa_user_sgpr_dispatch_ptr 0
		.amdhsa_user_sgpr_queue_ptr 0
		.amdhsa_user_sgpr_kernarg_segment_ptr 1
		.amdhsa_user_sgpr_dispatch_id 0
		.amdhsa_user_sgpr_flat_scratch_init 0
		.amdhsa_user_sgpr_private_segment_size 0
		.amdhsa_uses_dynamic_stack 0
		.amdhsa_system_sgpr_private_segment_wavefront_offset 0
		.amdhsa_system_sgpr_workgroup_id_x 1
		.amdhsa_system_sgpr_workgroup_id_y 1
		.amdhsa_system_sgpr_workgroup_id_z 1
		.amdhsa_system_sgpr_workgroup_info 0
		.amdhsa_system_vgpr_workitem_id 1
		.amdhsa_next_free_vgpr 9
		.amdhsa_next_free_sgpr 16
		.amdhsa_reserve_vcc 1
		.amdhsa_reserve_flat_scratch 0
		.amdhsa_float_round_mode_32 0
		.amdhsa_float_round_mode_16_64 0
		.amdhsa_float_denorm_mode_32 3
		.amdhsa_float_denorm_mode_16_64 3
		.amdhsa_dx10_clamp 1
		.amdhsa_ieee_mode 1
		.amdhsa_fp16_overflow 0
		.amdhsa_exception_fp_ieee_invalid_op 0
		.amdhsa_exception_fp_denorm_src 0
		.amdhsa_exception_fp_ieee_div_zero 0
		.amdhsa_exception_fp_ieee_overflow 0
		.amdhsa_exception_fp_ieee_underflow 0
		.amdhsa_exception_fp_ieee_inexact 0
		.amdhsa_exception_int_div_zero 0
	.end_amdhsa_kernel
	.section	.text._ZL44rocblas_set_matrix_zero_if_alpha_zero_kernelILi16ELi16E19rocblas_complex_numIdEPKPS1_EviiT1_lT2_lli,"axG",@progbits,_ZL44rocblas_set_matrix_zero_if_alpha_zero_kernelILi16ELi16E19rocblas_complex_numIdEPKPS1_EviiT1_lT2_lli,comdat
.Lfunc_end205:
	.size	_ZL44rocblas_set_matrix_zero_if_alpha_zero_kernelILi16ELi16E19rocblas_complex_numIdEPKPS1_EviiT1_lT2_lli, .Lfunc_end205-_ZL44rocblas_set_matrix_zero_if_alpha_zero_kernelILi16ELi16E19rocblas_complex_numIdEPKPS1_EviiT1_lT2_lli
                                        ; -- End function
	.set _ZL44rocblas_set_matrix_zero_if_alpha_zero_kernelILi16ELi16E19rocblas_complex_numIdEPKPS1_EviiT1_lT2_lli.num_vgpr, 9
	.set _ZL44rocblas_set_matrix_zero_if_alpha_zero_kernelILi16ELi16E19rocblas_complex_numIdEPKPS1_EviiT1_lT2_lli.num_agpr, 0
	.set _ZL44rocblas_set_matrix_zero_if_alpha_zero_kernelILi16ELi16E19rocblas_complex_numIdEPKPS1_EviiT1_lT2_lli.numbered_sgpr, 16
	.set _ZL44rocblas_set_matrix_zero_if_alpha_zero_kernelILi16ELi16E19rocblas_complex_numIdEPKPS1_EviiT1_lT2_lli.num_named_barrier, 0
	.set _ZL44rocblas_set_matrix_zero_if_alpha_zero_kernelILi16ELi16E19rocblas_complex_numIdEPKPS1_EviiT1_lT2_lli.private_seg_size, 0
	.set _ZL44rocblas_set_matrix_zero_if_alpha_zero_kernelILi16ELi16E19rocblas_complex_numIdEPKPS1_EviiT1_lT2_lli.uses_vcc, 1
	.set _ZL44rocblas_set_matrix_zero_if_alpha_zero_kernelILi16ELi16E19rocblas_complex_numIdEPKPS1_EviiT1_lT2_lli.uses_flat_scratch, 0
	.set _ZL44rocblas_set_matrix_zero_if_alpha_zero_kernelILi16ELi16E19rocblas_complex_numIdEPKPS1_EviiT1_lT2_lli.has_dyn_sized_stack, 0
	.set _ZL44rocblas_set_matrix_zero_if_alpha_zero_kernelILi16ELi16E19rocblas_complex_numIdEPKPS1_EviiT1_lT2_lli.has_recursion, 0
	.set _ZL44rocblas_set_matrix_zero_if_alpha_zero_kernelILi16ELi16E19rocblas_complex_numIdEPKPS1_EviiT1_lT2_lli.has_indirect_call, 0
	.section	.AMDGPU.csdata,"",@progbits
; Kernel info:
; codeLenInByte = 344
; TotalNumSgprs: 20
; NumVgprs: 9
; ScratchSize: 0
; MemoryBound: 0
; FloatMode: 240
; IeeeMode: 1
; LDSByteSize: 0 bytes/workgroup (compile time only)
; SGPRBlocks: 2
; VGPRBlocks: 2
; NumSGPRsForWavesPerEU: 20
; NumVGPRsForWavesPerEU: 9
; Occupancy: 10
; WaveLimiterHint : 0
; COMPUTE_PGM_RSRC2:SCRATCH_EN: 0
; COMPUTE_PGM_RSRC2:USER_SGPR: 6
; COMPUTE_PGM_RSRC2:TRAP_HANDLER: 0
; COMPUTE_PGM_RSRC2:TGID_X_EN: 1
; COMPUTE_PGM_RSRC2:TGID_Y_EN: 1
; COMPUTE_PGM_RSRC2:TGID_Z_EN: 1
; COMPUTE_PGM_RSRC2:TIDIG_COMP_CNT: 1
	.section	.text._ZL44rocblas_set_matrix_zero_if_alpha_zero_kernelILi16ELi16EPK19rocblas_complex_numIdEPS1_EviiT1_lT2_lli,"axG",@progbits,_ZL44rocblas_set_matrix_zero_if_alpha_zero_kernelILi16ELi16EPK19rocblas_complex_numIdEPS1_EviiT1_lT2_lli,comdat
	.globl	_ZL44rocblas_set_matrix_zero_if_alpha_zero_kernelILi16ELi16EPK19rocblas_complex_numIdEPS1_EviiT1_lT2_lli ; -- Begin function _ZL44rocblas_set_matrix_zero_if_alpha_zero_kernelILi16ELi16EPK19rocblas_complex_numIdEPS1_EviiT1_lT2_lli
	.p2align	8
	.type	_ZL44rocblas_set_matrix_zero_if_alpha_zero_kernelILi16ELi16EPK19rocblas_complex_numIdEPS1_EviiT1_lT2_lli,@function
_ZL44rocblas_set_matrix_zero_if_alpha_zero_kernelILi16ELi16EPK19rocblas_complex_numIdEPS1_EviiT1_lT2_lli: ; @_ZL44rocblas_set_matrix_zero_if_alpha_zero_kernelILi16ELi16EPK19rocblas_complex_numIdEPS1_EviiT1_lT2_lli
; %bb.0:
	s_load_dwordx8 s[12:19], s[4:5], 0x8
	s_waitcnt lgkmcnt(0)
	s_mul_i32 s0, s15, s8
	s_mul_hi_u32 s1, s14, s8
	s_add_i32 s1, s1, s0
	s_mul_i32 s0, s14, s8
	s_lshl_b64 s[0:1], s[0:1], 4
	s_add_u32 s10, s12, s0
	s_addc_u32 s11, s13, s1
	s_load_dwordx4 s[0:3], s[10:11], 0x0
	s_waitcnt lgkmcnt(0)
	v_cmp_eq_f64_e64 s[0:1], s[0:1], 0
	v_cmp_eq_f64_e64 s[2:3], s[2:3], 0
	s_and_b64 s[0:1], s[0:1], s[2:3]
	s_andn2_b64 vcc, exec, s[0:1]
	s_cbranch_vccnz .LBB206_4
; %bb.1:
	s_load_dwordx2 s[0:1], s[4:5], 0x0
	v_lshl_add_u32 v2, s6, 4, v0
	v_mov_b32_e32 v0, 0
	v_mov_b32_e32 v3, v0
	v_lshl_add_u32 v4, s7, 4, v1
	s_waitcnt lgkmcnt(0)
	s_ashr_i32 s3, s0, 31
	s_mov_b32 s2, s0
	v_mov_b32_e32 v5, v0
	v_cmp_gt_i64_e32 vcc, s[2:3], v[2:3]
	s_ashr_i32 s3, s1, 31
	s_mov_b32 s2, s1
	v_cmp_gt_i64_e64 s[0:1], s[2:3], v[4:5]
	s_and_b64 s[0:1], vcc, s[0:1]
	s_and_saveexec_b64 s[6:7], s[0:1]
	s_cbranch_execz .LBB206_4
; %bb.2:
	s_load_dword s6, s[4:5], 0x3c
	s_load_dwordx2 s[0:1], s[4:5], 0x28
	v_mad_u64_u32 v[6:7], s[4:5], s18, v4, 0
	s_waitcnt lgkmcnt(0)
	s_lshl_b32 s9, s6, 4
	v_mov_b32_e32 v1, v7
	v_mad_u64_u32 v[7:8], s[4:5], s19, v4, v[1:2]
	s_mul_i32 s1, s1, s8
	s_mul_hi_u32 s6, s0, s8
	s_add_i32 s1, s6, s1
	s_mul_i32 s0, s0, s8
	v_lshlrev_b64 v[6:7], 4, v[6:7]
	s_lshl_b64 s[0:1], s[0:1], 4
	v_mov_b32_e32 v1, s1
	v_add_co_u32_e32 v6, vcc, s0, v6
	v_addc_co_u32_e32 v7, vcc, v1, v7, vcc
	v_lshlrev_b64 v[1:2], 4, v[2:3]
	v_mov_b32_e32 v3, s17
	v_add_co_u32_e32 v1, vcc, v6, v1
	v_addc_co_u32_e32 v2, vcc, v7, v2, vcc
	v_add_co_u32_e32 v1, vcc, s16, v1
	s_mul_i32 s0, s19, s9
	s_mul_hi_u32 s1, s18, s9
	v_addc_co_u32_e32 v2, vcc, v3, v2, vcc
	s_add_i32 s1, s1, s0
	s_mul_i32 s0, s18, s9
	v_add_co_u32_e32 v6, vcc, 8, v1
	s_lshl_b64 s[4:5], s[0:1], 4
	v_addc_co_u32_e32 v7, vcc, 0, v2, vcc
	s_mov_b64 s[6:7], 0
	v_mov_b32_e32 v8, s5
.LBB206_3:                              ; =>This Inner Loop Header: Depth=1
	v_add_co_u32_e32 v4, vcc, s9, v4
	v_addc_co_u32_e32 v5, vcc, 0, v5, vcc
	v_mov_b32_e32 v1, v0
	v_mov_b32_e32 v2, v0
	;; [unrolled: 1-line block ×3, first 2 shown]
	v_cmp_le_i64_e32 vcc, s[2:3], v[4:5]
	global_store_dwordx4 v[6:7], v[0:3], off offset:-8
	v_add_co_u32_e64 v6, s[0:1], s4, v6
	s_or_b64 s[6:7], vcc, s[6:7]
	v_addc_co_u32_e64 v7, vcc, v7, v8, s[0:1]
	s_andn2_b64 exec, exec, s[6:7]
	s_cbranch_execnz .LBB206_3
.LBB206_4:
	s_endpgm
	.section	.rodata,"a",@progbits
	.p2align	6, 0x0
	.amdhsa_kernel _ZL44rocblas_set_matrix_zero_if_alpha_zero_kernelILi16ELi16EPK19rocblas_complex_numIdEPS1_EviiT1_lT2_lli
		.amdhsa_group_segment_fixed_size 0
		.amdhsa_private_segment_fixed_size 0
		.amdhsa_kernarg_size 312
		.amdhsa_user_sgpr_count 6
		.amdhsa_user_sgpr_private_segment_buffer 1
		.amdhsa_user_sgpr_dispatch_ptr 0
		.amdhsa_user_sgpr_queue_ptr 0
		.amdhsa_user_sgpr_kernarg_segment_ptr 1
		.amdhsa_user_sgpr_dispatch_id 0
		.amdhsa_user_sgpr_flat_scratch_init 0
		.amdhsa_user_sgpr_private_segment_size 0
		.amdhsa_uses_dynamic_stack 0
		.amdhsa_system_sgpr_private_segment_wavefront_offset 0
		.amdhsa_system_sgpr_workgroup_id_x 1
		.amdhsa_system_sgpr_workgroup_id_y 1
		.amdhsa_system_sgpr_workgroup_id_z 1
		.amdhsa_system_sgpr_workgroup_info 0
		.amdhsa_system_vgpr_workitem_id 1
		.amdhsa_next_free_vgpr 9
		.amdhsa_next_free_sgpr 20
		.amdhsa_reserve_vcc 1
		.amdhsa_reserve_flat_scratch 0
		.amdhsa_float_round_mode_32 0
		.amdhsa_float_round_mode_16_64 0
		.amdhsa_float_denorm_mode_32 3
		.amdhsa_float_denorm_mode_16_64 3
		.amdhsa_dx10_clamp 1
		.amdhsa_ieee_mode 1
		.amdhsa_fp16_overflow 0
		.amdhsa_exception_fp_ieee_invalid_op 0
		.amdhsa_exception_fp_denorm_src 0
		.amdhsa_exception_fp_ieee_div_zero 0
		.amdhsa_exception_fp_ieee_overflow 0
		.amdhsa_exception_fp_ieee_underflow 0
		.amdhsa_exception_fp_ieee_inexact 0
		.amdhsa_exception_int_div_zero 0
	.end_amdhsa_kernel
	.section	.text._ZL44rocblas_set_matrix_zero_if_alpha_zero_kernelILi16ELi16EPK19rocblas_complex_numIdEPS1_EviiT1_lT2_lli,"axG",@progbits,_ZL44rocblas_set_matrix_zero_if_alpha_zero_kernelILi16ELi16EPK19rocblas_complex_numIdEPS1_EviiT1_lT2_lli,comdat
.Lfunc_end206:
	.size	_ZL44rocblas_set_matrix_zero_if_alpha_zero_kernelILi16ELi16EPK19rocblas_complex_numIdEPS1_EviiT1_lT2_lli, .Lfunc_end206-_ZL44rocblas_set_matrix_zero_if_alpha_zero_kernelILi16ELi16EPK19rocblas_complex_numIdEPS1_EviiT1_lT2_lli
                                        ; -- End function
	.set _ZL44rocblas_set_matrix_zero_if_alpha_zero_kernelILi16ELi16EPK19rocblas_complex_numIdEPS1_EviiT1_lT2_lli.num_vgpr, 9
	.set _ZL44rocblas_set_matrix_zero_if_alpha_zero_kernelILi16ELi16EPK19rocblas_complex_numIdEPS1_EviiT1_lT2_lli.num_agpr, 0
	.set _ZL44rocblas_set_matrix_zero_if_alpha_zero_kernelILi16ELi16EPK19rocblas_complex_numIdEPS1_EviiT1_lT2_lli.numbered_sgpr, 20
	.set _ZL44rocblas_set_matrix_zero_if_alpha_zero_kernelILi16ELi16EPK19rocblas_complex_numIdEPS1_EviiT1_lT2_lli.num_named_barrier, 0
	.set _ZL44rocblas_set_matrix_zero_if_alpha_zero_kernelILi16ELi16EPK19rocblas_complex_numIdEPS1_EviiT1_lT2_lli.private_seg_size, 0
	.set _ZL44rocblas_set_matrix_zero_if_alpha_zero_kernelILi16ELi16EPK19rocblas_complex_numIdEPS1_EviiT1_lT2_lli.uses_vcc, 1
	.set _ZL44rocblas_set_matrix_zero_if_alpha_zero_kernelILi16ELi16EPK19rocblas_complex_numIdEPS1_EviiT1_lT2_lli.uses_flat_scratch, 0
	.set _ZL44rocblas_set_matrix_zero_if_alpha_zero_kernelILi16ELi16EPK19rocblas_complex_numIdEPS1_EviiT1_lT2_lli.has_dyn_sized_stack, 0
	.set _ZL44rocblas_set_matrix_zero_if_alpha_zero_kernelILi16ELi16EPK19rocblas_complex_numIdEPS1_EviiT1_lT2_lli.has_recursion, 0
	.set _ZL44rocblas_set_matrix_zero_if_alpha_zero_kernelILi16ELi16EPK19rocblas_complex_numIdEPS1_EviiT1_lT2_lli.has_indirect_call, 0
	.section	.AMDGPU.csdata,"",@progbits
; Kernel info:
; codeLenInByte = 372
; TotalNumSgprs: 24
; NumVgprs: 9
; ScratchSize: 0
; MemoryBound: 0
; FloatMode: 240
; IeeeMode: 1
; LDSByteSize: 0 bytes/workgroup (compile time only)
; SGPRBlocks: 2
; VGPRBlocks: 2
; NumSGPRsForWavesPerEU: 24
; NumVGPRsForWavesPerEU: 9
; Occupancy: 10
; WaveLimiterHint : 0
; COMPUTE_PGM_RSRC2:SCRATCH_EN: 0
; COMPUTE_PGM_RSRC2:USER_SGPR: 6
; COMPUTE_PGM_RSRC2:TRAP_HANDLER: 0
; COMPUTE_PGM_RSRC2:TGID_X_EN: 1
; COMPUTE_PGM_RSRC2:TGID_Y_EN: 1
; COMPUTE_PGM_RSRC2:TGID_Z_EN: 1
; COMPUTE_PGM_RSRC2:TIDIG_COMP_CNT: 1
	.section	.text._ZL44rocblas_set_matrix_zero_if_alpha_zero_kernelILi16ELi16E19rocblas_complex_numIdEPS1_EviiT1_lT2_lli,"axG",@progbits,_ZL44rocblas_set_matrix_zero_if_alpha_zero_kernelILi16ELi16E19rocblas_complex_numIdEPS1_EviiT1_lT2_lli,comdat
	.globl	_ZL44rocblas_set_matrix_zero_if_alpha_zero_kernelILi16ELi16E19rocblas_complex_numIdEPS1_EviiT1_lT2_lli ; -- Begin function _ZL44rocblas_set_matrix_zero_if_alpha_zero_kernelILi16ELi16E19rocblas_complex_numIdEPS1_EviiT1_lT2_lli
	.p2align	8
	.type	_ZL44rocblas_set_matrix_zero_if_alpha_zero_kernelILi16ELi16E19rocblas_complex_numIdEPS1_EviiT1_lT2_lli,@function
_ZL44rocblas_set_matrix_zero_if_alpha_zero_kernelILi16ELi16E19rocblas_complex_numIdEPS1_EviiT1_lT2_lli: ; @_ZL44rocblas_set_matrix_zero_if_alpha_zero_kernelILi16ELi16E19rocblas_complex_numIdEPS1_EviiT1_lT2_lli
; %bb.0:
	s_load_dwordx4 s[0:3], s[4:5], 0x8
	s_waitcnt lgkmcnt(0)
	v_cmp_eq_f64_e64 s[0:1], s[0:1], 0
	v_cmp_eq_f64_e64 s[2:3], s[2:3], 0
	s_and_b64 s[0:1], s[0:1], s[2:3]
	s_andn2_b64 vcc, exec, s[0:1]
	s_cbranch_vccnz .LBB207_4
; %bb.1:
	s_load_dwordx2 s[0:1], s[4:5], 0x0
	v_lshl_add_u32 v2, s6, 4, v0
	v_mov_b32_e32 v0, 0
	v_mov_b32_e32 v3, v0
	v_lshl_add_u32 v4, s7, 4, v1
	s_waitcnt lgkmcnt(0)
	s_ashr_i32 s3, s0, 31
	s_mov_b32 s2, s0
	v_mov_b32_e32 v5, v0
	v_cmp_gt_i64_e32 vcc, s[2:3], v[2:3]
	s_ashr_i32 s3, s1, 31
	s_mov_b32 s2, s1
	v_cmp_gt_i64_e64 s[0:1], s[2:3], v[4:5]
	s_and_b64 s[0:1], vcc, s[0:1]
	s_and_saveexec_b64 s[6:7], s[0:1]
	s_cbranch_execz .LBB207_4
; %bb.2:
	s_load_dwordx4 s[12:15], s[4:5], 0x20
	s_load_dword s6, s[4:5], 0x44
	s_load_dwordx2 s[0:1], s[4:5], 0x30
	s_waitcnt lgkmcnt(0)
	v_mad_u64_u32 v[6:7], s[4:5], s14, v4, 0
	s_lshl_b32 s9, s6, 4
	s_mul_i32 s1, s1, s8
	v_mov_b32_e32 v1, v7
	v_mad_u64_u32 v[7:8], s[4:5], s15, v4, v[1:2]
	s_mul_hi_u32 s6, s0, s8
	s_mul_i32 s0, s0, s8
	s_add_i32 s1, s6, s1
	v_lshlrev_b64 v[6:7], 4, v[6:7]
	s_lshl_b64 s[0:1], s[0:1], 4
	v_mov_b32_e32 v1, s1
	v_add_co_u32_e32 v6, vcc, s0, v6
	v_addc_co_u32_e32 v7, vcc, v1, v7, vcc
	v_lshlrev_b64 v[1:2], 4, v[2:3]
	v_mov_b32_e32 v3, s13
	v_add_co_u32_e32 v1, vcc, v6, v1
	v_addc_co_u32_e32 v2, vcc, v7, v2, vcc
	v_add_co_u32_e32 v1, vcc, s12, v1
	s_mul_i32 s0, s15, s9
	s_mul_hi_u32 s1, s14, s9
	v_addc_co_u32_e32 v2, vcc, v3, v2, vcc
	s_add_i32 s1, s1, s0
	s_mul_i32 s0, s14, s9
	v_add_co_u32_e32 v6, vcc, 8, v1
	s_lshl_b64 s[4:5], s[0:1], 4
	v_addc_co_u32_e32 v7, vcc, 0, v2, vcc
	s_mov_b64 s[6:7], 0
	v_mov_b32_e32 v8, s5
.LBB207_3:                              ; =>This Inner Loop Header: Depth=1
	v_add_co_u32_e32 v4, vcc, s9, v4
	v_addc_co_u32_e32 v5, vcc, 0, v5, vcc
	v_mov_b32_e32 v1, v0
	v_mov_b32_e32 v2, v0
	;; [unrolled: 1-line block ×3, first 2 shown]
	v_cmp_le_i64_e32 vcc, s[2:3], v[4:5]
	global_store_dwordx4 v[6:7], v[0:3], off offset:-8
	v_add_co_u32_e64 v6, s[0:1], s4, v6
	s_or_b64 s[6:7], vcc, s[6:7]
	v_addc_co_u32_e64 v7, vcc, v7, v8, s[0:1]
	s_andn2_b64 exec, exec, s[6:7]
	s_cbranch_execnz .LBB207_3
.LBB207_4:
	s_endpgm
	.section	.rodata,"a",@progbits
	.p2align	6, 0x0
	.amdhsa_kernel _ZL44rocblas_set_matrix_zero_if_alpha_zero_kernelILi16ELi16E19rocblas_complex_numIdEPS1_EviiT1_lT2_lli
		.amdhsa_group_segment_fixed_size 0
		.amdhsa_private_segment_fixed_size 0
		.amdhsa_kernarg_size 320
		.amdhsa_user_sgpr_count 6
		.amdhsa_user_sgpr_private_segment_buffer 1
		.amdhsa_user_sgpr_dispatch_ptr 0
		.amdhsa_user_sgpr_queue_ptr 0
		.amdhsa_user_sgpr_kernarg_segment_ptr 1
		.amdhsa_user_sgpr_dispatch_id 0
		.amdhsa_user_sgpr_flat_scratch_init 0
		.amdhsa_user_sgpr_private_segment_size 0
		.amdhsa_uses_dynamic_stack 0
		.amdhsa_system_sgpr_private_segment_wavefront_offset 0
		.amdhsa_system_sgpr_workgroup_id_x 1
		.amdhsa_system_sgpr_workgroup_id_y 1
		.amdhsa_system_sgpr_workgroup_id_z 1
		.amdhsa_system_sgpr_workgroup_info 0
		.amdhsa_system_vgpr_workitem_id 1
		.amdhsa_next_free_vgpr 9
		.amdhsa_next_free_sgpr 16
		.amdhsa_reserve_vcc 1
		.amdhsa_reserve_flat_scratch 0
		.amdhsa_float_round_mode_32 0
		.amdhsa_float_round_mode_16_64 0
		.amdhsa_float_denorm_mode_32 3
		.amdhsa_float_denorm_mode_16_64 3
		.amdhsa_dx10_clamp 1
		.amdhsa_ieee_mode 1
		.amdhsa_fp16_overflow 0
		.amdhsa_exception_fp_ieee_invalid_op 0
		.amdhsa_exception_fp_denorm_src 0
		.amdhsa_exception_fp_ieee_div_zero 0
		.amdhsa_exception_fp_ieee_overflow 0
		.amdhsa_exception_fp_ieee_underflow 0
		.amdhsa_exception_fp_ieee_inexact 0
		.amdhsa_exception_int_div_zero 0
	.end_amdhsa_kernel
	.section	.text._ZL44rocblas_set_matrix_zero_if_alpha_zero_kernelILi16ELi16E19rocblas_complex_numIdEPS1_EviiT1_lT2_lli,"axG",@progbits,_ZL44rocblas_set_matrix_zero_if_alpha_zero_kernelILi16ELi16E19rocblas_complex_numIdEPS1_EviiT1_lT2_lli,comdat
.Lfunc_end207:
	.size	_ZL44rocblas_set_matrix_zero_if_alpha_zero_kernelILi16ELi16E19rocblas_complex_numIdEPS1_EviiT1_lT2_lli, .Lfunc_end207-_ZL44rocblas_set_matrix_zero_if_alpha_zero_kernelILi16ELi16E19rocblas_complex_numIdEPS1_EviiT1_lT2_lli
                                        ; -- End function
	.set _ZL44rocblas_set_matrix_zero_if_alpha_zero_kernelILi16ELi16E19rocblas_complex_numIdEPS1_EviiT1_lT2_lli.num_vgpr, 9
	.set _ZL44rocblas_set_matrix_zero_if_alpha_zero_kernelILi16ELi16E19rocblas_complex_numIdEPS1_EviiT1_lT2_lli.num_agpr, 0
	.set _ZL44rocblas_set_matrix_zero_if_alpha_zero_kernelILi16ELi16E19rocblas_complex_numIdEPS1_EviiT1_lT2_lli.numbered_sgpr, 16
	.set _ZL44rocblas_set_matrix_zero_if_alpha_zero_kernelILi16ELi16E19rocblas_complex_numIdEPS1_EviiT1_lT2_lli.num_named_barrier, 0
	.set _ZL44rocblas_set_matrix_zero_if_alpha_zero_kernelILi16ELi16E19rocblas_complex_numIdEPS1_EviiT1_lT2_lli.private_seg_size, 0
	.set _ZL44rocblas_set_matrix_zero_if_alpha_zero_kernelILi16ELi16E19rocblas_complex_numIdEPS1_EviiT1_lT2_lli.uses_vcc, 1
	.set _ZL44rocblas_set_matrix_zero_if_alpha_zero_kernelILi16ELi16E19rocblas_complex_numIdEPS1_EviiT1_lT2_lli.uses_flat_scratch, 0
	.set _ZL44rocblas_set_matrix_zero_if_alpha_zero_kernelILi16ELi16E19rocblas_complex_numIdEPS1_EviiT1_lT2_lli.has_dyn_sized_stack, 0
	.set _ZL44rocblas_set_matrix_zero_if_alpha_zero_kernelILi16ELi16E19rocblas_complex_numIdEPS1_EviiT1_lT2_lli.has_recursion, 0
	.set _ZL44rocblas_set_matrix_zero_if_alpha_zero_kernelILi16ELi16E19rocblas_complex_numIdEPS1_EviiT1_lT2_lli.has_indirect_call, 0
	.section	.AMDGPU.csdata,"",@progbits
; Kernel info:
; codeLenInByte = 340
; TotalNumSgprs: 20
; NumVgprs: 9
; ScratchSize: 0
; MemoryBound: 0
; FloatMode: 240
; IeeeMode: 1
; LDSByteSize: 0 bytes/workgroup (compile time only)
; SGPRBlocks: 2
; VGPRBlocks: 2
; NumSGPRsForWavesPerEU: 20
; NumVGPRsForWavesPerEU: 9
; Occupancy: 10
; WaveLimiterHint : 0
; COMPUTE_PGM_RSRC2:SCRATCH_EN: 0
; COMPUTE_PGM_RSRC2:USER_SGPR: 6
; COMPUTE_PGM_RSRC2:TRAP_HANDLER: 0
; COMPUTE_PGM_RSRC2:TGID_X_EN: 1
; COMPUTE_PGM_RSRC2:TGID_Y_EN: 1
; COMPUTE_PGM_RSRC2:TGID_Z_EN: 1
; COMPUTE_PGM_RSRC2:TIDIG_COMP_CNT: 1
	.section	.AMDGPU.gpr_maximums,"",@progbits
	.set amdgpu.max_num_vgpr, 0
	.set amdgpu.max_num_agpr, 0
	.set amdgpu.max_num_sgpr, 0
	.section	.AMDGPU.csdata,"",@progbits
	.type	__hip_cuid_6fdafc419520c0d2,@object ; @__hip_cuid_6fdafc419520c0d2
	.section	.bss,"aw",@nobits
	.globl	__hip_cuid_6fdafc419520c0d2
__hip_cuid_6fdafc419520c0d2:
	.byte	0                               ; 0x0
	.size	__hip_cuid_6fdafc419520c0d2, 1

	.ident	"AMD clang version 22.0.0git (https://github.com/RadeonOpenCompute/llvm-project roc-7.2.4 26084 f58b06dce1f9c15707c5f808fd002e18c2accf7e)"
	.section	".note.GNU-stack","",@progbits
	.addrsig
	.addrsig_sym __hip_cuid_6fdafc419520c0d2
	.amdgpu_metadata
---
amdhsa.kernels:
  - .args:
      - .offset:         0
        .size:           4
        .value_kind:     by_value
      - .offset:         4
        .size:           4
        .value_kind:     by_value
      - .offset:         8
        .size:           4
        .value_kind:     by_value
      - .address_space:  global
        .offset:         16
        .size:           8
        .value_kind:     global_buffer
      - .offset:         24
        .size:           8
        .value_kind:     by_value
      - .address_space:  global
        .offset:         32
        .size:           8
        .value_kind:     global_buffer
      - .offset:         40
        .size:           8
        .value_kind:     by_value
      - .offset:         48
        .size:           8
        .value_kind:     by_value
      - .offset:         56
        .size:           8
        .value_kind:     by_value
      - .address_space:  global
        .offset:         64
        .size:           8
        .value_kind:     global_buffer
      - .offset:         72
        .size:           8
        .value_kind:     by_value
      - .offset:         80
        .size:           8
        .value_kind:     by_value
      - .offset:         88
        .size:           8
        .value_kind:     by_value
      - .address_space:  global
        .offset:         96
        .size:           8
        .value_kind:     global_buffer
      - .offset:         104
        .size:           8
        .value_kind:     by_value
      - .offset:         112
        .size:           8
        .value_kind:     by_value
      - .offset:         120
        .size:           8
        .value_kind:     by_value
      - .offset:         128
        .size:           4
        .value_kind:     by_value
      - .offset:         136
        .size:           4
        .value_kind:     hidden_block_count_x
      - .offset:         140
        .size:           4
        .value_kind:     hidden_block_count_y
      - .offset:         144
        .size:           4
        .value_kind:     hidden_block_count_z
      - .offset:         148
        .size:           2
        .value_kind:     hidden_group_size_x
      - .offset:         150
        .size:           2
        .value_kind:     hidden_group_size_y
      - .offset:         152
        .size:           2
        .value_kind:     hidden_group_size_z
      - .offset:         154
        .size:           2
        .value_kind:     hidden_remainder_x
      - .offset:         156
        .size:           2
        .value_kind:     hidden_remainder_y
      - .offset:         158
        .size:           2
        .value_kind:     hidden_remainder_z
      - .offset:         176
        .size:           8
        .value_kind:     hidden_global_offset_x
      - .offset:         184
        .size:           8
        .value_kind:     hidden_global_offset_y
      - .offset:         192
        .size:           8
        .value_kind:     hidden_global_offset_z
      - .offset:         200
        .size:           2
        .value_kind:     hidden_grid_dims
    .group_segment_fixed_size: 8192
    .kernarg_segment_align: 8
    .kernarg_segment_size: 392
    .language:       OpenCL C
    .language_version:
      - 2
      - 0
    .max_flat_workgroup_size: 1024
    .name:           _ZL30rocblas_trmm_outofplace_kernelIfLi32ELi2ELb1ELb0ELb0ELb0EPKfS0_fEv17rocblas_diagonal_iiT6_lPT7_lllS5_lllPT8_llli
    .private_segment_fixed_size: 12
    .sgpr_count:     60
    .sgpr_spill_count: 0
    .symbol:         _ZL30rocblas_trmm_outofplace_kernelIfLi32ELi2ELb1ELb0ELb0ELb0EPKfS0_fEv17rocblas_diagonal_iiT6_lPT7_lllS5_lllPT8_llli.kd
    .uniform_work_group_size: 1
    .uses_dynamic_stack: false
    .vgpr_count:     63
    .vgpr_spill_count: 2
    .wavefront_size: 64
  - .args:
      - .offset:         0
        .size:           4
        .value_kind:     by_value
      - .offset:         4
        .size:           4
        .value_kind:     by_value
      - .offset:         8
        .size:           4
        .value_kind:     by_value
      - .offset:         12
        .size:           4
        .value_kind:     by_value
      - .offset:         16
        .size:           8
        .value_kind:     by_value
      - .address_space:  global
        .offset:         24
        .size:           8
        .value_kind:     global_buffer
      - .offset:         32
        .size:           8
        .value_kind:     by_value
      - .offset:         40
        .size:           8
        .value_kind:     by_value
      - .offset:         48
        .size:           8
        .value_kind:     by_value
      - .address_space:  global
        .offset:         56
        .size:           8
        .value_kind:     global_buffer
      - .offset:         64
        .size:           8
        .value_kind:     by_value
      - .offset:         72
        .size:           8
        .value_kind:     by_value
      - .offset:         80
        .size:           8
        .value_kind:     by_value
      - .address_space:  global
        .offset:         88
        .size:           8
        .value_kind:     global_buffer
      - .offset:         96
        .size:           8
        .value_kind:     by_value
      - .offset:         104
        .size:           8
        .value_kind:     by_value
      - .offset:         112
        .size:           8
        .value_kind:     by_value
      - .offset:         120
        .size:           4
        .value_kind:     by_value
      - .offset:         128
        .size:           4
        .value_kind:     hidden_block_count_x
      - .offset:         132
        .size:           4
        .value_kind:     hidden_block_count_y
      - .offset:         136
        .size:           4
        .value_kind:     hidden_block_count_z
      - .offset:         140
        .size:           2
        .value_kind:     hidden_group_size_x
      - .offset:         142
        .size:           2
        .value_kind:     hidden_group_size_y
      - .offset:         144
        .size:           2
        .value_kind:     hidden_group_size_z
      - .offset:         146
        .size:           2
        .value_kind:     hidden_remainder_x
      - .offset:         148
        .size:           2
        .value_kind:     hidden_remainder_y
      - .offset:         150
        .size:           2
        .value_kind:     hidden_remainder_z
      - .offset:         168
        .size:           8
        .value_kind:     hidden_global_offset_x
      - .offset:         176
        .size:           8
        .value_kind:     hidden_global_offset_y
      - .offset:         184
        .size:           8
        .value_kind:     hidden_global_offset_z
      - .offset:         192
        .size:           2
        .value_kind:     hidden_grid_dims
    .group_segment_fixed_size: 8192
    .kernarg_segment_align: 8
    .kernarg_segment_size: 384
    .language:       OpenCL C
    .language_version:
      - 2
      - 0
    .max_flat_workgroup_size: 1024
    .name:           _ZL30rocblas_trmm_outofplace_kernelIfLi32ELi2ELb1ELb0ELb0ELb0EfKffEv17rocblas_diagonal_iiT6_lPT7_lllS4_lllPT8_llli
    .private_segment_fixed_size: 12
    .sgpr_count:     64
    .sgpr_spill_count: 0
    .symbol:         _ZL30rocblas_trmm_outofplace_kernelIfLi32ELi2ELb1ELb0ELb0ELb0EfKffEv17rocblas_diagonal_iiT6_lPT7_lllS4_lllPT8_llli.kd
    .uniform_work_group_size: 1
    .uses_dynamic_stack: false
    .vgpr_count:     63
    .vgpr_spill_count: 2
    .wavefront_size: 64
  - .args:
      - .offset:         0
        .size:           4
        .value_kind:     by_value
      - .offset:         4
        .size:           4
        .value_kind:     by_value
      - .offset:         8
        .size:           4
        .value_kind:     by_value
      - .address_space:  global
        .offset:         16
        .size:           8
        .value_kind:     global_buffer
      - .offset:         24
        .size:           8
        .value_kind:     by_value
      - .address_space:  global
        .offset:         32
        .size:           8
        .value_kind:     global_buffer
      - .offset:         40
        .size:           8
        .value_kind:     by_value
      - .offset:         48
        .size:           8
        .value_kind:     by_value
      - .offset:         56
        .size:           8
        .value_kind:     by_value
      - .address_space:  global
        .offset:         64
        .size:           8
        .value_kind:     global_buffer
      - .offset:         72
        .size:           8
        .value_kind:     by_value
      - .offset:         80
        .size:           8
        .value_kind:     by_value
      - .offset:         88
        .size:           8
        .value_kind:     by_value
      - .address_space:  global
        .offset:         96
        .size:           8
        .value_kind:     global_buffer
      - .offset:         104
        .size:           8
        .value_kind:     by_value
      - .offset:         112
        .size:           8
        .value_kind:     by_value
      - .offset:         120
        .size:           8
        .value_kind:     by_value
      - .offset:         128
        .size:           4
        .value_kind:     by_value
      - .offset:         136
        .size:           4
        .value_kind:     hidden_block_count_x
      - .offset:         140
        .size:           4
        .value_kind:     hidden_block_count_y
      - .offset:         144
        .size:           4
        .value_kind:     hidden_block_count_z
      - .offset:         148
        .size:           2
        .value_kind:     hidden_group_size_x
      - .offset:         150
        .size:           2
        .value_kind:     hidden_group_size_y
      - .offset:         152
        .size:           2
        .value_kind:     hidden_group_size_z
      - .offset:         154
        .size:           2
        .value_kind:     hidden_remainder_x
      - .offset:         156
        .size:           2
        .value_kind:     hidden_remainder_y
      - .offset:         158
        .size:           2
        .value_kind:     hidden_remainder_z
      - .offset:         176
        .size:           8
        .value_kind:     hidden_global_offset_x
      - .offset:         184
        .size:           8
        .value_kind:     hidden_global_offset_y
      - .offset:         192
        .size:           8
        .value_kind:     hidden_global_offset_z
      - .offset:         200
        .size:           2
        .value_kind:     hidden_grid_dims
    .group_segment_fixed_size: 8192
    .kernarg_segment_align: 8
    .kernarg_segment_size: 392
    .language:       OpenCL C
    .language_version:
      - 2
      - 0
    .max_flat_workgroup_size: 1024
    .name:           _ZL30rocblas_trmm_outofplace_kernelIfLi32ELi2ELb1ELb1ELb0ELb0EPKfS0_fEv17rocblas_diagonal_iiT6_lPT7_lllS5_lllPT8_llli
    .private_segment_fixed_size: 0
    .sgpr_count:     60
    .sgpr_spill_count: 0
    .symbol:         _ZL30rocblas_trmm_outofplace_kernelIfLi32ELi2ELb1ELb1ELb0ELb0EPKfS0_fEv17rocblas_diagonal_iiT6_lPT7_lllS5_lllPT8_llli.kd
    .uniform_work_group_size: 1
    .uses_dynamic_stack: false
    .vgpr_count:     64
    .vgpr_spill_count: 0
    .wavefront_size: 64
  - .args:
      - .offset:         0
        .size:           4
        .value_kind:     by_value
      - .offset:         4
        .size:           4
        .value_kind:     by_value
      - .offset:         8
        .size:           4
        .value_kind:     by_value
      - .offset:         12
        .size:           4
        .value_kind:     by_value
      - .offset:         16
        .size:           8
        .value_kind:     by_value
      - .address_space:  global
        .offset:         24
        .size:           8
        .value_kind:     global_buffer
      - .offset:         32
        .size:           8
        .value_kind:     by_value
      - .offset:         40
        .size:           8
        .value_kind:     by_value
      - .offset:         48
        .size:           8
        .value_kind:     by_value
      - .address_space:  global
        .offset:         56
        .size:           8
        .value_kind:     global_buffer
      - .offset:         64
        .size:           8
        .value_kind:     by_value
      - .offset:         72
        .size:           8
        .value_kind:     by_value
      - .offset:         80
        .size:           8
        .value_kind:     by_value
      - .address_space:  global
        .offset:         88
        .size:           8
        .value_kind:     global_buffer
      - .offset:         96
        .size:           8
        .value_kind:     by_value
      - .offset:         104
        .size:           8
        .value_kind:     by_value
      - .offset:         112
        .size:           8
        .value_kind:     by_value
      - .offset:         120
        .size:           4
        .value_kind:     by_value
      - .offset:         128
        .size:           4
        .value_kind:     hidden_block_count_x
      - .offset:         132
        .size:           4
        .value_kind:     hidden_block_count_y
      - .offset:         136
        .size:           4
        .value_kind:     hidden_block_count_z
      - .offset:         140
        .size:           2
        .value_kind:     hidden_group_size_x
      - .offset:         142
        .size:           2
        .value_kind:     hidden_group_size_y
      - .offset:         144
        .size:           2
        .value_kind:     hidden_group_size_z
      - .offset:         146
        .size:           2
        .value_kind:     hidden_remainder_x
      - .offset:         148
        .size:           2
        .value_kind:     hidden_remainder_y
      - .offset:         150
        .size:           2
        .value_kind:     hidden_remainder_z
      - .offset:         168
        .size:           8
        .value_kind:     hidden_global_offset_x
      - .offset:         176
        .size:           8
        .value_kind:     hidden_global_offset_y
      - .offset:         184
        .size:           8
        .value_kind:     hidden_global_offset_z
      - .offset:         192
        .size:           2
        .value_kind:     hidden_grid_dims
    .group_segment_fixed_size: 8192
    .kernarg_segment_align: 8
    .kernarg_segment_size: 384
    .language:       OpenCL C
    .language_version:
      - 2
      - 0
    .max_flat_workgroup_size: 1024
    .name:           _ZL30rocblas_trmm_outofplace_kernelIfLi32ELi2ELb1ELb1ELb0ELb0EfKffEv17rocblas_diagonal_iiT6_lPT7_lllS4_lllPT8_llli
    .private_segment_fixed_size: 0
    .sgpr_count:     62
    .sgpr_spill_count: 0
    .symbol:         _ZL30rocblas_trmm_outofplace_kernelIfLi32ELi2ELb1ELb1ELb0ELb0EfKffEv17rocblas_diagonal_iiT6_lPT7_lllS4_lllPT8_llli.kd
    .uniform_work_group_size: 1
    .uses_dynamic_stack: false
    .vgpr_count:     64
    .vgpr_spill_count: 0
    .wavefront_size: 64
  - .args:
      - .offset:         0
        .size:           4
        .value_kind:     by_value
      - .offset:         4
        .size:           4
        .value_kind:     by_value
      - .offset:         8
        .size:           4
        .value_kind:     by_value
      - .address_space:  global
        .offset:         16
        .size:           8
        .value_kind:     global_buffer
      - .offset:         24
        .size:           8
        .value_kind:     by_value
      - .address_space:  global
        .offset:         32
        .size:           8
        .value_kind:     global_buffer
      - .offset:         40
        .size:           8
        .value_kind:     by_value
      - .offset:         48
        .size:           8
        .value_kind:     by_value
      - .offset:         56
        .size:           8
        .value_kind:     by_value
      - .address_space:  global
        .offset:         64
        .size:           8
        .value_kind:     global_buffer
      - .offset:         72
        .size:           8
        .value_kind:     by_value
      - .offset:         80
        .size:           8
        .value_kind:     by_value
      - .offset:         88
        .size:           8
        .value_kind:     by_value
      - .address_space:  global
        .offset:         96
        .size:           8
        .value_kind:     global_buffer
      - .offset:         104
        .size:           8
        .value_kind:     by_value
      - .offset:         112
        .size:           8
        .value_kind:     by_value
      - .offset:         120
        .size:           8
        .value_kind:     by_value
      - .offset:         128
        .size:           4
        .value_kind:     by_value
      - .offset:         136
        .size:           4
        .value_kind:     hidden_block_count_x
      - .offset:         140
        .size:           4
        .value_kind:     hidden_block_count_y
      - .offset:         144
        .size:           4
        .value_kind:     hidden_block_count_z
      - .offset:         148
        .size:           2
        .value_kind:     hidden_group_size_x
      - .offset:         150
        .size:           2
        .value_kind:     hidden_group_size_y
      - .offset:         152
        .size:           2
        .value_kind:     hidden_group_size_z
      - .offset:         154
        .size:           2
        .value_kind:     hidden_remainder_x
      - .offset:         156
        .size:           2
        .value_kind:     hidden_remainder_y
      - .offset:         158
        .size:           2
        .value_kind:     hidden_remainder_z
      - .offset:         176
        .size:           8
        .value_kind:     hidden_global_offset_x
      - .offset:         184
        .size:           8
        .value_kind:     hidden_global_offset_y
      - .offset:         192
        .size:           8
        .value_kind:     hidden_global_offset_z
      - .offset:         200
        .size:           2
        .value_kind:     hidden_grid_dims
    .group_segment_fixed_size: 8192
    .kernarg_segment_align: 8
    .kernarg_segment_size: 392
    .language:       OpenCL C
    .language_version:
      - 2
      - 0
    .max_flat_workgroup_size: 1024
    .name:           _ZL30rocblas_trmm_outofplace_kernelIfLi32ELi2ELb1ELb0ELb1ELb0EPKfS0_fEv17rocblas_diagonal_iiT6_lPT7_lllS5_lllPT8_llli
    .private_segment_fixed_size: 0
    .sgpr_count:     56
    .sgpr_spill_count: 0
    .symbol:         _ZL30rocblas_trmm_outofplace_kernelIfLi32ELi2ELb1ELb0ELb1ELb0EPKfS0_fEv17rocblas_diagonal_iiT6_lPT7_lllS5_lllPT8_llli.kd
    .uniform_work_group_size: 1
    .uses_dynamic_stack: false
    .vgpr_count:     64
    .vgpr_spill_count: 0
    .wavefront_size: 64
  - .args:
      - .offset:         0
        .size:           4
        .value_kind:     by_value
      - .offset:         4
        .size:           4
        .value_kind:     by_value
      - .offset:         8
        .size:           4
        .value_kind:     by_value
      - .offset:         12
        .size:           4
        .value_kind:     by_value
      - .offset:         16
        .size:           8
        .value_kind:     by_value
      - .address_space:  global
        .offset:         24
        .size:           8
        .value_kind:     global_buffer
      - .offset:         32
        .size:           8
        .value_kind:     by_value
      - .offset:         40
        .size:           8
        .value_kind:     by_value
      - .offset:         48
        .size:           8
        .value_kind:     by_value
      - .address_space:  global
        .offset:         56
        .size:           8
        .value_kind:     global_buffer
      - .offset:         64
        .size:           8
        .value_kind:     by_value
      - .offset:         72
        .size:           8
        .value_kind:     by_value
      - .offset:         80
        .size:           8
        .value_kind:     by_value
      - .address_space:  global
        .offset:         88
        .size:           8
        .value_kind:     global_buffer
      - .offset:         96
        .size:           8
        .value_kind:     by_value
      - .offset:         104
        .size:           8
        .value_kind:     by_value
      - .offset:         112
        .size:           8
        .value_kind:     by_value
      - .offset:         120
        .size:           4
        .value_kind:     by_value
      - .offset:         128
        .size:           4
        .value_kind:     hidden_block_count_x
      - .offset:         132
        .size:           4
        .value_kind:     hidden_block_count_y
      - .offset:         136
        .size:           4
        .value_kind:     hidden_block_count_z
      - .offset:         140
        .size:           2
        .value_kind:     hidden_group_size_x
      - .offset:         142
        .size:           2
        .value_kind:     hidden_group_size_y
      - .offset:         144
        .size:           2
        .value_kind:     hidden_group_size_z
      - .offset:         146
        .size:           2
        .value_kind:     hidden_remainder_x
      - .offset:         148
        .size:           2
        .value_kind:     hidden_remainder_y
      - .offset:         150
        .size:           2
        .value_kind:     hidden_remainder_z
      - .offset:         168
        .size:           8
        .value_kind:     hidden_global_offset_x
      - .offset:         176
        .size:           8
        .value_kind:     hidden_global_offset_y
      - .offset:         184
        .size:           8
        .value_kind:     hidden_global_offset_z
      - .offset:         192
        .size:           2
        .value_kind:     hidden_grid_dims
    .group_segment_fixed_size: 8192
    .kernarg_segment_align: 8
    .kernarg_segment_size: 384
    .language:       OpenCL C
    .language_version:
      - 2
      - 0
    .max_flat_workgroup_size: 1024
    .name:           _ZL30rocblas_trmm_outofplace_kernelIfLi32ELi2ELb1ELb0ELb1ELb0EfKffEv17rocblas_diagonal_iiT6_lPT7_lllS4_lllPT8_llli
    .private_segment_fixed_size: 0
    .sgpr_count:     56
    .sgpr_spill_count: 0
    .symbol:         _ZL30rocblas_trmm_outofplace_kernelIfLi32ELi2ELb1ELb0ELb1ELb0EfKffEv17rocblas_diagonal_iiT6_lPT7_lllS4_lllPT8_llli.kd
    .uniform_work_group_size: 1
    .uses_dynamic_stack: false
    .vgpr_count:     64
    .vgpr_spill_count: 0
    .wavefront_size: 64
  - .args:
      - .offset:         0
        .size:           4
        .value_kind:     by_value
      - .offset:         4
        .size:           4
        .value_kind:     by_value
      - .offset:         8
        .size:           4
        .value_kind:     by_value
      - .address_space:  global
        .offset:         16
        .size:           8
        .value_kind:     global_buffer
      - .offset:         24
        .size:           8
        .value_kind:     by_value
      - .address_space:  global
        .offset:         32
        .size:           8
        .value_kind:     global_buffer
      - .offset:         40
        .size:           8
        .value_kind:     by_value
      - .offset:         48
        .size:           8
        .value_kind:     by_value
      - .offset:         56
        .size:           8
        .value_kind:     by_value
      - .address_space:  global
        .offset:         64
        .size:           8
        .value_kind:     global_buffer
      - .offset:         72
        .size:           8
        .value_kind:     by_value
      - .offset:         80
        .size:           8
        .value_kind:     by_value
      - .offset:         88
        .size:           8
        .value_kind:     by_value
      - .address_space:  global
        .offset:         96
        .size:           8
        .value_kind:     global_buffer
      - .offset:         104
        .size:           8
        .value_kind:     by_value
      - .offset:         112
        .size:           8
        .value_kind:     by_value
      - .offset:         120
        .size:           8
        .value_kind:     by_value
      - .offset:         128
        .size:           4
        .value_kind:     by_value
      - .offset:         136
        .size:           4
        .value_kind:     hidden_block_count_x
      - .offset:         140
        .size:           4
        .value_kind:     hidden_block_count_y
      - .offset:         144
        .size:           4
        .value_kind:     hidden_block_count_z
      - .offset:         148
        .size:           2
        .value_kind:     hidden_group_size_x
      - .offset:         150
        .size:           2
        .value_kind:     hidden_group_size_y
      - .offset:         152
        .size:           2
        .value_kind:     hidden_group_size_z
      - .offset:         154
        .size:           2
        .value_kind:     hidden_remainder_x
      - .offset:         156
        .size:           2
        .value_kind:     hidden_remainder_y
      - .offset:         158
        .size:           2
        .value_kind:     hidden_remainder_z
      - .offset:         176
        .size:           8
        .value_kind:     hidden_global_offset_x
      - .offset:         184
        .size:           8
        .value_kind:     hidden_global_offset_y
      - .offset:         192
        .size:           8
        .value_kind:     hidden_global_offset_z
      - .offset:         200
        .size:           2
        .value_kind:     hidden_grid_dims
    .group_segment_fixed_size: 8192
    .kernarg_segment_align: 8
    .kernarg_segment_size: 392
    .language:       OpenCL C
    .language_version:
      - 2
      - 0
    .max_flat_workgroup_size: 1024
    .name:           _ZL30rocblas_trmm_outofplace_kernelIfLi32ELi2ELb1ELb1ELb1ELb0EPKfS0_fEv17rocblas_diagonal_iiT6_lPT7_lllS5_lllPT8_llli
    .private_segment_fixed_size: 0
    .sgpr_count:     56
    .sgpr_spill_count: 0
    .symbol:         _ZL30rocblas_trmm_outofplace_kernelIfLi32ELi2ELb1ELb1ELb1ELb0EPKfS0_fEv17rocblas_diagonal_iiT6_lPT7_lllS5_lllPT8_llli.kd
    .uniform_work_group_size: 1
    .uses_dynamic_stack: false
    .vgpr_count:     63
    .vgpr_spill_count: 0
    .wavefront_size: 64
  - .args:
      - .offset:         0
        .size:           4
        .value_kind:     by_value
      - .offset:         4
        .size:           4
        .value_kind:     by_value
      - .offset:         8
        .size:           4
        .value_kind:     by_value
      - .offset:         12
        .size:           4
        .value_kind:     by_value
      - .offset:         16
        .size:           8
        .value_kind:     by_value
      - .address_space:  global
        .offset:         24
        .size:           8
        .value_kind:     global_buffer
      - .offset:         32
        .size:           8
        .value_kind:     by_value
      - .offset:         40
        .size:           8
        .value_kind:     by_value
      - .offset:         48
        .size:           8
        .value_kind:     by_value
      - .address_space:  global
        .offset:         56
        .size:           8
        .value_kind:     global_buffer
      - .offset:         64
        .size:           8
        .value_kind:     by_value
      - .offset:         72
        .size:           8
        .value_kind:     by_value
      - .offset:         80
        .size:           8
        .value_kind:     by_value
      - .address_space:  global
        .offset:         88
        .size:           8
        .value_kind:     global_buffer
      - .offset:         96
        .size:           8
        .value_kind:     by_value
      - .offset:         104
        .size:           8
        .value_kind:     by_value
      - .offset:         112
        .size:           8
        .value_kind:     by_value
      - .offset:         120
        .size:           4
        .value_kind:     by_value
      - .offset:         128
        .size:           4
        .value_kind:     hidden_block_count_x
      - .offset:         132
        .size:           4
        .value_kind:     hidden_block_count_y
      - .offset:         136
        .size:           4
        .value_kind:     hidden_block_count_z
      - .offset:         140
        .size:           2
        .value_kind:     hidden_group_size_x
      - .offset:         142
        .size:           2
        .value_kind:     hidden_group_size_y
      - .offset:         144
        .size:           2
        .value_kind:     hidden_group_size_z
      - .offset:         146
        .size:           2
        .value_kind:     hidden_remainder_x
      - .offset:         148
        .size:           2
        .value_kind:     hidden_remainder_y
      - .offset:         150
        .size:           2
        .value_kind:     hidden_remainder_z
      - .offset:         168
        .size:           8
        .value_kind:     hidden_global_offset_x
      - .offset:         176
        .size:           8
        .value_kind:     hidden_global_offset_y
      - .offset:         184
        .size:           8
        .value_kind:     hidden_global_offset_z
      - .offset:         192
        .size:           2
        .value_kind:     hidden_grid_dims
    .group_segment_fixed_size: 8192
    .kernarg_segment_align: 8
    .kernarg_segment_size: 384
    .language:       OpenCL C
    .language_version:
      - 2
      - 0
    .max_flat_workgroup_size: 1024
    .name:           _ZL30rocblas_trmm_outofplace_kernelIfLi32ELi2ELb1ELb1ELb1ELb0EfKffEv17rocblas_diagonal_iiT6_lPT7_lllS4_lllPT8_llli
    .private_segment_fixed_size: 0
    .sgpr_count:     56
    .sgpr_spill_count: 0
    .symbol:         _ZL30rocblas_trmm_outofplace_kernelIfLi32ELi2ELb1ELb1ELb1ELb0EfKffEv17rocblas_diagonal_iiT6_lPT7_lllS4_lllPT8_llli.kd
    .uniform_work_group_size: 1
    .uses_dynamic_stack: false
    .vgpr_count:     63
    .vgpr_spill_count: 0
    .wavefront_size: 64
  - .args:
      - .offset:         0
        .size:           4
        .value_kind:     by_value
      - .offset:         4
        .size:           4
        .value_kind:     by_value
      - .offset:         8
        .size:           4
        .value_kind:     by_value
      - .address_space:  global
        .offset:         16
        .size:           8
        .value_kind:     global_buffer
      - .offset:         24
        .size:           8
        .value_kind:     by_value
      - .address_space:  global
        .offset:         32
        .size:           8
        .value_kind:     global_buffer
      - .offset:         40
        .size:           8
        .value_kind:     by_value
      - .offset:         48
        .size:           8
        .value_kind:     by_value
      - .offset:         56
        .size:           8
        .value_kind:     by_value
      - .address_space:  global
        .offset:         64
        .size:           8
        .value_kind:     global_buffer
      - .offset:         72
        .size:           8
        .value_kind:     by_value
      - .offset:         80
        .size:           8
        .value_kind:     by_value
      - .offset:         88
        .size:           8
        .value_kind:     by_value
      - .address_space:  global
        .offset:         96
        .size:           8
        .value_kind:     global_buffer
      - .offset:         104
        .size:           8
        .value_kind:     by_value
      - .offset:         112
        .size:           8
        .value_kind:     by_value
      - .offset:         120
        .size:           8
        .value_kind:     by_value
      - .offset:         128
        .size:           4
        .value_kind:     by_value
      - .offset:         136
        .size:           4
        .value_kind:     hidden_block_count_x
      - .offset:         140
        .size:           4
        .value_kind:     hidden_block_count_y
      - .offset:         144
        .size:           4
        .value_kind:     hidden_block_count_z
      - .offset:         148
        .size:           2
        .value_kind:     hidden_group_size_x
      - .offset:         150
        .size:           2
        .value_kind:     hidden_group_size_y
      - .offset:         152
        .size:           2
        .value_kind:     hidden_group_size_z
      - .offset:         154
        .size:           2
        .value_kind:     hidden_remainder_x
      - .offset:         156
        .size:           2
        .value_kind:     hidden_remainder_y
      - .offset:         158
        .size:           2
        .value_kind:     hidden_remainder_z
      - .offset:         176
        .size:           8
        .value_kind:     hidden_global_offset_x
      - .offset:         184
        .size:           8
        .value_kind:     hidden_global_offset_y
      - .offset:         192
        .size:           8
        .value_kind:     hidden_global_offset_z
      - .offset:         200
        .size:           2
        .value_kind:     hidden_grid_dims
    .group_segment_fixed_size: 8192
    .kernarg_segment_align: 8
    .kernarg_segment_size: 392
    .language:       OpenCL C
    .language_version:
      - 2
      - 0
    .max_flat_workgroup_size: 1024
    .name:           _ZL30rocblas_trmm_outofplace_kernelIfLi32ELi2ELb1ELb0ELb1ELb1EPKfS0_fEv17rocblas_diagonal_iiT6_lPT7_lllS5_lllPT8_llli
    .private_segment_fixed_size: 0
    .sgpr_count:     56
    .sgpr_spill_count: 0
    .symbol:         _ZL30rocblas_trmm_outofplace_kernelIfLi32ELi2ELb1ELb0ELb1ELb1EPKfS0_fEv17rocblas_diagonal_iiT6_lPT7_lllS5_lllPT8_llli.kd
    .uniform_work_group_size: 1
    .uses_dynamic_stack: false
    .vgpr_count:     64
    .vgpr_spill_count: 0
    .wavefront_size: 64
  - .args:
      - .offset:         0
        .size:           4
        .value_kind:     by_value
      - .offset:         4
        .size:           4
        .value_kind:     by_value
      - .offset:         8
        .size:           4
        .value_kind:     by_value
      - .offset:         12
        .size:           4
        .value_kind:     by_value
      - .offset:         16
        .size:           8
        .value_kind:     by_value
      - .address_space:  global
        .offset:         24
        .size:           8
        .value_kind:     global_buffer
      - .offset:         32
        .size:           8
        .value_kind:     by_value
      - .offset:         40
        .size:           8
        .value_kind:     by_value
      - .offset:         48
        .size:           8
        .value_kind:     by_value
      - .address_space:  global
        .offset:         56
        .size:           8
        .value_kind:     global_buffer
      - .offset:         64
        .size:           8
        .value_kind:     by_value
      - .offset:         72
        .size:           8
        .value_kind:     by_value
      - .offset:         80
        .size:           8
        .value_kind:     by_value
      - .address_space:  global
        .offset:         88
        .size:           8
        .value_kind:     global_buffer
      - .offset:         96
        .size:           8
        .value_kind:     by_value
      - .offset:         104
        .size:           8
        .value_kind:     by_value
      - .offset:         112
        .size:           8
        .value_kind:     by_value
      - .offset:         120
        .size:           4
        .value_kind:     by_value
      - .offset:         128
        .size:           4
        .value_kind:     hidden_block_count_x
      - .offset:         132
        .size:           4
        .value_kind:     hidden_block_count_y
      - .offset:         136
        .size:           4
        .value_kind:     hidden_block_count_z
      - .offset:         140
        .size:           2
        .value_kind:     hidden_group_size_x
      - .offset:         142
        .size:           2
        .value_kind:     hidden_group_size_y
      - .offset:         144
        .size:           2
        .value_kind:     hidden_group_size_z
      - .offset:         146
        .size:           2
        .value_kind:     hidden_remainder_x
      - .offset:         148
        .size:           2
        .value_kind:     hidden_remainder_y
      - .offset:         150
        .size:           2
        .value_kind:     hidden_remainder_z
      - .offset:         168
        .size:           8
        .value_kind:     hidden_global_offset_x
      - .offset:         176
        .size:           8
        .value_kind:     hidden_global_offset_y
      - .offset:         184
        .size:           8
        .value_kind:     hidden_global_offset_z
      - .offset:         192
        .size:           2
        .value_kind:     hidden_grid_dims
    .group_segment_fixed_size: 8192
    .kernarg_segment_align: 8
    .kernarg_segment_size: 384
    .language:       OpenCL C
    .language_version:
      - 2
      - 0
    .max_flat_workgroup_size: 1024
    .name:           _ZL30rocblas_trmm_outofplace_kernelIfLi32ELi2ELb1ELb0ELb1ELb1EfKffEv17rocblas_diagonal_iiT6_lPT7_lllS4_lllPT8_llli
    .private_segment_fixed_size: 0
    .sgpr_count:     56
    .sgpr_spill_count: 0
    .symbol:         _ZL30rocblas_trmm_outofplace_kernelIfLi32ELi2ELb1ELb0ELb1ELb1EfKffEv17rocblas_diagonal_iiT6_lPT7_lllS4_lllPT8_llli.kd
    .uniform_work_group_size: 1
    .uses_dynamic_stack: false
    .vgpr_count:     64
    .vgpr_spill_count: 0
    .wavefront_size: 64
  - .args:
      - .offset:         0
        .size:           4
        .value_kind:     by_value
      - .offset:         4
        .size:           4
        .value_kind:     by_value
      - .offset:         8
        .size:           4
        .value_kind:     by_value
      - .address_space:  global
        .offset:         16
        .size:           8
        .value_kind:     global_buffer
      - .offset:         24
        .size:           8
        .value_kind:     by_value
      - .address_space:  global
        .offset:         32
        .size:           8
        .value_kind:     global_buffer
      - .offset:         40
        .size:           8
        .value_kind:     by_value
      - .offset:         48
        .size:           8
        .value_kind:     by_value
      - .offset:         56
        .size:           8
        .value_kind:     by_value
      - .address_space:  global
        .offset:         64
        .size:           8
        .value_kind:     global_buffer
      - .offset:         72
        .size:           8
        .value_kind:     by_value
      - .offset:         80
        .size:           8
        .value_kind:     by_value
      - .offset:         88
        .size:           8
        .value_kind:     by_value
      - .address_space:  global
        .offset:         96
        .size:           8
        .value_kind:     global_buffer
      - .offset:         104
        .size:           8
        .value_kind:     by_value
      - .offset:         112
        .size:           8
        .value_kind:     by_value
      - .offset:         120
        .size:           8
        .value_kind:     by_value
      - .offset:         128
        .size:           4
        .value_kind:     by_value
      - .offset:         136
        .size:           4
        .value_kind:     hidden_block_count_x
      - .offset:         140
        .size:           4
        .value_kind:     hidden_block_count_y
      - .offset:         144
        .size:           4
        .value_kind:     hidden_block_count_z
      - .offset:         148
        .size:           2
        .value_kind:     hidden_group_size_x
      - .offset:         150
        .size:           2
        .value_kind:     hidden_group_size_y
      - .offset:         152
        .size:           2
        .value_kind:     hidden_group_size_z
      - .offset:         154
        .size:           2
        .value_kind:     hidden_remainder_x
      - .offset:         156
        .size:           2
        .value_kind:     hidden_remainder_y
      - .offset:         158
        .size:           2
        .value_kind:     hidden_remainder_z
      - .offset:         176
        .size:           8
        .value_kind:     hidden_global_offset_x
      - .offset:         184
        .size:           8
        .value_kind:     hidden_global_offset_y
      - .offset:         192
        .size:           8
        .value_kind:     hidden_global_offset_z
      - .offset:         200
        .size:           2
        .value_kind:     hidden_grid_dims
    .group_segment_fixed_size: 8192
    .kernarg_segment_align: 8
    .kernarg_segment_size: 392
    .language:       OpenCL C
    .language_version:
      - 2
      - 0
    .max_flat_workgroup_size: 1024
    .name:           _ZL30rocblas_trmm_outofplace_kernelIfLi32ELi2ELb1ELb1ELb1ELb1EPKfS0_fEv17rocblas_diagonal_iiT6_lPT7_lllS5_lllPT8_llli
    .private_segment_fixed_size: 0
    .sgpr_count:     56
    .sgpr_spill_count: 0
    .symbol:         _ZL30rocblas_trmm_outofplace_kernelIfLi32ELi2ELb1ELb1ELb1ELb1EPKfS0_fEv17rocblas_diagonal_iiT6_lPT7_lllS5_lllPT8_llli.kd
    .uniform_work_group_size: 1
    .uses_dynamic_stack: false
    .vgpr_count:     63
    .vgpr_spill_count: 0
    .wavefront_size: 64
  - .args:
      - .offset:         0
        .size:           4
        .value_kind:     by_value
      - .offset:         4
        .size:           4
        .value_kind:     by_value
      - .offset:         8
        .size:           4
        .value_kind:     by_value
      - .offset:         12
        .size:           4
        .value_kind:     by_value
      - .offset:         16
        .size:           8
        .value_kind:     by_value
      - .address_space:  global
        .offset:         24
        .size:           8
        .value_kind:     global_buffer
      - .offset:         32
        .size:           8
        .value_kind:     by_value
      - .offset:         40
        .size:           8
        .value_kind:     by_value
      - .offset:         48
        .size:           8
        .value_kind:     by_value
      - .address_space:  global
        .offset:         56
        .size:           8
        .value_kind:     global_buffer
      - .offset:         64
        .size:           8
        .value_kind:     by_value
      - .offset:         72
        .size:           8
        .value_kind:     by_value
      - .offset:         80
        .size:           8
        .value_kind:     by_value
      - .address_space:  global
        .offset:         88
        .size:           8
        .value_kind:     global_buffer
      - .offset:         96
        .size:           8
        .value_kind:     by_value
      - .offset:         104
        .size:           8
        .value_kind:     by_value
      - .offset:         112
        .size:           8
        .value_kind:     by_value
      - .offset:         120
        .size:           4
        .value_kind:     by_value
      - .offset:         128
        .size:           4
        .value_kind:     hidden_block_count_x
      - .offset:         132
        .size:           4
        .value_kind:     hidden_block_count_y
      - .offset:         136
        .size:           4
        .value_kind:     hidden_block_count_z
      - .offset:         140
        .size:           2
        .value_kind:     hidden_group_size_x
      - .offset:         142
        .size:           2
        .value_kind:     hidden_group_size_y
      - .offset:         144
        .size:           2
        .value_kind:     hidden_group_size_z
      - .offset:         146
        .size:           2
        .value_kind:     hidden_remainder_x
      - .offset:         148
        .size:           2
        .value_kind:     hidden_remainder_y
      - .offset:         150
        .size:           2
        .value_kind:     hidden_remainder_z
      - .offset:         168
        .size:           8
        .value_kind:     hidden_global_offset_x
      - .offset:         176
        .size:           8
        .value_kind:     hidden_global_offset_y
      - .offset:         184
        .size:           8
        .value_kind:     hidden_global_offset_z
      - .offset:         192
        .size:           2
        .value_kind:     hidden_grid_dims
    .group_segment_fixed_size: 8192
    .kernarg_segment_align: 8
    .kernarg_segment_size: 384
    .language:       OpenCL C
    .language_version:
      - 2
      - 0
    .max_flat_workgroup_size: 1024
    .name:           _ZL30rocblas_trmm_outofplace_kernelIfLi32ELi2ELb1ELb1ELb1ELb1EfKffEv17rocblas_diagonal_iiT6_lPT7_lllS4_lllPT8_llli
    .private_segment_fixed_size: 0
    .sgpr_count:     56
    .sgpr_spill_count: 0
    .symbol:         _ZL30rocblas_trmm_outofplace_kernelIfLi32ELi2ELb1ELb1ELb1ELb1EfKffEv17rocblas_diagonal_iiT6_lPT7_lllS4_lllPT8_llli.kd
    .uniform_work_group_size: 1
    .uses_dynamic_stack: false
    .vgpr_count:     63
    .vgpr_spill_count: 0
    .wavefront_size: 64
  - .args:
      - .offset:         0
        .size:           4
        .value_kind:     by_value
      - .offset:         4
        .size:           4
        .value_kind:     by_value
      - .offset:         8
        .size:           4
        .value_kind:     by_value
      - .address_space:  global
        .offset:         16
        .size:           8
        .value_kind:     global_buffer
      - .offset:         24
        .size:           8
        .value_kind:     by_value
      - .address_space:  global
        .offset:         32
        .size:           8
        .value_kind:     global_buffer
      - .offset:         40
        .size:           8
        .value_kind:     by_value
      - .offset:         48
        .size:           8
        .value_kind:     by_value
      - .offset:         56
        .size:           8
        .value_kind:     by_value
      - .address_space:  global
        .offset:         64
        .size:           8
        .value_kind:     global_buffer
      - .offset:         72
        .size:           8
        .value_kind:     by_value
      - .offset:         80
        .size:           8
        .value_kind:     by_value
      - .offset:         88
        .size:           8
        .value_kind:     by_value
      - .address_space:  global
        .offset:         96
        .size:           8
        .value_kind:     global_buffer
      - .offset:         104
        .size:           8
        .value_kind:     by_value
      - .offset:         112
        .size:           8
        .value_kind:     by_value
      - .offset:         120
        .size:           8
        .value_kind:     by_value
      - .offset:         128
        .size:           4
        .value_kind:     by_value
      - .offset:         136
        .size:           4
        .value_kind:     hidden_block_count_x
      - .offset:         140
        .size:           4
        .value_kind:     hidden_block_count_y
      - .offset:         144
        .size:           4
        .value_kind:     hidden_block_count_z
      - .offset:         148
        .size:           2
        .value_kind:     hidden_group_size_x
      - .offset:         150
        .size:           2
        .value_kind:     hidden_group_size_y
      - .offset:         152
        .size:           2
        .value_kind:     hidden_group_size_z
      - .offset:         154
        .size:           2
        .value_kind:     hidden_remainder_x
      - .offset:         156
        .size:           2
        .value_kind:     hidden_remainder_y
      - .offset:         158
        .size:           2
        .value_kind:     hidden_remainder_z
      - .offset:         176
        .size:           8
        .value_kind:     hidden_global_offset_x
      - .offset:         184
        .size:           8
        .value_kind:     hidden_global_offset_y
      - .offset:         192
        .size:           8
        .value_kind:     hidden_global_offset_z
      - .offset:         200
        .size:           2
        .value_kind:     hidden_grid_dims
    .group_segment_fixed_size: 8192
    .kernarg_segment_align: 8
    .kernarg_segment_size: 392
    .language:       OpenCL C
    .language_version:
      - 2
      - 0
    .max_flat_workgroup_size: 1024
    .name:           _ZL30rocblas_trmm_outofplace_kernelIfLi32ELi2ELb0ELb0ELb0ELb0EPKfS0_fEv17rocblas_diagonal_iiT6_lPT7_lllS5_lllPT8_llli
    .private_segment_fixed_size: 12
    .sgpr_count:     68
    .sgpr_spill_count: 0
    .symbol:         _ZL30rocblas_trmm_outofplace_kernelIfLi32ELi2ELb0ELb0ELb0ELb0EPKfS0_fEv17rocblas_diagonal_iiT6_lPT7_lllS5_lllPT8_llli.kd
    .uniform_work_group_size: 1
    .uses_dynamic_stack: false
    .vgpr_count:     63
    .vgpr_spill_count: 2
    .wavefront_size: 64
  - .args:
      - .offset:         0
        .size:           4
        .value_kind:     by_value
      - .offset:         4
        .size:           4
        .value_kind:     by_value
      - .offset:         8
        .size:           4
        .value_kind:     by_value
      - .offset:         12
        .size:           4
        .value_kind:     by_value
      - .offset:         16
        .size:           8
        .value_kind:     by_value
      - .address_space:  global
        .offset:         24
        .size:           8
        .value_kind:     global_buffer
      - .offset:         32
        .size:           8
        .value_kind:     by_value
      - .offset:         40
        .size:           8
        .value_kind:     by_value
      - .offset:         48
        .size:           8
        .value_kind:     by_value
      - .address_space:  global
        .offset:         56
        .size:           8
        .value_kind:     global_buffer
      - .offset:         64
        .size:           8
        .value_kind:     by_value
      - .offset:         72
        .size:           8
        .value_kind:     by_value
      - .offset:         80
        .size:           8
        .value_kind:     by_value
      - .address_space:  global
        .offset:         88
        .size:           8
        .value_kind:     global_buffer
      - .offset:         96
        .size:           8
        .value_kind:     by_value
      - .offset:         104
        .size:           8
        .value_kind:     by_value
      - .offset:         112
        .size:           8
        .value_kind:     by_value
      - .offset:         120
        .size:           4
        .value_kind:     by_value
      - .offset:         128
        .size:           4
        .value_kind:     hidden_block_count_x
      - .offset:         132
        .size:           4
        .value_kind:     hidden_block_count_y
      - .offset:         136
        .size:           4
        .value_kind:     hidden_block_count_z
      - .offset:         140
        .size:           2
        .value_kind:     hidden_group_size_x
      - .offset:         142
        .size:           2
        .value_kind:     hidden_group_size_y
      - .offset:         144
        .size:           2
        .value_kind:     hidden_group_size_z
      - .offset:         146
        .size:           2
        .value_kind:     hidden_remainder_x
      - .offset:         148
        .size:           2
        .value_kind:     hidden_remainder_y
      - .offset:         150
        .size:           2
        .value_kind:     hidden_remainder_z
      - .offset:         168
        .size:           8
        .value_kind:     hidden_global_offset_x
      - .offset:         176
        .size:           8
        .value_kind:     hidden_global_offset_y
      - .offset:         184
        .size:           8
        .value_kind:     hidden_global_offset_z
      - .offset:         192
        .size:           2
        .value_kind:     hidden_grid_dims
    .group_segment_fixed_size: 8192
    .kernarg_segment_align: 8
    .kernarg_segment_size: 384
    .language:       OpenCL C
    .language_version:
      - 2
      - 0
    .max_flat_workgroup_size: 1024
    .name:           _ZL30rocblas_trmm_outofplace_kernelIfLi32ELi2ELb0ELb0ELb0ELb0EfKffEv17rocblas_diagonal_iiT6_lPT7_lllS4_lllPT8_llli
    .private_segment_fixed_size: 12
    .sgpr_count:     72
    .sgpr_spill_count: 0
    .symbol:         _ZL30rocblas_trmm_outofplace_kernelIfLi32ELi2ELb0ELb0ELb0ELb0EfKffEv17rocblas_diagonal_iiT6_lPT7_lllS4_lllPT8_llli.kd
    .uniform_work_group_size: 1
    .uses_dynamic_stack: false
    .vgpr_count:     63
    .vgpr_spill_count: 2
    .wavefront_size: 64
  - .args:
      - .offset:         0
        .size:           4
        .value_kind:     by_value
      - .offset:         4
        .size:           4
        .value_kind:     by_value
      - .offset:         8
        .size:           4
        .value_kind:     by_value
      - .address_space:  global
        .offset:         16
        .size:           8
        .value_kind:     global_buffer
      - .offset:         24
        .size:           8
        .value_kind:     by_value
      - .address_space:  global
        .offset:         32
        .size:           8
        .value_kind:     global_buffer
      - .offset:         40
        .size:           8
        .value_kind:     by_value
      - .offset:         48
        .size:           8
        .value_kind:     by_value
      - .offset:         56
        .size:           8
        .value_kind:     by_value
      - .address_space:  global
        .offset:         64
        .size:           8
        .value_kind:     global_buffer
      - .offset:         72
        .size:           8
        .value_kind:     by_value
      - .offset:         80
        .size:           8
        .value_kind:     by_value
      - .offset:         88
        .size:           8
        .value_kind:     by_value
      - .address_space:  global
        .offset:         96
        .size:           8
        .value_kind:     global_buffer
      - .offset:         104
        .size:           8
        .value_kind:     by_value
      - .offset:         112
        .size:           8
        .value_kind:     by_value
      - .offset:         120
        .size:           8
        .value_kind:     by_value
      - .offset:         128
        .size:           4
        .value_kind:     by_value
      - .offset:         136
        .size:           4
        .value_kind:     hidden_block_count_x
      - .offset:         140
        .size:           4
        .value_kind:     hidden_block_count_y
      - .offset:         144
        .size:           4
        .value_kind:     hidden_block_count_z
      - .offset:         148
        .size:           2
        .value_kind:     hidden_group_size_x
      - .offset:         150
        .size:           2
        .value_kind:     hidden_group_size_y
      - .offset:         152
        .size:           2
        .value_kind:     hidden_group_size_z
      - .offset:         154
        .size:           2
        .value_kind:     hidden_remainder_x
      - .offset:         156
        .size:           2
        .value_kind:     hidden_remainder_y
      - .offset:         158
        .size:           2
        .value_kind:     hidden_remainder_z
      - .offset:         176
        .size:           8
        .value_kind:     hidden_global_offset_x
      - .offset:         184
        .size:           8
        .value_kind:     hidden_global_offset_y
      - .offset:         192
        .size:           8
        .value_kind:     hidden_global_offset_z
      - .offset:         200
        .size:           2
        .value_kind:     hidden_grid_dims
    .group_segment_fixed_size: 8192
    .kernarg_segment_align: 8
    .kernarg_segment_size: 392
    .language:       OpenCL C
    .language_version:
      - 2
      - 0
    .max_flat_workgroup_size: 1024
    .name:           _ZL30rocblas_trmm_outofplace_kernelIfLi32ELi2ELb0ELb1ELb0ELb0EPKfS0_fEv17rocblas_diagonal_iiT6_lPT7_lllS5_lllPT8_llli
    .private_segment_fixed_size: 0
    .sgpr_count:     56
    .sgpr_spill_count: 0
    .symbol:         _ZL30rocblas_trmm_outofplace_kernelIfLi32ELi2ELb0ELb1ELb0ELb0EPKfS0_fEv17rocblas_diagonal_iiT6_lPT7_lllS5_lllPT8_llli.kd
    .uniform_work_group_size: 1
    .uses_dynamic_stack: false
    .vgpr_count:     64
    .vgpr_spill_count: 0
    .wavefront_size: 64
  - .args:
      - .offset:         0
        .size:           4
        .value_kind:     by_value
      - .offset:         4
        .size:           4
        .value_kind:     by_value
      - .offset:         8
        .size:           4
        .value_kind:     by_value
      - .offset:         12
        .size:           4
        .value_kind:     by_value
      - .offset:         16
        .size:           8
        .value_kind:     by_value
      - .address_space:  global
        .offset:         24
        .size:           8
        .value_kind:     global_buffer
      - .offset:         32
        .size:           8
        .value_kind:     by_value
      - .offset:         40
        .size:           8
        .value_kind:     by_value
      - .offset:         48
        .size:           8
        .value_kind:     by_value
      - .address_space:  global
        .offset:         56
        .size:           8
        .value_kind:     global_buffer
      - .offset:         64
        .size:           8
        .value_kind:     by_value
      - .offset:         72
        .size:           8
        .value_kind:     by_value
      - .offset:         80
        .size:           8
        .value_kind:     by_value
      - .address_space:  global
        .offset:         88
        .size:           8
        .value_kind:     global_buffer
      - .offset:         96
        .size:           8
        .value_kind:     by_value
      - .offset:         104
        .size:           8
        .value_kind:     by_value
      - .offset:         112
        .size:           8
        .value_kind:     by_value
      - .offset:         120
        .size:           4
        .value_kind:     by_value
      - .offset:         128
        .size:           4
        .value_kind:     hidden_block_count_x
      - .offset:         132
        .size:           4
        .value_kind:     hidden_block_count_y
      - .offset:         136
        .size:           4
        .value_kind:     hidden_block_count_z
      - .offset:         140
        .size:           2
        .value_kind:     hidden_group_size_x
      - .offset:         142
        .size:           2
        .value_kind:     hidden_group_size_y
      - .offset:         144
        .size:           2
        .value_kind:     hidden_group_size_z
      - .offset:         146
        .size:           2
        .value_kind:     hidden_remainder_x
      - .offset:         148
        .size:           2
        .value_kind:     hidden_remainder_y
      - .offset:         150
        .size:           2
        .value_kind:     hidden_remainder_z
      - .offset:         168
        .size:           8
        .value_kind:     hidden_global_offset_x
      - .offset:         176
        .size:           8
        .value_kind:     hidden_global_offset_y
      - .offset:         184
        .size:           8
        .value_kind:     hidden_global_offset_z
      - .offset:         192
        .size:           2
        .value_kind:     hidden_grid_dims
    .group_segment_fixed_size: 8192
    .kernarg_segment_align: 8
    .kernarg_segment_size: 384
    .language:       OpenCL C
    .language_version:
      - 2
      - 0
    .max_flat_workgroup_size: 1024
    .name:           _ZL30rocblas_trmm_outofplace_kernelIfLi32ELi2ELb0ELb1ELb0ELb0EfKffEv17rocblas_diagonal_iiT6_lPT7_lllS4_lllPT8_llli
    .private_segment_fixed_size: 0
    .sgpr_count:     58
    .sgpr_spill_count: 0
    .symbol:         _ZL30rocblas_trmm_outofplace_kernelIfLi32ELi2ELb0ELb1ELb0ELb0EfKffEv17rocblas_diagonal_iiT6_lPT7_lllS4_lllPT8_llli.kd
    .uniform_work_group_size: 1
    .uses_dynamic_stack: false
    .vgpr_count:     64
    .vgpr_spill_count: 0
    .wavefront_size: 64
  - .args:
      - .offset:         0
        .size:           4
        .value_kind:     by_value
      - .offset:         4
        .size:           4
        .value_kind:     by_value
      - .offset:         8
        .size:           4
        .value_kind:     by_value
      - .address_space:  global
        .offset:         16
        .size:           8
        .value_kind:     global_buffer
      - .offset:         24
        .size:           8
        .value_kind:     by_value
      - .address_space:  global
        .offset:         32
        .size:           8
        .value_kind:     global_buffer
      - .offset:         40
        .size:           8
        .value_kind:     by_value
      - .offset:         48
        .size:           8
        .value_kind:     by_value
      - .offset:         56
        .size:           8
        .value_kind:     by_value
      - .address_space:  global
        .offset:         64
        .size:           8
        .value_kind:     global_buffer
      - .offset:         72
        .size:           8
        .value_kind:     by_value
      - .offset:         80
        .size:           8
        .value_kind:     by_value
      - .offset:         88
        .size:           8
        .value_kind:     by_value
      - .address_space:  global
        .offset:         96
        .size:           8
        .value_kind:     global_buffer
      - .offset:         104
        .size:           8
        .value_kind:     by_value
      - .offset:         112
        .size:           8
        .value_kind:     by_value
      - .offset:         120
        .size:           8
        .value_kind:     by_value
      - .offset:         128
        .size:           4
        .value_kind:     by_value
      - .offset:         136
        .size:           4
        .value_kind:     hidden_block_count_x
      - .offset:         140
        .size:           4
        .value_kind:     hidden_block_count_y
      - .offset:         144
        .size:           4
        .value_kind:     hidden_block_count_z
      - .offset:         148
        .size:           2
        .value_kind:     hidden_group_size_x
      - .offset:         150
        .size:           2
        .value_kind:     hidden_group_size_y
      - .offset:         152
        .size:           2
        .value_kind:     hidden_group_size_z
      - .offset:         154
        .size:           2
        .value_kind:     hidden_remainder_x
      - .offset:         156
        .size:           2
        .value_kind:     hidden_remainder_y
      - .offset:         158
        .size:           2
        .value_kind:     hidden_remainder_z
      - .offset:         176
        .size:           8
        .value_kind:     hidden_global_offset_x
      - .offset:         184
        .size:           8
        .value_kind:     hidden_global_offset_y
      - .offset:         192
        .size:           8
        .value_kind:     hidden_global_offset_z
      - .offset:         200
        .size:           2
        .value_kind:     hidden_grid_dims
    .group_segment_fixed_size: 8192
    .kernarg_segment_align: 8
    .kernarg_segment_size: 392
    .language:       OpenCL C
    .language_version:
      - 2
      - 0
    .max_flat_workgroup_size: 1024
    .name:           _ZL30rocblas_trmm_outofplace_kernelIfLi32ELi2ELb0ELb0ELb1ELb0EPKfS0_fEv17rocblas_diagonal_iiT6_lPT7_lllS5_lllPT8_llli
    .private_segment_fixed_size: 24
    .sgpr_count:     60
    .sgpr_spill_count: 0
    .symbol:         _ZL30rocblas_trmm_outofplace_kernelIfLi32ELi2ELb0ELb0ELb1ELb0EPKfS0_fEv17rocblas_diagonal_iiT6_lPT7_lllS5_lllPT8_llli.kd
    .uniform_work_group_size: 1
    .uses_dynamic_stack: false
    .vgpr_count:     64
    .vgpr_spill_count: 5
    .wavefront_size: 64
  - .args:
      - .offset:         0
        .size:           4
        .value_kind:     by_value
      - .offset:         4
        .size:           4
        .value_kind:     by_value
      - .offset:         8
        .size:           4
        .value_kind:     by_value
      - .offset:         12
        .size:           4
        .value_kind:     by_value
      - .offset:         16
        .size:           8
        .value_kind:     by_value
      - .address_space:  global
        .offset:         24
        .size:           8
        .value_kind:     global_buffer
      - .offset:         32
        .size:           8
        .value_kind:     by_value
      - .offset:         40
        .size:           8
        .value_kind:     by_value
      - .offset:         48
        .size:           8
        .value_kind:     by_value
      - .address_space:  global
        .offset:         56
        .size:           8
        .value_kind:     global_buffer
      - .offset:         64
        .size:           8
        .value_kind:     by_value
      - .offset:         72
        .size:           8
        .value_kind:     by_value
      - .offset:         80
        .size:           8
        .value_kind:     by_value
      - .address_space:  global
        .offset:         88
        .size:           8
        .value_kind:     global_buffer
      - .offset:         96
        .size:           8
        .value_kind:     by_value
      - .offset:         104
        .size:           8
        .value_kind:     by_value
      - .offset:         112
        .size:           8
        .value_kind:     by_value
      - .offset:         120
        .size:           4
        .value_kind:     by_value
      - .offset:         128
        .size:           4
        .value_kind:     hidden_block_count_x
      - .offset:         132
        .size:           4
        .value_kind:     hidden_block_count_y
      - .offset:         136
        .size:           4
        .value_kind:     hidden_block_count_z
      - .offset:         140
        .size:           2
        .value_kind:     hidden_group_size_x
      - .offset:         142
        .size:           2
        .value_kind:     hidden_group_size_y
      - .offset:         144
        .size:           2
        .value_kind:     hidden_group_size_z
      - .offset:         146
        .size:           2
        .value_kind:     hidden_remainder_x
      - .offset:         148
        .size:           2
        .value_kind:     hidden_remainder_y
      - .offset:         150
        .size:           2
        .value_kind:     hidden_remainder_z
      - .offset:         168
        .size:           8
        .value_kind:     hidden_global_offset_x
      - .offset:         176
        .size:           8
        .value_kind:     hidden_global_offset_y
      - .offset:         184
        .size:           8
        .value_kind:     hidden_global_offset_z
      - .offset:         192
        .size:           2
        .value_kind:     hidden_grid_dims
    .group_segment_fixed_size: 8192
    .kernarg_segment_align: 8
    .kernarg_segment_size: 384
    .language:       OpenCL C
    .language_version:
      - 2
      - 0
    .max_flat_workgroup_size: 1024
    .name:           _ZL30rocblas_trmm_outofplace_kernelIfLi32ELi2ELb0ELb0ELb1ELb0EfKffEv17rocblas_diagonal_iiT6_lPT7_lllS4_lllPT8_llli
    .private_segment_fixed_size: 24
    .sgpr_count:     56
    .sgpr_spill_count: 0
    .symbol:         _ZL30rocblas_trmm_outofplace_kernelIfLi32ELi2ELb0ELb0ELb1ELb0EfKffEv17rocblas_diagonal_iiT6_lPT7_lllS4_lllPT8_llli.kd
    .uniform_work_group_size: 1
    .uses_dynamic_stack: false
    .vgpr_count:     64
    .vgpr_spill_count: 5
    .wavefront_size: 64
  - .args:
      - .offset:         0
        .size:           4
        .value_kind:     by_value
      - .offset:         4
        .size:           4
        .value_kind:     by_value
      - .offset:         8
        .size:           4
        .value_kind:     by_value
      - .address_space:  global
        .offset:         16
        .size:           8
        .value_kind:     global_buffer
      - .offset:         24
        .size:           8
        .value_kind:     by_value
      - .address_space:  global
        .offset:         32
        .size:           8
        .value_kind:     global_buffer
      - .offset:         40
        .size:           8
        .value_kind:     by_value
      - .offset:         48
        .size:           8
        .value_kind:     by_value
      - .offset:         56
        .size:           8
        .value_kind:     by_value
      - .address_space:  global
        .offset:         64
        .size:           8
        .value_kind:     global_buffer
      - .offset:         72
        .size:           8
        .value_kind:     by_value
      - .offset:         80
        .size:           8
        .value_kind:     by_value
      - .offset:         88
        .size:           8
        .value_kind:     by_value
      - .address_space:  global
        .offset:         96
        .size:           8
        .value_kind:     global_buffer
      - .offset:         104
        .size:           8
        .value_kind:     by_value
      - .offset:         112
        .size:           8
        .value_kind:     by_value
      - .offset:         120
        .size:           8
        .value_kind:     by_value
      - .offset:         128
        .size:           4
        .value_kind:     by_value
      - .offset:         136
        .size:           4
        .value_kind:     hidden_block_count_x
      - .offset:         140
        .size:           4
        .value_kind:     hidden_block_count_y
      - .offset:         144
        .size:           4
        .value_kind:     hidden_block_count_z
      - .offset:         148
        .size:           2
        .value_kind:     hidden_group_size_x
      - .offset:         150
        .size:           2
        .value_kind:     hidden_group_size_y
      - .offset:         152
        .size:           2
        .value_kind:     hidden_group_size_z
      - .offset:         154
        .size:           2
        .value_kind:     hidden_remainder_x
      - .offset:         156
        .size:           2
        .value_kind:     hidden_remainder_y
      - .offset:         158
        .size:           2
        .value_kind:     hidden_remainder_z
      - .offset:         176
        .size:           8
        .value_kind:     hidden_global_offset_x
      - .offset:         184
        .size:           8
        .value_kind:     hidden_global_offset_y
      - .offset:         192
        .size:           8
        .value_kind:     hidden_global_offset_z
      - .offset:         200
        .size:           2
        .value_kind:     hidden_grid_dims
    .group_segment_fixed_size: 8192
    .kernarg_segment_align: 8
    .kernarg_segment_size: 392
    .language:       OpenCL C
    .language_version:
      - 2
      - 0
    .max_flat_workgroup_size: 1024
    .name:           _ZL30rocblas_trmm_outofplace_kernelIfLi32ELi2ELb0ELb1ELb1ELb0EPKfS0_fEv17rocblas_diagonal_iiT6_lPT7_lllS5_lllPT8_llli
    .private_segment_fixed_size: 12
    .sgpr_count:     72
    .sgpr_spill_count: 0
    .symbol:         _ZL30rocblas_trmm_outofplace_kernelIfLi32ELi2ELb0ELb1ELb1ELb0EPKfS0_fEv17rocblas_diagonal_iiT6_lPT7_lllS5_lllPT8_llli.kd
    .uniform_work_group_size: 1
    .uses_dynamic_stack: false
    .vgpr_count:     63
    .vgpr_spill_count: 2
    .wavefront_size: 64
  - .args:
      - .offset:         0
        .size:           4
        .value_kind:     by_value
      - .offset:         4
        .size:           4
        .value_kind:     by_value
      - .offset:         8
        .size:           4
        .value_kind:     by_value
      - .offset:         12
        .size:           4
        .value_kind:     by_value
      - .offset:         16
        .size:           8
        .value_kind:     by_value
      - .address_space:  global
        .offset:         24
        .size:           8
        .value_kind:     global_buffer
      - .offset:         32
        .size:           8
        .value_kind:     by_value
      - .offset:         40
        .size:           8
        .value_kind:     by_value
      - .offset:         48
        .size:           8
        .value_kind:     by_value
      - .address_space:  global
        .offset:         56
        .size:           8
        .value_kind:     global_buffer
      - .offset:         64
        .size:           8
        .value_kind:     by_value
      - .offset:         72
        .size:           8
        .value_kind:     by_value
      - .offset:         80
        .size:           8
        .value_kind:     by_value
      - .address_space:  global
        .offset:         88
        .size:           8
        .value_kind:     global_buffer
      - .offset:         96
        .size:           8
        .value_kind:     by_value
      - .offset:         104
        .size:           8
        .value_kind:     by_value
      - .offset:         112
        .size:           8
        .value_kind:     by_value
      - .offset:         120
        .size:           4
        .value_kind:     by_value
      - .offset:         128
        .size:           4
        .value_kind:     hidden_block_count_x
      - .offset:         132
        .size:           4
        .value_kind:     hidden_block_count_y
      - .offset:         136
        .size:           4
        .value_kind:     hidden_block_count_z
      - .offset:         140
        .size:           2
        .value_kind:     hidden_group_size_x
      - .offset:         142
        .size:           2
        .value_kind:     hidden_group_size_y
      - .offset:         144
        .size:           2
        .value_kind:     hidden_group_size_z
      - .offset:         146
        .size:           2
        .value_kind:     hidden_remainder_x
      - .offset:         148
        .size:           2
        .value_kind:     hidden_remainder_y
      - .offset:         150
        .size:           2
        .value_kind:     hidden_remainder_z
      - .offset:         168
        .size:           8
        .value_kind:     hidden_global_offset_x
      - .offset:         176
        .size:           8
        .value_kind:     hidden_global_offset_y
      - .offset:         184
        .size:           8
        .value_kind:     hidden_global_offset_z
      - .offset:         192
        .size:           2
        .value_kind:     hidden_grid_dims
    .group_segment_fixed_size: 8192
    .kernarg_segment_align: 8
    .kernarg_segment_size: 384
    .language:       OpenCL C
    .language_version:
      - 2
      - 0
    .max_flat_workgroup_size: 1024
    .name:           _ZL30rocblas_trmm_outofplace_kernelIfLi32ELi2ELb0ELb1ELb1ELb0EfKffEv17rocblas_diagonal_iiT6_lPT7_lllS4_lllPT8_llli
    .private_segment_fixed_size: 12
    .sgpr_count:     72
    .sgpr_spill_count: 0
    .symbol:         _ZL30rocblas_trmm_outofplace_kernelIfLi32ELi2ELb0ELb1ELb1ELb0EfKffEv17rocblas_diagonal_iiT6_lPT7_lllS4_lllPT8_llli.kd
    .uniform_work_group_size: 1
    .uses_dynamic_stack: false
    .vgpr_count:     63
    .vgpr_spill_count: 2
    .wavefront_size: 64
  - .args:
      - .offset:         0
        .size:           4
        .value_kind:     by_value
      - .offset:         4
        .size:           4
        .value_kind:     by_value
      - .offset:         8
        .size:           4
        .value_kind:     by_value
      - .address_space:  global
        .offset:         16
        .size:           8
        .value_kind:     global_buffer
      - .offset:         24
        .size:           8
        .value_kind:     by_value
      - .address_space:  global
        .offset:         32
        .size:           8
        .value_kind:     global_buffer
      - .offset:         40
        .size:           8
        .value_kind:     by_value
      - .offset:         48
        .size:           8
        .value_kind:     by_value
      - .offset:         56
        .size:           8
        .value_kind:     by_value
      - .address_space:  global
        .offset:         64
        .size:           8
        .value_kind:     global_buffer
      - .offset:         72
        .size:           8
        .value_kind:     by_value
      - .offset:         80
        .size:           8
        .value_kind:     by_value
      - .offset:         88
        .size:           8
        .value_kind:     by_value
      - .address_space:  global
        .offset:         96
        .size:           8
        .value_kind:     global_buffer
      - .offset:         104
        .size:           8
        .value_kind:     by_value
      - .offset:         112
        .size:           8
        .value_kind:     by_value
      - .offset:         120
        .size:           8
        .value_kind:     by_value
      - .offset:         128
        .size:           4
        .value_kind:     by_value
      - .offset:         136
        .size:           4
        .value_kind:     hidden_block_count_x
      - .offset:         140
        .size:           4
        .value_kind:     hidden_block_count_y
      - .offset:         144
        .size:           4
        .value_kind:     hidden_block_count_z
      - .offset:         148
        .size:           2
        .value_kind:     hidden_group_size_x
      - .offset:         150
        .size:           2
        .value_kind:     hidden_group_size_y
      - .offset:         152
        .size:           2
        .value_kind:     hidden_group_size_z
      - .offset:         154
        .size:           2
        .value_kind:     hidden_remainder_x
      - .offset:         156
        .size:           2
        .value_kind:     hidden_remainder_y
      - .offset:         158
        .size:           2
        .value_kind:     hidden_remainder_z
      - .offset:         176
        .size:           8
        .value_kind:     hidden_global_offset_x
      - .offset:         184
        .size:           8
        .value_kind:     hidden_global_offset_y
      - .offset:         192
        .size:           8
        .value_kind:     hidden_global_offset_z
      - .offset:         200
        .size:           2
        .value_kind:     hidden_grid_dims
    .group_segment_fixed_size: 8192
    .kernarg_segment_align: 8
    .kernarg_segment_size: 392
    .language:       OpenCL C
    .language_version:
      - 2
      - 0
    .max_flat_workgroup_size: 1024
    .name:           _ZL30rocblas_trmm_outofplace_kernelIfLi32ELi2ELb0ELb0ELb1ELb1EPKfS0_fEv17rocblas_diagonal_iiT6_lPT7_lllS5_lllPT8_llli
    .private_segment_fixed_size: 24
    .sgpr_count:     60
    .sgpr_spill_count: 0
    .symbol:         _ZL30rocblas_trmm_outofplace_kernelIfLi32ELi2ELb0ELb0ELb1ELb1EPKfS0_fEv17rocblas_diagonal_iiT6_lPT7_lllS5_lllPT8_llli.kd
    .uniform_work_group_size: 1
    .uses_dynamic_stack: false
    .vgpr_count:     64
    .vgpr_spill_count: 5
    .wavefront_size: 64
  - .args:
      - .offset:         0
        .size:           4
        .value_kind:     by_value
      - .offset:         4
        .size:           4
        .value_kind:     by_value
      - .offset:         8
        .size:           4
        .value_kind:     by_value
      - .offset:         12
        .size:           4
        .value_kind:     by_value
      - .offset:         16
        .size:           8
        .value_kind:     by_value
      - .address_space:  global
        .offset:         24
        .size:           8
        .value_kind:     global_buffer
      - .offset:         32
        .size:           8
        .value_kind:     by_value
      - .offset:         40
        .size:           8
        .value_kind:     by_value
      - .offset:         48
        .size:           8
        .value_kind:     by_value
      - .address_space:  global
        .offset:         56
        .size:           8
        .value_kind:     global_buffer
      - .offset:         64
        .size:           8
        .value_kind:     by_value
      - .offset:         72
        .size:           8
        .value_kind:     by_value
      - .offset:         80
        .size:           8
        .value_kind:     by_value
      - .address_space:  global
        .offset:         88
        .size:           8
        .value_kind:     global_buffer
      - .offset:         96
        .size:           8
        .value_kind:     by_value
      - .offset:         104
        .size:           8
        .value_kind:     by_value
      - .offset:         112
        .size:           8
        .value_kind:     by_value
      - .offset:         120
        .size:           4
        .value_kind:     by_value
      - .offset:         128
        .size:           4
        .value_kind:     hidden_block_count_x
      - .offset:         132
        .size:           4
        .value_kind:     hidden_block_count_y
      - .offset:         136
        .size:           4
        .value_kind:     hidden_block_count_z
      - .offset:         140
        .size:           2
        .value_kind:     hidden_group_size_x
      - .offset:         142
        .size:           2
        .value_kind:     hidden_group_size_y
      - .offset:         144
        .size:           2
        .value_kind:     hidden_group_size_z
      - .offset:         146
        .size:           2
        .value_kind:     hidden_remainder_x
      - .offset:         148
        .size:           2
        .value_kind:     hidden_remainder_y
      - .offset:         150
        .size:           2
        .value_kind:     hidden_remainder_z
      - .offset:         168
        .size:           8
        .value_kind:     hidden_global_offset_x
      - .offset:         176
        .size:           8
        .value_kind:     hidden_global_offset_y
      - .offset:         184
        .size:           8
        .value_kind:     hidden_global_offset_z
      - .offset:         192
        .size:           2
        .value_kind:     hidden_grid_dims
    .group_segment_fixed_size: 8192
    .kernarg_segment_align: 8
    .kernarg_segment_size: 384
    .language:       OpenCL C
    .language_version:
      - 2
      - 0
    .max_flat_workgroup_size: 1024
    .name:           _ZL30rocblas_trmm_outofplace_kernelIfLi32ELi2ELb0ELb0ELb1ELb1EfKffEv17rocblas_diagonal_iiT6_lPT7_lllS4_lllPT8_llli
    .private_segment_fixed_size: 24
    .sgpr_count:     56
    .sgpr_spill_count: 0
    .symbol:         _ZL30rocblas_trmm_outofplace_kernelIfLi32ELi2ELb0ELb0ELb1ELb1EfKffEv17rocblas_diagonal_iiT6_lPT7_lllS4_lllPT8_llli.kd
    .uniform_work_group_size: 1
    .uses_dynamic_stack: false
    .vgpr_count:     64
    .vgpr_spill_count: 5
    .wavefront_size: 64
  - .args:
      - .offset:         0
        .size:           4
        .value_kind:     by_value
      - .offset:         4
        .size:           4
        .value_kind:     by_value
      - .offset:         8
        .size:           4
        .value_kind:     by_value
      - .address_space:  global
        .offset:         16
        .size:           8
        .value_kind:     global_buffer
      - .offset:         24
        .size:           8
        .value_kind:     by_value
      - .address_space:  global
        .offset:         32
        .size:           8
        .value_kind:     global_buffer
      - .offset:         40
        .size:           8
        .value_kind:     by_value
      - .offset:         48
        .size:           8
        .value_kind:     by_value
      - .offset:         56
        .size:           8
        .value_kind:     by_value
      - .address_space:  global
        .offset:         64
        .size:           8
        .value_kind:     global_buffer
      - .offset:         72
        .size:           8
        .value_kind:     by_value
      - .offset:         80
        .size:           8
        .value_kind:     by_value
      - .offset:         88
        .size:           8
        .value_kind:     by_value
      - .address_space:  global
        .offset:         96
        .size:           8
        .value_kind:     global_buffer
      - .offset:         104
        .size:           8
        .value_kind:     by_value
      - .offset:         112
        .size:           8
        .value_kind:     by_value
      - .offset:         120
        .size:           8
        .value_kind:     by_value
      - .offset:         128
        .size:           4
        .value_kind:     by_value
      - .offset:         136
        .size:           4
        .value_kind:     hidden_block_count_x
      - .offset:         140
        .size:           4
        .value_kind:     hidden_block_count_y
      - .offset:         144
        .size:           4
        .value_kind:     hidden_block_count_z
      - .offset:         148
        .size:           2
        .value_kind:     hidden_group_size_x
      - .offset:         150
        .size:           2
        .value_kind:     hidden_group_size_y
      - .offset:         152
        .size:           2
        .value_kind:     hidden_group_size_z
      - .offset:         154
        .size:           2
        .value_kind:     hidden_remainder_x
      - .offset:         156
        .size:           2
        .value_kind:     hidden_remainder_y
      - .offset:         158
        .size:           2
        .value_kind:     hidden_remainder_z
      - .offset:         176
        .size:           8
        .value_kind:     hidden_global_offset_x
      - .offset:         184
        .size:           8
        .value_kind:     hidden_global_offset_y
      - .offset:         192
        .size:           8
        .value_kind:     hidden_global_offset_z
      - .offset:         200
        .size:           2
        .value_kind:     hidden_grid_dims
    .group_segment_fixed_size: 8192
    .kernarg_segment_align: 8
    .kernarg_segment_size: 392
    .language:       OpenCL C
    .language_version:
      - 2
      - 0
    .max_flat_workgroup_size: 1024
    .name:           _ZL30rocblas_trmm_outofplace_kernelIfLi32ELi2ELb0ELb1ELb1ELb1EPKfS0_fEv17rocblas_diagonal_iiT6_lPT7_lllS5_lllPT8_llli
    .private_segment_fixed_size: 12
    .sgpr_count:     72
    .sgpr_spill_count: 0
    .symbol:         _ZL30rocblas_trmm_outofplace_kernelIfLi32ELi2ELb0ELb1ELb1ELb1EPKfS0_fEv17rocblas_diagonal_iiT6_lPT7_lllS5_lllPT8_llli.kd
    .uniform_work_group_size: 1
    .uses_dynamic_stack: false
    .vgpr_count:     63
    .vgpr_spill_count: 2
    .wavefront_size: 64
  - .args:
      - .offset:         0
        .size:           4
        .value_kind:     by_value
      - .offset:         4
        .size:           4
        .value_kind:     by_value
      - .offset:         8
        .size:           4
        .value_kind:     by_value
      - .offset:         12
        .size:           4
        .value_kind:     by_value
      - .offset:         16
        .size:           8
        .value_kind:     by_value
      - .address_space:  global
        .offset:         24
        .size:           8
        .value_kind:     global_buffer
      - .offset:         32
        .size:           8
        .value_kind:     by_value
      - .offset:         40
        .size:           8
        .value_kind:     by_value
      - .offset:         48
        .size:           8
        .value_kind:     by_value
      - .address_space:  global
        .offset:         56
        .size:           8
        .value_kind:     global_buffer
      - .offset:         64
        .size:           8
        .value_kind:     by_value
      - .offset:         72
        .size:           8
        .value_kind:     by_value
      - .offset:         80
        .size:           8
        .value_kind:     by_value
      - .address_space:  global
        .offset:         88
        .size:           8
        .value_kind:     global_buffer
      - .offset:         96
        .size:           8
        .value_kind:     by_value
      - .offset:         104
        .size:           8
        .value_kind:     by_value
      - .offset:         112
        .size:           8
        .value_kind:     by_value
      - .offset:         120
        .size:           4
        .value_kind:     by_value
      - .offset:         128
        .size:           4
        .value_kind:     hidden_block_count_x
      - .offset:         132
        .size:           4
        .value_kind:     hidden_block_count_y
      - .offset:         136
        .size:           4
        .value_kind:     hidden_block_count_z
      - .offset:         140
        .size:           2
        .value_kind:     hidden_group_size_x
      - .offset:         142
        .size:           2
        .value_kind:     hidden_group_size_y
      - .offset:         144
        .size:           2
        .value_kind:     hidden_group_size_z
      - .offset:         146
        .size:           2
        .value_kind:     hidden_remainder_x
      - .offset:         148
        .size:           2
        .value_kind:     hidden_remainder_y
      - .offset:         150
        .size:           2
        .value_kind:     hidden_remainder_z
      - .offset:         168
        .size:           8
        .value_kind:     hidden_global_offset_x
      - .offset:         176
        .size:           8
        .value_kind:     hidden_global_offset_y
      - .offset:         184
        .size:           8
        .value_kind:     hidden_global_offset_z
      - .offset:         192
        .size:           2
        .value_kind:     hidden_grid_dims
    .group_segment_fixed_size: 8192
    .kernarg_segment_align: 8
    .kernarg_segment_size: 384
    .language:       OpenCL C
    .language_version:
      - 2
      - 0
    .max_flat_workgroup_size: 1024
    .name:           _ZL30rocblas_trmm_outofplace_kernelIfLi32ELi2ELb0ELb1ELb1ELb1EfKffEv17rocblas_diagonal_iiT6_lPT7_lllS4_lllPT8_llli
    .private_segment_fixed_size: 12
    .sgpr_count:     72
    .sgpr_spill_count: 0
    .symbol:         _ZL30rocblas_trmm_outofplace_kernelIfLi32ELi2ELb0ELb1ELb1ELb1EfKffEv17rocblas_diagonal_iiT6_lPT7_lllS4_lllPT8_llli.kd
    .uniform_work_group_size: 1
    .uses_dynamic_stack: false
    .vgpr_count:     63
    .vgpr_spill_count: 2
    .wavefront_size: 64
  - .args:
      - .offset:         0
        .size:           4
        .value_kind:     by_value
      - .offset:         4
        .size:           4
        .value_kind:     by_value
      - .offset:         8
        .size:           4
        .value_kind:     by_value
      - .offset:         12
        .size:           4
        .value_kind:     by_value
      - .address_space:  global
        .offset:         16
        .size:           8
        .value_kind:     global_buffer
      - .offset:         24
        .size:           8
        .value_kind:     by_value
      - .address_space:  global
        .offset:         32
        .size:           8
        .value_kind:     global_buffer
      - .offset:         40
        .size:           8
        .value_kind:     by_value
      - .offset:         48
        .size:           8
        .value_kind:     by_value
      - .address_space:  global
        .offset:         56
        .size:           8
        .value_kind:     global_buffer
      - .offset:         64
        .size:           8
        .value_kind:     by_value
      - .offset:         72
        .size:           8
        .value_kind:     by_value
      - .address_space:  global
        .offset:         80
        .size:           8
        .value_kind:     global_buffer
      - .offset:         88
        .size:           8
        .value_kind:     by_value
      - .offset:         96
        .size:           8
        .value_kind:     by_value
      - .offset:         104
        .size:           4
        .value_kind:     by_value
    .group_segment_fixed_size: 8192
    .kernarg_segment_align: 8
    .kernarg_segment_size: 108
    .language:       OpenCL C
    .language_version:
      - 2
      - 0
    .max_flat_workgroup_size: 1024
    .name:           _ZL23rocblas_trmm_lNx_kernelILi32EfPKfS0_fEv13rocblas_fill_17rocblas_diagonal_iiT1_lPT2_llS6_llPT3_lli
    .private_segment_fixed_size: 0
    .sgpr_count:     29
    .sgpr_spill_count: 0
    .symbol:         _ZL23rocblas_trmm_lNx_kernelILi32EfPKfS0_fEv13rocblas_fill_17rocblas_diagonal_iiT1_lPT2_llS6_llPT3_lli.kd
    .uniform_work_group_size: 1
    .uses_dynamic_stack: false
    .vgpr_count:     25
    .vgpr_spill_count: 0
    .wavefront_size: 64
  - .args:
      - .offset:         0
        .size:           4
        .value_kind:     by_value
      - .offset:         4
        .size:           4
        .value_kind:     by_value
      - .offset:         8
        .size:           4
        .value_kind:     by_value
      - .offset:         12
        .size:           4
        .value_kind:     by_value
      - .offset:         16
        .size:           4
        .value_kind:     by_value
      - .offset:         24
        .size:           8
        .value_kind:     by_value
      - .address_space:  global
        .offset:         32
        .size:           8
        .value_kind:     global_buffer
      - .offset:         40
        .size:           8
        .value_kind:     by_value
      - .offset:         48
        .size:           8
        .value_kind:     by_value
      - .address_space:  global
        .offset:         56
        .size:           8
        .value_kind:     global_buffer
      - .offset:         64
        .size:           8
        .value_kind:     by_value
      - .offset:         72
        .size:           8
        .value_kind:     by_value
      - .address_space:  global
        .offset:         80
        .size:           8
        .value_kind:     global_buffer
      - .offset:         88
        .size:           8
        .value_kind:     by_value
      - .offset:         96
        .size:           8
        .value_kind:     by_value
      - .offset:         104
        .size:           4
        .value_kind:     by_value
    .group_segment_fixed_size: 8192
    .kernarg_segment_align: 8
    .kernarg_segment_size: 108
    .language:       OpenCL C
    .language_version:
      - 2
      - 0
    .max_flat_workgroup_size: 1024
    .name:           _ZL23rocblas_trmm_lNx_kernelILi32EffKffEv13rocblas_fill_17rocblas_diagonal_iiT1_lPT2_llS5_llPT3_lli
    .private_segment_fixed_size: 0
    .sgpr_count:     33
    .sgpr_spill_count: 0
    .symbol:         _ZL23rocblas_trmm_lNx_kernelILi32EffKffEv13rocblas_fill_17rocblas_diagonal_iiT1_lPT2_llS5_llPT3_lli.kd
    .uniform_work_group_size: 1
    .uses_dynamic_stack: false
    .vgpr_count:     25
    .vgpr_spill_count: 0
    .wavefront_size: 64
  - .args:
      - .offset:         0
        .size:           4
        .value_kind:     by_value
      - .offset:         4
        .size:           4
        .value_kind:     by_value
      - .offset:         8
        .size:           4
        .value_kind:     by_value
      - .offset:         12
        .size:           4
        .value_kind:     by_value
      - .address_space:  global
        .offset:         16
        .size:           8
        .value_kind:     global_buffer
      - .offset:         24
        .size:           8
        .value_kind:     by_value
      - .address_space:  global
        .offset:         32
        .size:           8
        .value_kind:     global_buffer
      - .offset:         40
        .size:           8
        .value_kind:     by_value
      - .offset:         48
        .size:           8
        .value_kind:     by_value
      - .address_space:  global
        .offset:         56
        .size:           8
        .value_kind:     global_buffer
      - .offset:         64
        .size:           8
        .value_kind:     by_value
      - .offset:         72
        .size:           8
        .value_kind:     by_value
      - .address_space:  global
        .offset:         80
        .size:           8
        .value_kind:     global_buffer
      - .offset:         88
        .size:           8
        .value_kind:     by_value
      - .offset:         96
        .size:           8
        .value_kind:     by_value
      - .offset:         104
        .size:           4
        .value_kind:     by_value
    .group_segment_fixed_size: 8192
    .kernarg_segment_align: 8
    .kernarg_segment_size: 108
    .language:       OpenCL C
    .language_version:
      - 2
      - 0
    .max_flat_workgroup_size: 1024
    .name:           _ZL23rocblas_trmm_lTx_kernelILi32ELb0EfPKfS0_fEv13rocblas_fill_17rocblas_diagonal_iiT2_lPT3_llS6_llPT4_lli
    .private_segment_fixed_size: 0
    .sgpr_count:     29
    .sgpr_spill_count: 0
    .symbol:         _ZL23rocblas_trmm_lTx_kernelILi32ELb0EfPKfS0_fEv13rocblas_fill_17rocblas_diagonal_iiT2_lPT3_llS6_llPT4_lli.kd
    .uniform_work_group_size: 1
    .uses_dynamic_stack: false
    .vgpr_count:     25
    .vgpr_spill_count: 0
    .wavefront_size: 64
  - .args:
      - .offset:         0
        .size:           4
        .value_kind:     by_value
      - .offset:         4
        .size:           4
        .value_kind:     by_value
      - .offset:         8
        .size:           4
        .value_kind:     by_value
      - .offset:         12
        .size:           4
        .value_kind:     by_value
      - .offset:         16
        .size:           4
        .value_kind:     by_value
      - .offset:         24
        .size:           8
        .value_kind:     by_value
      - .address_space:  global
        .offset:         32
        .size:           8
        .value_kind:     global_buffer
      - .offset:         40
        .size:           8
        .value_kind:     by_value
      - .offset:         48
        .size:           8
        .value_kind:     by_value
      - .address_space:  global
        .offset:         56
        .size:           8
        .value_kind:     global_buffer
      - .offset:         64
        .size:           8
        .value_kind:     by_value
      - .offset:         72
        .size:           8
        .value_kind:     by_value
      - .address_space:  global
        .offset:         80
        .size:           8
        .value_kind:     global_buffer
      - .offset:         88
        .size:           8
        .value_kind:     by_value
      - .offset:         96
        .size:           8
        .value_kind:     by_value
      - .offset:         104
        .size:           4
        .value_kind:     by_value
    .group_segment_fixed_size: 8192
    .kernarg_segment_align: 8
    .kernarg_segment_size: 108
    .language:       OpenCL C
    .language_version:
      - 2
      - 0
    .max_flat_workgroup_size: 1024
    .name:           _ZL23rocblas_trmm_lTx_kernelILi32ELb0EffKffEv13rocblas_fill_17rocblas_diagonal_iiT2_lPT3_llS5_llPT4_lli
    .private_segment_fixed_size: 0
    .sgpr_count:     33
    .sgpr_spill_count: 0
    .symbol:         _ZL23rocblas_trmm_lTx_kernelILi32ELb0EffKffEv13rocblas_fill_17rocblas_diagonal_iiT2_lPT3_llS5_llPT4_lli.kd
    .uniform_work_group_size: 1
    .uses_dynamic_stack: false
    .vgpr_count:     25
    .vgpr_spill_count: 0
    .wavefront_size: 64
  - .args:
      - .offset:         0
        .size:           4
        .value_kind:     by_value
      - .offset:         4
        .size:           4
        .value_kind:     by_value
      - .offset:         8
        .size:           4
        .value_kind:     by_value
      - .offset:         12
        .size:           4
        .value_kind:     by_value
      - .address_space:  global
        .offset:         16
        .size:           8
        .value_kind:     global_buffer
      - .offset:         24
        .size:           8
        .value_kind:     by_value
      - .address_space:  global
        .offset:         32
        .size:           8
        .value_kind:     global_buffer
      - .offset:         40
        .size:           8
        .value_kind:     by_value
      - .offset:         48
        .size:           8
        .value_kind:     by_value
      - .address_space:  global
        .offset:         56
        .size:           8
        .value_kind:     global_buffer
      - .offset:         64
        .size:           8
        .value_kind:     by_value
      - .offset:         72
        .size:           8
        .value_kind:     by_value
      - .address_space:  global
        .offset:         80
        .size:           8
        .value_kind:     global_buffer
      - .offset:         88
        .size:           8
        .value_kind:     by_value
      - .offset:         96
        .size:           8
        .value_kind:     by_value
      - .offset:         104
        .size:           4
        .value_kind:     by_value
    .group_segment_fixed_size: 8192
    .kernarg_segment_align: 8
    .kernarg_segment_size: 108
    .language:       OpenCL C
    .language_version:
      - 2
      - 0
    .max_flat_workgroup_size: 1024
    .name:           _ZL23rocblas_trmm_lTx_kernelILi32ELb1EfPKfS0_fEv13rocblas_fill_17rocblas_diagonal_iiT2_lPT3_llS6_llPT4_lli
    .private_segment_fixed_size: 0
    .sgpr_count:     29
    .sgpr_spill_count: 0
    .symbol:         _ZL23rocblas_trmm_lTx_kernelILi32ELb1EfPKfS0_fEv13rocblas_fill_17rocblas_diagonal_iiT2_lPT3_llS6_llPT4_lli.kd
    .uniform_work_group_size: 1
    .uses_dynamic_stack: false
    .vgpr_count:     25
    .vgpr_spill_count: 0
    .wavefront_size: 64
  - .args:
      - .offset:         0
        .size:           4
        .value_kind:     by_value
      - .offset:         4
        .size:           4
        .value_kind:     by_value
      - .offset:         8
        .size:           4
        .value_kind:     by_value
      - .offset:         12
        .size:           4
        .value_kind:     by_value
      - .offset:         16
        .size:           4
        .value_kind:     by_value
      - .offset:         24
        .size:           8
        .value_kind:     by_value
      - .address_space:  global
        .offset:         32
        .size:           8
        .value_kind:     global_buffer
      - .offset:         40
        .size:           8
        .value_kind:     by_value
      - .offset:         48
        .size:           8
        .value_kind:     by_value
      - .address_space:  global
        .offset:         56
        .size:           8
        .value_kind:     global_buffer
      - .offset:         64
        .size:           8
        .value_kind:     by_value
      - .offset:         72
        .size:           8
        .value_kind:     by_value
      - .address_space:  global
        .offset:         80
        .size:           8
        .value_kind:     global_buffer
      - .offset:         88
        .size:           8
        .value_kind:     by_value
      - .offset:         96
        .size:           8
        .value_kind:     by_value
      - .offset:         104
        .size:           4
        .value_kind:     by_value
    .group_segment_fixed_size: 8192
    .kernarg_segment_align: 8
    .kernarg_segment_size: 108
    .language:       OpenCL C
    .language_version:
      - 2
      - 0
    .max_flat_workgroup_size: 1024
    .name:           _ZL23rocblas_trmm_lTx_kernelILi32ELb1EffKffEv13rocblas_fill_17rocblas_diagonal_iiT2_lPT3_llS5_llPT4_lli
    .private_segment_fixed_size: 0
    .sgpr_count:     33
    .sgpr_spill_count: 0
    .symbol:         _ZL23rocblas_trmm_lTx_kernelILi32ELb1EffKffEv13rocblas_fill_17rocblas_diagonal_iiT2_lPT3_llS5_llPT4_lli.kd
    .uniform_work_group_size: 1
    .uses_dynamic_stack: false
    .vgpr_count:     25
    .vgpr_spill_count: 0
    .wavefront_size: 64
  - .args:
      - .offset:         0
        .size:           4
        .value_kind:     by_value
      - .offset:         4
        .size:           4
        .value_kind:     by_value
      - .offset:         8
        .size:           4
        .value_kind:     by_value
      - .offset:         12
        .size:           4
        .value_kind:     by_value
      - .address_space:  global
        .offset:         16
        .size:           8
        .value_kind:     global_buffer
      - .offset:         24
        .size:           8
        .value_kind:     by_value
      - .address_space:  global
        .offset:         32
        .size:           8
        .value_kind:     global_buffer
      - .offset:         40
        .size:           8
        .value_kind:     by_value
      - .offset:         48
        .size:           8
        .value_kind:     by_value
      - .address_space:  global
        .offset:         56
        .size:           8
        .value_kind:     global_buffer
      - .offset:         64
        .size:           8
        .value_kind:     by_value
      - .offset:         72
        .size:           8
        .value_kind:     by_value
      - .address_space:  global
        .offset:         80
        .size:           8
        .value_kind:     global_buffer
      - .offset:         88
        .size:           8
        .value_kind:     by_value
      - .offset:         96
        .size:           8
        .value_kind:     by_value
      - .offset:         104
        .size:           4
        .value_kind:     by_value
    .group_segment_fixed_size: 8192
    .kernarg_segment_align: 8
    .kernarg_segment_size: 108
    .language:       OpenCL C
    .language_version:
      - 2
      - 0
    .max_flat_workgroup_size: 1024
    .name:           _ZL23rocblas_trmm_rNx_kernelILi32EfPKfS0_fEv13rocblas_fill_17rocblas_diagonal_iiT1_lPT2_llS6_llPT3_lli
    .private_segment_fixed_size: 0
    .sgpr_count:     29
    .sgpr_spill_count: 0
    .symbol:         _ZL23rocblas_trmm_rNx_kernelILi32EfPKfS0_fEv13rocblas_fill_17rocblas_diagonal_iiT1_lPT2_llS6_llPT3_lli.kd
    .uniform_work_group_size: 1
    .uses_dynamic_stack: false
    .vgpr_count:     26
    .vgpr_spill_count: 0
    .wavefront_size: 64
  - .args:
      - .offset:         0
        .size:           4
        .value_kind:     by_value
      - .offset:         4
        .size:           4
        .value_kind:     by_value
      - .offset:         8
        .size:           4
        .value_kind:     by_value
      - .offset:         12
        .size:           4
        .value_kind:     by_value
      - .offset:         16
        .size:           4
        .value_kind:     by_value
      - .offset:         24
        .size:           8
        .value_kind:     by_value
      - .address_space:  global
        .offset:         32
        .size:           8
        .value_kind:     global_buffer
      - .offset:         40
        .size:           8
        .value_kind:     by_value
      - .offset:         48
        .size:           8
        .value_kind:     by_value
      - .address_space:  global
        .offset:         56
        .size:           8
        .value_kind:     global_buffer
      - .offset:         64
        .size:           8
        .value_kind:     by_value
      - .offset:         72
        .size:           8
        .value_kind:     by_value
      - .address_space:  global
        .offset:         80
        .size:           8
        .value_kind:     global_buffer
      - .offset:         88
        .size:           8
        .value_kind:     by_value
      - .offset:         96
        .size:           8
        .value_kind:     by_value
      - .offset:         104
        .size:           4
        .value_kind:     by_value
    .group_segment_fixed_size: 8192
    .kernarg_segment_align: 8
    .kernarg_segment_size: 108
    .language:       OpenCL C
    .language_version:
      - 2
      - 0
    .max_flat_workgroup_size: 1024
    .name:           _ZL23rocblas_trmm_rNx_kernelILi32EffKffEv13rocblas_fill_17rocblas_diagonal_iiT1_lPT2_llS5_llPT3_lli
    .private_segment_fixed_size: 0
    .sgpr_count:     33
    .sgpr_spill_count: 0
    .symbol:         _ZL23rocblas_trmm_rNx_kernelILi32EffKffEv13rocblas_fill_17rocblas_diagonal_iiT1_lPT2_llS5_llPT3_lli.kd
    .uniform_work_group_size: 1
    .uses_dynamic_stack: false
    .vgpr_count:     26
    .vgpr_spill_count: 0
    .wavefront_size: 64
  - .args:
      - .offset:         0
        .size:           4
        .value_kind:     by_value
      - .offset:         4
        .size:           4
        .value_kind:     by_value
      - .offset:         8
        .size:           4
        .value_kind:     by_value
      - .offset:         12
        .size:           4
        .value_kind:     by_value
      - .address_space:  global
        .offset:         16
        .size:           8
        .value_kind:     global_buffer
      - .offset:         24
        .size:           8
        .value_kind:     by_value
      - .address_space:  global
        .offset:         32
        .size:           8
        .value_kind:     global_buffer
      - .offset:         40
        .size:           8
        .value_kind:     by_value
      - .offset:         48
        .size:           8
        .value_kind:     by_value
      - .address_space:  global
        .offset:         56
        .size:           8
        .value_kind:     global_buffer
      - .offset:         64
        .size:           8
        .value_kind:     by_value
      - .offset:         72
        .size:           8
        .value_kind:     by_value
      - .address_space:  global
        .offset:         80
        .size:           8
        .value_kind:     global_buffer
      - .offset:         88
        .size:           8
        .value_kind:     by_value
      - .offset:         96
        .size:           8
        .value_kind:     by_value
      - .offset:         104
        .size:           4
        .value_kind:     by_value
    .group_segment_fixed_size: 8192
    .kernarg_segment_align: 8
    .kernarg_segment_size: 108
    .language:       OpenCL C
    .language_version:
      - 2
      - 0
    .max_flat_workgroup_size: 1024
    .name:           _ZL23rocblas_trmm_rTx_kernelILi32ELb0EfPKfS0_fEv13rocblas_fill_17rocblas_diagonal_iiT2_lPT3_llS6_llPT4_lli
    .private_segment_fixed_size: 0
    .sgpr_count:     29
    .sgpr_spill_count: 0
    .symbol:         _ZL23rocblas_trmm_rTx_kernelILi32ELb0EfPKfS0_fEv13rocblas_fill_17rocblas_diagonal_iiT2_lPT3_llS6_llPT4_lli.kd
    .uniform_work_group_size: 1
    .uses_dynamic_stack: false
    .vgpr_count:     18
    .vgpr_spill_count: 0
    .wavefront_size: 64
  - .args:
      - .offset:         0
        .size:           4
        .value_kind:     by_value
      - .offset:         4
        .size:           4
        .value_kind:     by_value
      - .offset:         8
        .size:           4
        .value_kind:     by_value
      - .offset:         12
        .size:           4
        .value_kind:     by_value
      - .offset:         16
        .size:           4
        .value_kind:     by_value
      - .offset:         24
        .size:           8
        .value_kind:     by_value
      - .address_space:  global
        .offset:         32
        .size:           8
        .value_kind:     global_buffer
      - .offset:         40
        .size:           8
        .value_kind:     by_value
      - .offset:         48
        .size:           8
        .value_kind:     by_value
      - .address_space:  global
        .offset:         56
        .size:           8
        .value_kind:     global_buffer
      - .offset:         64
        .size:           8
        .value_kind:     by_value
      - .offset:         72
        .size:           8
        .value_kind:     by_value
      - .address_space:  global
        .offset:         80
        .size:           8
        .value_kind:     global_buffer
      - .offset:         88
        .size:           8
        .value_kind:     by_value
      - .offset:         96
        .size:           8
        .value_kind:     by_value
      - .offset:         104
        .size:           4
        .value_kind:     by_value
    .group_segment_fixed_size: 8192
    .kernarg_segment_align: 8
    .kernarg_segment_size: 108
    .language:       OpenCL C
    .language_version:
      - 2
      - 0
    .max_flat_workgroup_size: 1024
    .name:           _ZL23rocblas_trmm_rTx_kernelILi32ELb0EffKffEv13rocblas_fill_17rocblas_diagonal_iiT2_lPT3_llS5_llPT4_lli
    .private_segment_fixed_size: 0
    .sgpr_count:     33
    .sgpr_spill_count: 0
    .symbol:         _ZL23rocblas_trmm_rTx_kernelILi32ELb0EffKffEv13rocblas_fill_17rocblas_diagonal_iiT2_lPT3_llS5_llPT4_lli.kd
    .uniform_work_group_size: 1
    .uses_dynamic_stack: false
    .vgpr_count:     18
    .vgpr_spill_count: 0
    .wavefront_size: 64
  - .args:
      - .offset:         0
        .size:           4
        .value_kind:     by_value
      - .offset:         4
        .size:           4
        .value_kind:     by_value
      - .offset:         8
        .size:           4
        .value_kind:     by_value
      - .offset:         12
        .size:           4
        .value_kind:     by_value
      - .address_space:  global
        .offset:         16
        .size:           8
        .value_kind:     global_buffer
      - .offset:         24
        .size:           8
        .value_kind:     by_value
      - .address_space:  global
        .offset:         32
        .size:           8
        .value_kind:     global_buffer
      - .offset:         40
        .size:           8
        .value_kind:     by_value
      - .offset:         48
        .size:           8
        .value_kind:     by_value
      - .address_space:  global
        .offset:         56
        .size:           8
        .value_kind:     global_buffer
      - .offset:         64
        .size:           8
        .value_kind:     by_value
      - .offset:         72
        .size:           8
        .value_kind:     by_value
      - .address_space:  global
        .offset:         80
        .size:           8
        .value_kind:     global_buffer
      - .offset:         88
        .size:           8
        .value_kind:     by_value
      - .offset:         96
        .size:           8
        .value_kind:     by_value
      - .offset:         104
        .size:           4
        .value_kind:     by_value
    .group_segment_fixed_size: 8192
    .kernarg_segment_align: 8
    .kernarg_segment_size: 108
    .language:       OpenCL C
    .language_version:
      - 2
      - 0
    .max_flat_workgroup_size: 1024
    .name:           _ZL23rocblas_trmm_rTx_kernelILi32ELb1EfPKfS0_fEv13rocblas_fill_17rocblas_diagonal_iiT2_lPT3_llS6_llPT4_lli
    .private_segment_fixed_size: 0
    .sgpr_count:     29
    .sgpr_spill_count: 0
    .symbol:         _ZL23rocblas_trmm_rTx_kernelILi32ELb1EfPKfS0_fEv13rocblas_fill_17rocblas_diagonal_iiT2_lPT3_llS6_llPT4_lli.kd
    .uniform_work_group_size: 1
    .uses_dynamic_stack: false
    .vgpr_count:     18
    .vgpr_spill_count: 0
    .wavefront_size: 64
  - .args:
      - .offset:         0
        .size:           4
        .value_kind:     by_value
      - .offset:         4
        .size:           4
        .value_kind:     by_value
      - .offset:         8
        .size:           4
        .value_kind:     by_value
      - .offset:         12
        .size:           4
        .value_kind:     by_value
      - .offset:         16
        .size:           4
        .value_kind:     by_value
      - .offset:         24
        .size:           8
        .value_kind:     by_value
      - .address_space:  global
        .offset:         32
        .size:           8
        .value_kind:     global_buffer
      - .offset:         40
        .size:           8
        .value_kind:     by_value
      - .offset:         48
        .size:           8
        .value_kind:     by_value
      - .address_space:  global
        .offset:         56
        .size:           8
        .value_kind:     global_buffer
      - .offset:         64
        .size:           8
        .value_kind:     by_value
      - .offset:         72
        .size:           8
        .value_kind:     by_value
      - .address_space:  global
        .offset:         80
        .size:           8
        .value_kind:     global_buffer
      - .offset:         88
        .size:           8
        .value_kind:     by_value
      - .offset:         96
        .size:           8
        .value_kind:     by_value
      - .offset:         104
        .size:           4
        .value_kind:     by_value
    .group_segment_fixed_size: 8192
    .kernarg_segment_align: 8
    .kernarg_segment_size: 108
    .language:       OpenCL C
    .language_version:
      - 2
      - 0
    .max_flat_workgroup_size: 1024
    .name:           _ZL23rocblas_trmm_rTx_kernelILi32ELb1EffKffEv13rocblas_fill_17rocblas_diagonal_iiT2_lPT3_llS5_llPT4_lli
    .private_segment_fixed_size: 0
    .sgpr_count:     33
    .sgpr_spill_count: 0
    .symbol:         _ZL23rocblas_trmm_rTx_kernelILi32ELb1EffKffEv13rocblas_fill_17rocblas_diagonal_iiT2_lPT3_llS5_llPT4_lli.kd
    .uniform_work_group_size: 1
    .uses_dynamic_stack: false
    .vgpr_count:     18
    .vgpr_spill_count: 0
    .wavefront_size: 64
  - .args:
      - .offset:         0
        .size:           4
        .value_kind:     by_value
      - .offset:         4
        .size:           4
        .value_kind:     by_value
      - .offset:         8
        .size:           4
        .value_kind:     by_value
      - .address_space:  global
        .offset:         16
        .size:           8
        .value_kind:     global_buffer
      - .offset:         24
        .size:           8
        .value_kind:     by_value
      - .address_space:  global
        .offset:         32
        .size:           8
        .value_kind:     global_buffer
      - .offset:         40
        .size:           8
        .value_kind:     by_value
      - .offset:         48
        .size:           8
        .value_kind:     by_value
      - .offset:         56
        .size:           8
        .value_kind:     by_value
      - .address_space:  global
        .offset:         64
        .size:           8
        .value_kind:     global_buffer
      - .offset:         72
        .size:           8
        .value_kind:     by_value
      - .offset:         80
        .size:           8
        .value_kind:     by_value
      - .offset:         88
        .size:           8
        .value_kind:     by_value
      - .address_space:  global
        .offset:         96
        .size:           8
        .value_kind:     global_buffer
      - .offset:         104
        .size:           8
        .value_kind:     by_value
      - .offset:         112
        .size:           8
        .value_kind:     by_value
      - .offset:         120
        .size:           8
        .value_kind:     by_value
      - .offset:         128
        .size:           4
        .value_kind:     by_value
      - .offset:         136
        .size:           4
        .value_kind:     hidden_block_count_x
      - .offset:         140
        .size:           4
        .value_kind:     hidden_block_count_y
      - .offset:         144
        .size:           4
        .value_kind:     hidden_block_count_z
      - .offset:         148
        .size:           2
        .value_kind:     hidden_group_size_x
      - .offset:         150
        .size:           2
        .value_kind:     hidden_group_size_y
      - .offset:         152
        .size:           2
        .value_kind:     hidden_group_size_z
      - .offset:         154
        .size:           2
        .value_kind:     hidden_remainder_x
      - .offset:         156
        .size:           2
        .value_kind:     hidden_remainder_y
      - .offset:         158
        .size:           2
        .value_kind:     hidden_remainder_z
      - .offset:         176
        .size:           8
        .value_kind:     hidden_global_offset_x
      - .offset:         184
        .size:           8
        .value_kind:     hidden_global_offset_y
      - .offset:         192
        .size:           8
        .value_kind:     hidden_global_offset_z
      - .offset:         200
        .size:           2
        .value_kind:     hidden_grid_dims
    .group_segment_fixed_size: 16384
    .kernarg_segment_align: 8
    .kernarg_segment_size: 392
    .language:       OpenCL C
    .language_version:
      - 2
      - 0
    .max_flat_workgroup_size: 1024
    .name:           _ZL30rocblas_trmm_outofplace_kernelIdLi32ELi2ELb1ELb0ELb0ELb0EPKdS0_dEv17rocblas_diagonal_iiT6_lPT7_lllS5_lllPT8_llli
    .private_segment_fixed_size: 36
    .sgpr_count:     64
    .sgpr_spill_count: 0
    .symbol:         _ZL30rocblas_trmm_outofplace_kernelIdLi32ELi2ELb1ELb0ELb0ELb0EPKdS0_dEv17rocblas_diagonal_iiT6_lPT7_lllS5_lllPT8_llli.kd
    .uniform_work_group_size: 1
    .uses_dynamic_stack: false
    .vgpr_count:     63
    .vgpr_spill_count: 8
    .wavefront_size: 64
  - .args:
      - .offset:         0
        .size:           4
        .value_kind:     by_value
      - .offset:         4
        .size:           4
        .value_kind:     by_value
      - .offset:         8
        .size:           4
        .value_kind:     by_value
      - .offset:         16
        .size:           8
        .value_kind:     by_value
      - .offset:         24
        .size:           8
        .value_kind:     by_value
      - .address_space:  global
        .offset:         32
        .size:           8
        .value_kind:     global_buffer
      - .offset:         40
        .size:           8
        .value_kind:     by_value
      - .offset:         48
        .size:           8
        .value_kind:     by_value
      - .offset:         56
        .size:           8
        .value_kind:     by_value
      - .address_space:  global
        .offset:         64
        .size:           8
        .value_kind:     global_buffer
      - .offset:         72
        .size:           8
        .value_kind:     by_value
      - .offset:         80
        .size:           8
        .value_kind:     by_value
      - .offset:         88
        .size:           8
        .value_kind:     by_value
      - .address_space:  global
        .offset:         96
        .size:           8
        .value_kind:     global_buffer
      - .offset:         104
        .size:           8
        .value_kind:     by_value
      - .offset:         112
        .size:           8
        .value_kind:     by_value
      - .offset:         120
        .size:           8
        .value_kind:     by_value
      - .offset:         128
        .size:           4
        .value_kind:     by_value
      - .offset:         136
        .size:           4
        .value_kind:     hidden_block_count_x
      - .offset:         140
        .size:           4
        .value_kind:     hidden_block_count_y
      - .offset:         144
        .size:           4
        .value_kind:     hidden_block_count_z
      - .offset:         148
        .size:           2
        .value_kind:     hidden_group_size_x
      - .offset:         150
        .size:           2
        .value_kind:     hidden_group_size_y
      - .offset:         152
        .size:           2
        .value_kind:     hidden_group_size_z
      - .offset:         154
        .size:           2
        .value_kind:     hidden_remainder_x
      - .offset:         156
        .size:           2
        .value_kind:     hidden_remainder_y
      - .offset:         158
        .size:           2
        .value_kind:     hidden_remainder_z
      - .offset:         176
        .size:           8
        .value_kind:     hidden_global_offset_x
      - .offset:         184
        .size:           8
        .value_kind:     hidden_global_offset_y
      - .offset:         192
        .size:           8
        .value_kind:     hidden_global_offset_z
      - .offset:         200
        .size:           2
        .value_kind:     hidden_grid_dims
    .group_segment_fixed_size: 16384
    .kernarg_segment_align: 8
    .kernarg_segment_size: 392
    .language:       OpenCL C
    .language_version:
      - 2
      - 0
    .max_flat_workgroup_size: 1024
    .name:           _ZL30rocblas_trmm_outofplace_kernelIdLi32ELi2ELb1ELb0ELb0ELb0EdKddEv17rocblas_diagonal_iiT6_lPT7_lllS4_lllPT8_llli
    .private_segment_fixed_size: 36
    .sgpr_count:     64
    .sgpr_spill_count: 0
    .symbol:         _ZL30rocblas_trmm_outofplace_kernelIdLi32ELi2ELb1ELb0ELb0ELb0EdKddEv17rocblas_diagonal_iiT6_lPT7_lllS4_lllPT8_llli.kd
    .uniform_work_group_size: 1
    .uses_dynamic_stack: false
    .vgpr_count:     63
    .vgpr_spill_count: 8
    .wavefront_size: 64
  - .args:
      - .offset:         0
        .size:           4
        .value_kind:     by_value
      - .offset:         4
        .size:           4
        .value_kind:     by_value
      - .offset:         8
        .size:           4
        .value_kind:     by_value
      - .address_space:  global
        .offset:         16
        .size:           8
        .value_kind:     global_buffer
      - .offset:         24
        .size:           8
        .value_kind:     by_value
      - .address_space:  global
        .offset:         32
        .size:           8
        .value_kind:     global_buffer
      - .offset:         40
        .size:           8
        .value_kind:     by_value
      - .offset:         48
        .size:           8
        .value_kind:     by_value
      - .offset:         56
        .size:           8
        .value_kind:     by_value
      - .address_space:  global
        .offset:         64
        .size:           8
        .value_kind:     global_buffer
      - .offset:         72
        .size:           8
        .value_kind:     by_value
      - .offset:         80
        .size:           8
        .value_kind:     by_value
      - .offset:         88
        .size:           8
        .value_kind:     by_value
      - .address_space:  global
        .offset:         96
        .size:           8
        .value_kind:     global_buffer
      - .offset:         104
        .size:           8
        .value_kind:     by_value
      - .offset:         112
        .size:           8
        .value_kind:     by_value
      - .offset:         120
        .size:           8
        .value_kind:     by_value
      - .offset:         128
        .size:           4
        .value_kind:     by_value
      - .offset:         136
        .size:           4
        .value_kind:     hidden_block_count_x
      - .offset:         140
        .size:           4
        .value_kind:     hidden_block_count_y
      - .offset:         144
        .size:           4
        .value_kind:     hidden_block_count_z
      - .offset:         148
        .size:           2
        .value_kind:     hidden_group_size_x
      - .offset:         150
        .size:           2
        .value_kind:     hidden_group_size_y
      - .offset:         152
        .size:           2
        .value_kind:     hidden_group_size_z
      - .offset:         154
        .size:           2
        .value_kind:     hidden_remainder_x
      - .offset:         156
        .size:           2
        .value_kind:     hidden_remainder_y
      - .offset:         158
        .size:           2
        .value_kind:     hidden_remainder_z
      - .offset:         176
        .size:           8
        .value_kind:     hidden_global_offset_x
      - .offset:         184
        .size:           8
        .value_kind:     hidden_global_offset_y
      - .offset:         192
        .size:           8
        .value_kind:     hidden_global_offset_z
      - .offset:         200
        .size:           2
        .value_kind:     hidden_grid_dims
    .group_segment_fixed_size: 16384
    .kernarg_segment_align: 8
    .kernarg_segment_size: 392
    .language:       OpenCL C
    .language_version:
      - 2
      - 0
    .max_flat_workgroup_size: 1024
    .name:           _ZL30rocblas_trmm_outofplace_kernelIdLi32ELi2ELb1ELb1ELb0ELb0EPKdS0_dEv17rocblas_diagonal_iiT6_lPT7_lllS5_lllPT8_llli
    .private_segment_fixed_size: 28
    .sgpr_count:     68
    .sgpr_spill_count: 0
    .symbol:         _ZL30rocblas_trmm_outofplace_kernelIdLi32ELi2ELb1ELb1ELb0ELb0EPKdS0_dEv17rocblas_diagonal_iiT6_lPT7_lllS5_lllPT8_llli.kd
    .uniform_work_group_size: 1
    .uses_dynamic_stack: false
    .vgpr_count:     64
    .vgpr_spill_count: 6
    .wavefront_size: 64
  - .args:
      - .offset:         0
        .size:           4
        .value_kind:     by_value
      - .offset:         4
        .size:           4
        .value_kind:     by_value
      - .offset:         8
        .size:           4
        .value_kind:     by_value
      - .offset:         16
        .size:           8
        .value_kind:     by_value
      - .offset:         24
        .size:           8
        .value_kind:     by_value
      - .address_space:  global
        .offset:         32
        .size:           8
        .value_kind:     global_buffer
      - .offset:         40
        .size:           8
        .value_kind:     by_value
      - .offset:         48
        .size:           8
        .value_kind:     by_value
      - .offset:         56
        .size:           8
        .value_kind:     by_value
      - .address_space:  global
        .offset:         64
        .size:           8
        .value_kind:     global_buffer
      - .offset:         72
        .size:           8
        .value_kind:     by_value
      - .offset:         80
        .size:           8
        .value_kind:     by_value
      - .offset:         88
        .size:           8
        .value_kind:     by_value
      - .address_space:  global
        .offset:         96
        .size:           8
        .value_kind:     global_buffer
      - .offset:         104
        .size:           8
        .value_kind:     by_value
      - .offset:         112
        .size:           8
        .value_kind:     by_value
      - .offset:         120
        .size:           8
        .value_kind:     by_value
      - .offset:         128
        .size:           4
        .value_kind:     by_value
      - .offset:         136
        .size:           4
        .value_kind:     hidden_block_count_x
      - .offset:         140
        .size:           4
        .value_kind:     hidden_block_count_y
      - .offset:         144
        .size:           4
        .value_kind:     hidden_block_count_z
      - .offset:         148
        .size:           2
        .value_kind:     hidden_group_size_x
      - .offset:         150
        .size:           2
        .value_kind:     hidden_group_size_y
      - .offset:         152
        .size:           2
        .value_kind:     hidden_group_size_z
      - .offset:         154
        .size:           2
        .value_kind:     hidden_remainder_x
      - .offset:         156
        .size:           2
        .value_kind:     hidden_remainder_y
      - .offset:         158
        .size:           2
        .value_kind:     hidden_remainder_z
      - .offset:         176
        .size:           8
        .value_kind:     hidden_global_offset_x
      - .offset:         184
        .size:           8
        .value_kind:     hidden_global_offset_y
      - .offset:         192
        .size:           8
        .value_kind:     hidden_global_offset_z
      - .offset:         200
        .size:           2
        .value_kind:     hidden_grid_dims
    .group_segment_fixed_size: 16384
    .kernarg_segment_align: 8
    .kernarg_segment_size: 392
    .language:       OpenCL C
    .language_version:
      - 2
      - 0
    .max_flat_workgroup_size: 1024
    .name:           _ZL30rocblas_trmm_outofplace_kernelIdLi32ELi2ELb1ELb1ELb0ELb0EdKddEv17rocblas_diagonal_iiT6_lPT7_lllS4_lllPT8_llli
    .private_segment_fixed_size: 28
    .sgpr_count:     68
    .sgpr_spill_count: 0
    .symbol:         _ZL30rocblas_trmm_outofplace_kernelIdLi32ELi2ELb1ELb1ELb0ELb0EdKddEv17rocblas_diagonal_iiT6_lPT7_lllS4_lllPT8_llli.kd
    .uniform_work_group_size: 1
    .uses_dynamic_stack: false
    .vgpr_count:     64
    .vgpr_spill_count: 6
    .wavefront_size: 64
  - .args:
      - .offset:         0
        .size:           4
        .value_kind:     by_value
      - .offset:         4
        .size:           4
        .value_kind:     by_value
      - .offset:         8
        .size:           4
        .value_kind:     by_value
      - .address_space:  global
        .offset:         16
        .size:           8
        .value_kind:     global_buffer
      - .offset:         24
        .size:           8
        .value_kind:     by_value
      - .address_space:  global
        .offset:         32
        .size:           8
        .value_kind:     global_buffer
      - .offset:         40
        .size:           8
        .value_kind:     by_value
      - .offset:         48
        .size:           8
        .value_kind:     by_value
      - .offset:         56
        .size:           8
        .value_kind:     by_value
      - .address_space:  global
        .offset:         64
        .size:           8
        .value_kind:     global_buffer
      - .offset:         72
        .size:           8
        .value_kind:     by_value
      - .offset:         80
        .size:           8
        .value_kind:     by_value
      - .offset:         88
        .size:           8
        .value_kind:     by_value
      - .address_space:  global
        .offset:         96
        .size:           8
        .value_kind:     global_buffer
      - .offset:         104
        .size:           8
        .value_kind:     by_value
      - .offset:         112
        .size:           8
        .value_kind:     by_value
      - .offset:         120
        .size:           8
        .value_kind:     by_value
      - .offset:         128
        .size:           4
        .value_kind:     by_value
      - .offset:         136
        .size:           4
        .value_kind:     hidden_block_count_x
      - .offset:         140
        .size:           4
        .value_kind:     hidden_block_count_y
      - .offset:         144
        .size:           4
        .value_kind:     hidden_block_count_z
      - .offset:         148
        .size:           2
        .value_kind:     hidden_group_size_x
      - .offset:         150
        .size:           2
        .value_kind:     hidden_group_size_y
      - .offset:         152
        .size:           2
        .value_kind:     hidden_group_size_z
      - .offset:         154
        .size:           2
        .value_kind:     hidden_remainder_x
      - .offset:         156
        .size:           2
        .value_kind:     hidden_remainder_y
      - .offset:         158
        .size:           2
        .value_kind:     hidden_remainder_z
      - .offset:         176
        .size:           8
        .value_kind:     hidden_global_offset_x
      - .offset:         184
        .size:           8
        .value_kind:     hidden_global_offset_y
      - .offset:         192
        .size:           8
        .value_kind:     hidden_global_offset_z
      - .offset:         200
        .size:           2
        .value_kind:     hidden_grid_dims
    .group_segment_fixed_size: 16384
    .kernarg_segment_align: 8
    .kernarg_segment_size: 392
    .language:       OpenCL C
    .language_version:
      - 2
      - 0
    .max_flat_workgroup_size: 1024
    .name:           _ZL30rocblas_trmm_outofplace_kernelIdLi32ELi2ELb1ELb0ELb1ELb0EPKdS0_dEv17rocblas_diagonal_iiT6_lPT7_lllS5_lllPT8_llli
    .private_segment_fixed_size: 12
    .sgpr_count:     64
    .sgpr_spill_count: 0
    .symbol:         _ZL30rocblas_trmm_outofplace_kernelIdLi32ELi2ELb1ELb0ELb1ELb0EPKdS0_dEv17rocblas_diagonal_iiT6_lPT7_lllS5_lllPT8_llli.kd
    .uniform_work_group_size: 1
    .uses_dynamic_stack: false
    .vgpr_count:     64
    .vgpr_spill_count: 2
    .wavefront_size: 64
  - .args:
      - .offset:         0
        .size:           4
        .value_kind:     by_value
      - .offset:         4
        .size:           4
        .value_kind:     by_value
      - .offset:         8
        .size:           4
        .value_kind:     by_value
      - .offset:         16
        .size:           8
        .value_kind:     by_value
      - .offset:         24
        .size:           8
        .value_kind:     by_value
      - .address_space:  global
        .offset:         32
        .size:           8
        .value_kind:     global_buffer
      - .offset:         40
        .size:           8
        .value_kind:     by_value
      - .offset:         48
        .size:           8
        .value_kind:     by_value
      - .offset:         56
        .size:           8
        .value_kind:     by_value
      - .address_space:  global
        .offset:         64
        .size:           8
        .value_kind:     global_buffer
      - .offset:         72
        .size:           8
        .value_kind:     by_value
      - .offset:         80
        .size:           8
        .value_kind:     by_value
      - .offset:         88
        .size:           8
        .value_kind:     by_value
      - .address_space:  global
        .offset:         96
        .size:           8
        .value_kind:     global_buffer
      - .offset:         104
        .size:           8
        .value_kind:     by_value
      - .offset:         112
        .size:           8
        .value_kind:     by_value
      - .offset:         120
        .size:           8
        .value_kind:     by_value
      - .offset:         128
        .size:           4
        .value_kind:     by_value
      - .offset:         136
        .size:           4
        .value_kind:     hidden_block_count_x
      - .offset:         140
        .size:           4
        .value_kind:     hidden_block_count_y
      - .offset:         144
        .size:           4
        .value_kind:     hidden_block_count_z
      - .offset:         148
        .size:           2
        .value_kind:     hidden_group_size_x
      - .offset:         150
        .size:           2
        .value_kind:     hidden_group_size_y
      - .offset:         152
        .size:           2
        .value_kind:     hidden_group_size_z
      - .offset:         154
        .size:           2
        .value_kind:     hidden_remainder_x
      - .offset:         156
        .size:           2
        .value_kind:     hidden_remainder_y
      - .offset:         158
        .size:           2
        .value_kind:     hidden_remainder_z
      - .offset:         176
        .size:           8
        .value_kind:     hidden_global_offset_x
      - .offset:         184
        .size:           8
        .value_kind:     hidden_global_offset_y
      - .offset:         192
        .size:           8
        .value_kind:     hidden_global_offset_z
      - .offset:         200
        .size:           2
        .value_kind:     hidden_grid_dims
    .group_segment_fixed_size: 16384
    .kernarg_segment_align: 8
    .kernarg_segment_size: 392
    .language:       OpenCL C
    .language_version:
      - 2
      - 0
    .max_flat_workgroup_size: 1024
    .name:           _ZL30rocblas_trmm_outofplace_kernelIdLi32ELi2ELb1ELb0ELb1ELb0EdKddEv17rocblas_diagonal_iiT6_lPT7_lllS4_lllPT8_llli
    .private_segment_fixed_size: 12
    .sgpr_count:     60
    .sgpr_spill_count: 0
    .symbol:         _ZL30rocblas_trmm_outofplace_kernelIdLi32ELi2ELb1ELb0ELb1ELb0EdKddEv17rocblas_diagonal_iiT6_lPT7_lllS4_lllPT8_llli.kd
    .uniform_work_group_size: 1
    .uses_dynamic_stack: false
    .vgpr_count:     64
    .vgpr_spill_count: 2
    .wavefront_size: 64
  - .args:
      - .offset:         0
        .size:           4
        .value_kind:     by_value
      - .offset:         4
        .size:           4
        .value_kind:     by_value
      - .offset:         8
        .size:           4
        .value_kind:     by_value
      - .address_space:  global
        .offset:         16
        .size:           8
        .value_kind:     global_buffer
      - .offset:         24
        .size:           8
        .value_kind:     by_value
      - .address_space:  global
        .offset:         32
        .size:           8
        .value_kind:     global_buffer
      - .offset:         40
        .size:           8
        .value_kind:     by_value
      - .offset:         48
        .size:           8
        .value_kind:     by_value
      - .offset:         56
        .size:           8
        .value_kind:     by_value
      - .address_space:  global
        .offset:         64
        .size:           8
        .value_kind:     global_buffer
      - .offset:         72
        .size:           8
        .value_kind:     by_value
      - .offset:         80
        .size:           8
        .value_kind:     by_value
      - .offset:         88
        .size:           8
        .value_kind:     by_value
      - .address_space:  global
        .offset:         96
        .size:           8
        .value_kind:     global_buffer
      - .offset:         104
        .size:           8
        .value_kind:     by_value
      - .offset:         112
        .size:           8
        .value_kind:     by_value
      - .offset:         120
        .size:           8
        .value_kind:     by_value
      - .offset:         128
        .size:           4
        .value_kind:     by_value
      - .offset:         136
        .size:           4
        .value_kind:     hidden_block_count_x
      - .offset:         140
        .size:           4
        .value_kind:     hidden_block_count_y
      - .offset:         144
        .size:           4
        .value_kind:     hidden_block_count_z
      - .offset:         148
        .size:           2
        .value_kind:     hidden_group_size_x
      - .offset:         150
        .size:           2
        .value_kind:     hidden_group_size_y
      - .offset:         152
        .size:           2
        .value_kind:     hidden_group_size_z
      - .offset:         154
        .size:           2
        .value_kind:     hidden_remainder_x
      - .offset:         156
        .size:           2
        .value_kind:     hidden_remainder_y
      - .offset:         158
        .size:           2
        .value_kind:     hidden_remainder_z
      - .offset:         176
        .size:           8
        .value_kind:     hidden_global_offset_x
      - .offset:         184
        .size:           8
        .value_kind:     hidden_global_offset_y
      - .offset:         192
        .size:           8
        .value_kind:     hidden_global_offset_z
      - .offset:         200
        .size:           2
        .value_kind:     hidden_grid_dims
    .group_segment_fixed_size: 16384
    .kernarg_segment_align: 8
    .kernarg_segment_size: 392
    .language:       OpenCL C
    .language_version:
      - 2
      - 0
    .max_flat_workgroup_size: 1024
    .name:           _ZL30rocblas_trmm_outofplace_kernelIdLi32ELi2ELb1ELb1ELb1ELb0EPKdS0_dEv17rocblas_diagonal_iiT6_lPT7_lllS5_lllPT8_llli
    .private_segment_fixed_size: 12
    .sgpr_count:     64
    .sgpr_spill_count: 0
    .symbol:         _ZL30rocblas_trmm_outofplace_kernelIdLi32ELi2ELb1ELb1ELb1ELb0EPKdS0_dEv17rocblas_diagonal_iiT6_lPT7_lllS5_lllPT8_llli.kd
    .uniform_work_group_size: 1
    .uses_dynamic_stack: false
    .vgpr_count:     63
    .vgpr_spill_count: 2
    .wavefront_size: 64
  - .args:
      - .offset:         0
        .size:           4
        .value_kind:     by_value
      - .offset:         4
        .size:           4
        .value_kind:     by_value
      - .offset:         8
        .size:           4
        .value_kind:     by_value
      - .offset:         16
        .size:           8
        .value_kind:     by_value
      - .offset:         24
        .size:           8
        .value_kind:     by_value
      - .address_space:  global
        .offset:         32
        .size:           8
        .value_kind:     global_buffer
      - .offset:         40
        .size:           8
        .value_kind:     by_value
      - .offset:         48
        .size:           8
        .value_kind:     by_value
      - .offset:         56
        .size:           8
        .value_kind:     by_value
      - .address_space:  global
        .offset:         64
        .size:           8
        .value_kind:     global_buffer
      - .offset:         72
        .size:           8
        .value_kind:     by_value
      - .offset:         80
        .size:           8
        .value_kind:     by_value
      - .offset:         88
        .size:           8
        .value_kind:     by_value
      - .address_space:  global
        .offset:         96
        .size:           8
        .value_kind:     global_buffer
      - .offset:         104
        .size:           8
        .value_kind:     by_value
      - .offset:         112
        .size:           8
        .value_kind:     by_value
      - .offset:         120
        .size:           8
        .value_kind:     by_value
      - .offset:         128
        .size:           4
        .value_kind:     by_value
      - .offset:         136
        .size:           4
        .value_kind:     hidden_block_count_x
      - .offset:         140
        .size:           4
        .value_kind:     hidden_block_count_y
      - .offset:         144
        .size:           4
        .value_kind:     hidden_block_count_z
      - .offset:         148
        .size:           2
        .value_kind:     hidden_group_size_x
      - .offset:         150
        .size:           2
        .value_kind:     hidden_group_size_y
      - .offset:         152
        .size:           2
        .value_kind:     hidden_group_size_z
      - .offset:         154
        .size:           2
        .value_kind:     hidden_remainder_x
      - .offset:         156
        .size:           2
        .value_kind:     hidden_remainder_y
      - .offset:         158
        .size:           2
        .value_kind:     hidden_remainder_z
      - .offset:         176
        .size:           8
        .value_kind:     hidden_global_offset_x
      - .offset:         184
        .size:           8
        .value_kind:     hidden_global_offset_y
      - .offset:         192
        .size:           8
        .value_kind:     hidden_global_offset_z
      - .offset:         200
        .size:           2
        .value_kind:     hidden_grid_dims
    .group_segment_fixed_size: 16384
    .kernarg_segment_align: 8
    .kernarg_segment_size: 392
    .language:       OpenCL C
    .language_version:
      - 2
      - 0
    .max_flat_workgroup_size: 1024
    .name:           _ZL30rocblas_trmm_outofplace_kernelIdLi32ELi2ELb1ELb1ELb1ELb0EdKddEv17rocblas_diagonal_iiT6_lPT7_lllS4_lllPT8_llli
    .private_segment_fixed_size: 12
    .sgpr_count:     60
    .sgpr_spill_count: 0
    .symbol:         _ZL30rocblas_trmm_outofplace_kernelIdLi32ELi2ELb1ELb1ELb1ELb0EdKddEv17rocblas_diagonal_iiT6_lPT7_lllS4_lllPT8_llli.kd
    .uniform_work_group_size: 1
    .uses_dynamic_stack: false
    .vgpr_count:     63
    .vgpr_spill_count: 2
    .wavefront_size: 64
  - .args:
      - .offset:         0
        .size:           4
        .value_kind:     by_value
      - .offset:         4
        .size:           4
        .value_kind:     by_value
      - .offset:         8
        .size:           4
        .value_kind:     by_value
      - .address_space:  global
        .offset:         16
        .size:           8
        .value_kind:     global_buffer
      - .offset:         24
        .size:           8
        .value_kind:     by_value
      - .address_space:  global
        .offset:         32
        .size:           8
        .value_kind:     global_buffer
      - .offset:         40
        .size:           8
        .value_kind:     by_value
      - .offset:         48
        .size:           8
        .value_kind:     by_value
      - .offset:         56
        .size:           8
        .value_kind:     by_value
      - .address_space:  global
        .offset:         64
        .size:           8
        .value_kind:     global_buffer
      - .offset:         72
        .size:           8
        .value_kind:     by_value
      - .offset:         80
        .size:           8
        .value_kind:     by_value
      - .offset:         88
        .size:           8
        .value_kind:     by_value
      - .address_space:  global
        .offset:         96
        .size:           8
        .value_kind:     global_buffer
      - .offset:         104
        .size:           8
        .value_kind:     by_value
      - .offset:         112
        .size:           8
        .value_kind:     by_value
      - .offset:         120
        .size:           8
        .value_kind:     by_value
      - .offset:         128
        .size:           4
        .value_kind:     by_value
      - .offset:         136
        .size:           4
        .value_kind:     hidden_block_count_x
      - .offset:         140
        .size:           4
        .value_kind:     hidden_block_count_y
      - .offset:         144
        .size:           4
        .value_kind:     hidden_block_count_z
      - .offset:         148
        .size:           2
        .value_kind:     hidden_group_size_x
      - .offset:         150
        .size:           2
        .value_kind:     hidden_group_size_y
      - .offset:         152
        .size:           2
        .value_kind:     hidden_group_size_z
      - .offset:         154
        .size:           2
        .value_kind:     hidden_remainder_x
      - .offset:         156
        .size:           2
        .value_kind:     hidden_remainder_y
      - .offset:         158
        .size:           2
        .value_kind:     hidden_remainder_z
      - .offset:         176
        .size:           8
        .value_kind:     hidden_global_offset_x
      - .offset:         184
        .size:           8
        .value_kind:     hidden_global_offset_y
      - .offset:         192
        .size:           8
        .value_kind:     hidden_global_offset_z
      - .offset:         200
        .size:           2
        .value_kind:     hidden_grid_dims
    .group_segment_fixed_size: 16384
    .kernarg_segment_align: 8
    .kernarg_segment_size: 392
    .language:       OpenCL C
    .language_version:
      - 2
      - 0
    .max_flat_workgroup_size: 1024
    .name:           _ZL30rocblas_trmm_outofplace_kernelIdLi32ELi2ELb1ELb0ELb1ELb1EPKdS0_dEv17rocblas_diagonal_iiT6_lPT7_lllS5_lllPT8_llli
    .private_segment_fixed_size: 12
    .sgpr_count:     64
    .sgpr_spill_count: 0
    .symbol:         _ZL30rocblas_trmm_outofplace_kernelIdLi32ELi2ELb1ELb0ELb1ELb1EPKdS0_dEv17rocblas_diagonal_iiT6_lPT7_lllS5_lllPT8_llli.kd
    .uniform_work_group_size: 1
    .uses_dynamic_stack: false
    .vgpr_count:     64
    .vgpr_spill_count: 2
    .wavefront_size: 64
  - .args:
      - .offset:         0
        .size:           4
        .value_kind:     by_value
      - .offset:         4
        .size:           4
        .value_kind:     by_value
      - .offset:         8
        .size:           4
        .value_kind:     by_value
      - .offset:         16
        .size:           8
        .value_kind:     by_value
      - .offset:         24
        .size:           8
        .value_kind:     by_value
      - .address_space:  global
        .offset:         32
        .size:           8
        .value_kind:     global_buffer
      - .offset:         40
        .size:           8
        .value_kind:     by_value
      - .offset:         48
        .size:           8
        .value_kind:     by_value
      - .offset:         56
        .size:           8
        .value_kind:     by_value
      - .address_space:  global
        .offset:         64
        .size:           8
        .value_kind:     global_buffer
      - .offset:         72
        .size:           8
        .value_kind:     by_value
      - .offset:         80
        .size:           8
        .value_kind:     by_value
      - .offset:         88
        .size:           8
        .value_kind:     by_value
      - .address_space:  global
        .offset:         96
        .size:           8
        .value_kind:     global_buffer
      - .offset:         104
        .size:           8
        .value_kind:     by_value
      - .offset:         112
        .size:           8
        .value_kind:     by_value
      - .offset:         120
        .size:           8
        .value_kind:     by_value
      - .offset:         128
        .size:           4
        .value_kind:     by_value
      - .offset:         136
        .size:           4
        .value_kind:     hidden_block_count_x
      - .offset:         140
        .size:           4
        .value_kind:     hidden_block_count_y
      - .offset:         144
        .size:           4
        .value_kind:     hidden_block_count_z
      - .offset:         148
        .size:           2
        .value_kind:     hidden_group_size_x
      - .offset:         150
        .size:           2
        .value_kind:     hidden_group_size_y
      - .offset:         152
        .size:           2
        .value_kind:     hidden_group_size_z
      - .offset:         154
        .size:           2
        .value_kind:     hidden_remainder_x
      - .offset:         156
        .size:           2
        .value_kind:     hidden_remainder_y
      - .offset:         158
        .size:           2
        .value_kind:     hidden_remainder_z
      - .offset:         176
        .size:           8
        .value_kind:     hidden_global_offset_x
      - .offset:         184
        .size:           8
        .value_kind:     hidden_global_offset_y
      - .offset:         192
        .size:           8
        .value_kind:     hidden_global_offset_z
      - .offset:         200
        .size:           2
        .value_kind:     hidden_grid_dims
    .group_segment_fixed_size: 16384
    .kernarg_segment_align: 8
    .kernarg_segment_size: 392
    .language:       OpenCL C
    .language_version:
      - 2
      - 0
    .max_flat_workgroup_size: 1024
    .name:           _ZL30rocblas_trmm_outofplace_kernelIdLi32ELi2ELb1ELb0ELb1ELb1EdKddEv17rocblas_diagonal_iiT6_lPT7_lllS4_lllPT8_llli
    .private_segment_fixed_size: 12
    .sgpr_count:     60
    .sgpr_spill_count: 0
    .symbol:         _ZL30rocblas_trmm_outofplace_kernelIdLi32ELi2ELb1ELb0ELb1ELb1EdKddEv17rocblas_diagonal_iiT6_lPT7_lllS4_lllPT8_llli.kd
    .uniform_work_group_size: 1
    .uses_dynamic_stack: false
    .vgpr_count:     64
    .vgpr_spill_count: 2
    .wavefront_size: 64
  - .args:
      - .offset:         0
        .size:           4
        .value_kind:     by_value
      - .offset:         4
        .size:           4
        .value_kind:     by_value
      - .offset:         8
        .size:           4
        .value_kind:     by_value
      - .address_space:  global
        .offset:         16
        .size:           8
        .value_kind:     global_buffer
      - .offset:         24
        .size:           8
        .value_kind:     by_value
      - .address_space:  global
        .offset:         32
        .size:           8
        .value_kind:     global_buffer
      - .offset:         40
        .size:           8
        .value_kind:     by_value
      - .offset:         48
        .size:           8
        .value_kind:     by_value
      - .offset:         56
        .size:           8
        .value_kind:     by_value
      - .address_space:  global
        .offset:         64
        .size:           8
        .value_kind:     global_buffer
      - .offset:         72
        .size:           8
        .value_kind:     by_value
      - .offset:         80
        .size:           8
        .value_kind:     by_value
      - .offset:         88
        .size:           8
        .value_kind:     by_value
      - .address_space:  global
        .offset:         96
        .size:           8
        .value_kind:     global_buffer
      - .offset:         104
        .size:           8
        .value_kind:     by_value
      - .offset:         112
        .size:           8
        .value_kind:     by_value
      - .offset:         120
        .size:           8
        .value_kind:     by_value
      - .offset:         128
        .size:           4
        .value_kind:     by_value
      - .offset:         136
        .size:           4
        .value_kind:     hidden_block_count_x
      - .offset:         140
        .size:           4
        .value_kind:     hidden_block_count_y
      - .offset:         144
        .size:           4
        .value_kind:     hidden_block_count_z
      - .offset:         148
        .size:           2
        .value_kind:     hidden_group_size_x
      - .offset:         150
        .size:           2
        .value_kind:     hidden_group_size_y
      - .offset:         152
        .size:           2
        .value_kind:     hidden_group_size_z
      - .offset:         154
        .size:           2
        .value_kind:     hidden_remainder_x
      - .offset:         156
        .size:           2
        .value_kind:     hidden_remainder_y
      - .offset:         158
        .size:           2
        .value_kind:     hidden_remainder_z
      - .offset:         176
        .size:           8
        .value_kind:     hidden_global_offset_x
      - .offset:         184
        .size:           8
        .value_kind:     hidden_global_offset_y
      - .offset:         192
        .size:           8
        .value_kind:     hidden_global_offset_z
      - .offset:         200
        .size:           2
        .value_kind:     hidden_grid_dims
    .group_segment_fixed_size: 16384
    .kernarg_segment_align: 8
    .kernarg_segment_size: 392
    .language:       OpenCL C
    .language_version:
      - 2
      - 0
    .max_flat_workgroup_size: 1024
    .name:           _ZL30rocblas_trmm_outofplace_kernelIdLi32ELi2ELb1ELb1ELb1ELb1EPKdS0_dEv17rocblas_diagonal_iiT6_lPT7_lllS5_lllPT8_llli
    .private_segment_fixed_size: 12
    .sgpr_count:     64
    .sgpr_spill_count: 0
    .symbol:         _ZL30rocblas_trmm_outofplace_kernelIdLi32ELi2ELb1ELb1ELb1ELb1EPKdS0_dEv17rocblas_diagonal_iiT6_lPT7_lllS5_lllPT8_llli.kd
    .uniform_work_group_size: 1
    .uses_dynamic_stack: false
    .vgpr_count:     63
    .vgpr_spill_count: 2
    .wavefront_size: 64
  - .args:
      - .offset:         0
        .size:           4
        .value_kind:     by_value
      - .offset:         4
        .size:           4
        .value_kind:     by_value
      - .offset:         8
        .size:           4
        .value_kind:     by_value
      - .offset:         16
        .size:           8
        .value_kind:     by_value
      - .offset:         24
        .size:           8
        .value_kind:     by_value
      - .address_space:  global
        .offset:         32
        .size:           8
        .value_kind:     global_buffer
      - .offset:         40
        .size:           8
        .value_kind:     by_value
      - .offset:         48
        .size:           8
        .value_kind:     by_value
      - .offset:         56
        .size:           8
        .value_kind:     by_value
      - .address_space:  global
        .offset:         64
        .size:           8
        .value_kind:     global_buffer
      - .offset:         72
        .size:           8
        .value_kind:     by_value
      - .offset:         80
        .size:           8
        .value_kind:     by_value
      - .offset:         88
        .size:           8
        .value_kind:     by_value
      - .address_space:  global
        .offset:         96
        .size:           8
        .value_kind:     global_buffer
      - .offset:         104
        .size:           8
        .value_kind:     by_value
      - .offset:         112
        .size:           8
        .value_kind:     by_value
      - .offset:         120
        .size:           8
        .value_kind:     by_value
      - .offset:         128
        .size:           4
        .value_kind:     by_value
      - .offset:         136
        .size:           4
        .value_kind:     hidden_block_count_x
      - .offset:         140
        .size:           4
        .value_kind:     hidden_block_count_y
      - .offset:         144
        .size:           4
        .value_kind:     hidden_block_count_z
      - .offset:         148
        .size:           2
        .value_kind:     hidden_group_size_x
      - .offset:         150
        .size:           2
        .value_kind:     hidden_group_size_y
      - .offset:         152
        .size:           2
        .value_kind:     hidden_group_size_z
      - .offset:         154
        .size:           2
        .value_kind:     hidden_remainder_x
      - .offset:         156
        .size:           2
        .value_kind:     hidden_remainder_y
      - .offset:         158
        .size:           2
        .value_kind:     hidden_remainder_z
      - .offset:         176
        .size:           8
        .value_kind:     hidden_global_offset_x
      - .offset:         184
        .size:           8
        .value_kind:     hidden_global_offset_y
      - .offset:         192
        .size:           8
        .value_kind:     hidden_global_offset_z
      - .offset:         200
        .size:           2
        .value_kind:     hidden_grid_dims
    .group_segment_fixed_size: 16384
    .kernarg_segment_align: 8
    .kernarg_segment_size: 392
    .language:       OpenCL C
    .language_version:
      - 2
      - 0
    .max_flat_workgroup_size: 1024
    .name:           _ZL30rocblas_trmm_outofplace_kernelIdLi32ELi2ELb1ELb1ELb1ELb1EdKddEv17rocblas_diagonal_iiT6_lPT7_lllS4_lllPT8_llli
    .private_segment_fixed_size: 12
    .sgpr_count:     60
    .sgpr_spill_count: 0
    .symbol:         _ZL30rocblas_trmm_outofplace_kernelIdLi32ELi2ELb1ELb1ELb1ELb1EdKddEv17rocblas_diagonal_iiT6_lPT7_lllS4_lllPT8_llli.kd
    .uniform_work_group_size: 1
    .uses_dynamic_stack: false
    .vgpr_count:     63
    .vgpr_spill_count: 2
    .wavefront_size: 64
  - .args:
      - .offset:         0
        .size:           4
        .value_kind:     by_value
      - .offset:         4
        .size:           4
        .value_kind:     by_value
      - .offset:         8
        .size:           4
        .value_kind:     by_value
      - .address_space:  global
        .offset:         16
        .size:           8
        .value_kind:     global_buffer
      - .offset:         24
        .size:           8
        .value_kind:     by_value
      - .address_space:  global
        .offset:         32
        .size:           8
        .value_kind:     global_buffer
      - .offset:         40
        .size:           8
        .value_kind:     by_value
      - .offset:         48
        .size:           8
        .value_kind:     by_value
      - .offset:         56
        .size:           8
        .value_kind:     by_value
      - .address_space:  global
        .offset:         64
        .size:           8
        .value_kind:     global_buffer
      - .offset:         72
        .size:           8
        .value_kind:     by_value
      - .offset:         80
        .size:           8
        .value_kind:     by_value
      - .offset:         88
        .size:           8
        .value_kind:     by_value
      - .address_space:  global
        .offset:         96
        .size:           8
        .value_kind:     global_buffer
      - .offset:         104
        .size:           8
        .value_kind:     by_value
      - .offset:         112
        .size:           8
        .value_kind:     by_value
      - .offset:         120
        .size:           8
        .value_kind:     by_value
      - .offset:         128
        .size:           4
        .value_kind:     by_value
      - .offset:         136
        .size:           4
        .value_kind:     hidden_block_count_x
      - .offset:         140
        .size:           4
        .value_kind:     hidden_block_count_y
      - .offset:         144
        .size:           4
        .value_kind:     hidden_block_count_z
      - .offset:         148
        .size:           2
        .value_kind:     hidden_group_size_x
      - .offset:         150
        .size:           2
        .value_kind:     hidden_group_size_y
      - .offset:         152
        .size:           2
        .value_kind:     hidden_group_size_z
      - .offset:         154
        .size:           2
        .value_kind:     hidden_remainder_x
      - .offset:         156
        .size:           2
        .value_kind:     hidden_remainder_y
      - .offset:         158
        .size:           2
        .value_kind:     hidden_remainder_z
      - .offset:         176
        .size:           8
        .value_kind:     hidden_global_offset_x
      - .offset:         184
        .size:           8
        .value_kind:     hidden_global_offset_y
      - .offset:         192
        .size:           8
        .value_kind:     hidden_global_offset_z
      - .offset:         200
        .size:           2
        .value_kind:     hidden_grid_dims
    .group_segment_fixed_size: 16384
    .kernarg_segment_align: 8
    .kernarg_segment_size: 392
    .language:       OpenCL C
    .language_version:
      - 2
      - 0
    .max_flat_workgroup_size: 1024
    .name:           _ZL30rocblas_trmm_outofplace_kernelIdLi32ELi2ELb0ELb0ELb0ELb0EPKdS0_dEv17rocblas_diagonal_iiT6_lPT7_lllS5_lllPT8_llli
    .private_segment_fixed_size: 28
    .sgpr_count:     72
    .sgpr_spill_count: 0
    .symbol:         _ZL30rocblas_trmm_outofplace_kernelIdLi32ELi2ELb0ELb0ELb0ELb0EPKdS0_dEv17rocblas_diagonal_iiT6_lPT7_lllS5_lllPT8_llli.kd
    .uniform_work_group_size: 1
    .uses_dynamic_stack: false
    .vgpr_count:     64
    .vgpr_spill_count: 6
    .wavefront_size: 64
  - .args:
      - .offset:         0
        .size:           4
        .value_kind:     by_value
      - .offset:         4
        .size:           4
        .value_kind:     by_value
      - .offset:         8
        .size:           4
        .value_kind:     by_value
      - .offset:         16
        .size:           8
        .value_kind:     by_value
      - .offset:         24
        .size:           8
        .value_kind:     by_value
      - .address_space:  global
        .offset:         32
        .size:           8
        .value_kind:     global_buffer
      - .offset:         40
        .size:           8
        .value_kind:     by_value
      - .offset:         48
        .size:           8
        .value_kind:     by_value
      - .offset:         56
        .size:           8
        .value_kind:     by_value
      - .address_space:  global
        .offset:         64
        .size:           8
        .value_kind:     global_buffer
      - .offset:         72
        .size:           8
        .value_kind:     by_value
      - .offset:         80
        .size:           8
        .value_kind:     by_value
      - .offset:         88
        .size:           8
        .value_kind:     by_value
      - .address_space:  global
        .offset:         96
        .size:           8
        .value_kind:     global_buffer
      - .offset:         104
        .size:           8
        .value_kind:     by_value
      - .offset:         112
        .size:           8
        .value_kind:     by_value
      - .offset:         120
        .size:           8
        .value_kind:     by_value
      - .offset:         128
        .size:           4
        .value_kind:     by_value
      - .offset:         136
        .size:           4
        .value_kind:     hidden_block_count_x
      - .offset:         140
        .size:           4
        .value_kind:     hidden_block_count_y
      - .offset:         144
        .size:           4
        .value_kind:     hidden_block_count_z
      - .offset:         148
        .size:           2
        .value_kind:     hidden_group_size_x
      - .offset:         150
        .size:           2
        .value_kind:     hidden_group_size_y
      - .offset:         152
        .size:           2
        .value_kind:     hidden_group_size_z
      - .offset:         154
        .size:           2
        .value_kind:     hidden_remainder_x
      - .offset:         156
        .size:           2
        .value_kind:     hidden_remainder_y
      - .offset:         158
        .size:           2
        .value_kind:     hidden_remainder_z
      - .offset:         176
        .size:           8
        .value_kind:     hidden_global_offset_x
      - .offset:         184
        .size:           8
        .value_kind:     hidden_global_offset_y
      - .offset:         192
        .size:           8
        .value_kind:     hidden_global_offset_z
      - .offset:         200
        .size:           2
        .value_kind:     hidden_grid_dims
    .group_segment_fixed_size: 16384
    .kernarg_segment_align: 8
    .kernarg_segment_size: 392
    .language:       OpenCL C
    .language_version:
      - 2
      - 0
    .max_flat_workgroup_size: 1024
    .name:           _ZL30rocblas_trmm_outofplace_kernelIdLi32ELi2ELb0ELb0ELb0ELb0EdKddEv17rocblas_diagonal_iiT6_lPT7_lllS4_lllPT8_llli
    .private_segment_fixed_size: 28
    .sgpr_count:     72
    .sgpr_spill_count: 0
    .symbol:         _ZL30rocblas_trmm_outofplace_kernelIdLi32ELi2ELb0ELb0ELb0ELb0EdKddEv17rocblas_diagonal_iiT6_lPT7_lllS4_lllPT8_llli.kd
    .uniform_work_group_size: 1
    .uses_dynamic_stack: false
    .vgpr_count:     64
    .vgpr_spill_count: 6
    .wavefront_size: 64
  - .args:
      - .offset:         0
        .size:           4
        .value_kind:     by_value
      - .offset:         4
        .size:           4
        .value_kind:     by_value
      - .offset:         8
        .size:           4
        .value_kind:     by_value
      - .address_space:  global
        .offset:         16
        .size:           8
        .value_kind:     global_buffer
      - .offset:         24
        .size:           8
        .value_kind:     by_value
      - .address_space:  global
        .offset:         32
        .size:           8
        .value_kind:     global_buffer
      - .offset:         40
        .size:           8
        .value_kind:     by_value
      - .offset:         48
        .size:           8
        .value_kind:     by_value
      - .offset:         56
        .size:           8
        .value_kind:     by_value
      - .address_space:  global
        .offset:         64
        .size:           8
        .value_kind:     global_buffer
      - .offset:         72
        .size:           8
        .value_kind:     by_value
      - .offset:         80
        .size:           8
        .value_kind:     by_value
      - .offset:         88
        .size:           8
        .value_kind:     by_value
      - .address_space:  global
        .offset:         96
        .size:           8
        .value_kind:     global_buffer
      - .offset:         104
        .size:           8
        .value_kind:     by_value
      - .offset:         112
        .size:           8
        .value_kind:     by_value
      - .offset:         120
        .size:           8
        .value_kind:     by_value
      - .offset:         128
        .size:           4
        .value_kind:     by_value
      - .offset:         136
        .size:           4
        .value_kind:     hidden_block_count_x
      - .offset:         140
        .size:           4
        .value_kind:     hidden_block_count_y
      - .offset:         144
        .size:           4
        .value_kind:     hidden_block_count_z
      - .offset:         148
        .size:           2
        .value_kind:     hidden_group_size_x
      - .offset:         150
        .size:           2
        .value_kind:     hidden_group_size_y
      - .offset:         152
        .size:           2
        .value_kind:     hidden_group_size_z
      - .offset:         154
        .size:           2
        .value_kind:     hidden_remainder_x
      - .offset:         156
        .size:           2
        .value_kind:     hidden_remainder_y
      - .offset:         158
        .size:           2
        .value_kind:     hidden_remainder_z
      - .offset:         176
        .size:           8
        .value_kind:     hidden_global_offset_x
      - .offset:         184
        .size:           8
        .value_kind:     hidden_global_offset_y
      - .offset:         192
        .size:           8
        .value_kind:     hidden_global_offset_z
      - .offset:         200
        .size:           2
        .value_kind:     hidden_grid_dims
    .group_segment_fixed_size: 16384
    .kernarg_segment_align: 8
    .kernarg_segment_size: 392
    .language:       OpenCL C
    .language_version:
      - 2
      - 0
    .max_flat_workgroup_size: 1024
    .name:           _ZL30rocblas_trmm_outofplace_kernelIdLi32ELi2ELb0ELb1ELb0ELb0EPKdS0_dEv17rocblas_diagonal_iiT6_lPT7_lllS5_lllPT8_llli
    .private_segment_fixed_size: 24
    .sgpr_count:     64
    .sgpr_spill_count: 0
    .symbol:         _ZL30rocblas_trmm_outofplace_kernelIdLi32ELi2ELb0ELb1ELb0ELb0EPKdS0_dEv17rocblas_diagonal_iiT6_lPT7_lllS5_lllPT8_llli.kd
    .uniform_work_group_size: 1
    .uses_dynamic_stack: false
    .vgpr_count:     64
    .vgpr_spill_count: 5
    .wavefront_size: 64
  - .args:
      - .offset:         0
        .size:           4
        .value_kind:     by_value
      - .offset:         4
        .size:           4
        .value_kind:     by_value
      - .offset:         8
        .size:           4
        .value_kind:     by_value
      - .offset:         16
        .size:           8
        .value_kind:     by_value
      - .offset:         24
        .size:           8
        .value_kind:     by_value
      - .address_space:  global
        .offset:         32
        .size:           8
        .value_kind:     global_buffer
      - .offset:         40
        .size:           8
        .value_kind:     by_value
      - .offset:         48
        .size:           8
        .value_kind:     by_value
      - .offset:         56
        .size:           8
        .value_kind:     by_value
      - .address_space:  global
        .offset:         64
        .size:           8
        .value_kind:     global_buffer
      - .offset:         72
        .size:           8
        .value_kind:     by_value
      - .offset:         80
        .size:           8
        .value_kind:     by_value
      - .offset:         88
        .size:           8
        .value_kind:     by_value
      - .address_space:  global
        .offset:         96
        .size:           8
        .value_kind:     global_buffer
      - .offset:         104
        .size:           8
        .value_kind:     by_value
      - .offset:         112
        .size:           8
        .value_kind:     by_value
      - .offset:         120
        .size:           8
        .value_kind:     by_value
      - .offset:         128
        .size:           4
        .value_kind:     by_value
      - .offset:         136
        .size:           4
        .value_kind:     hidden_block_count_x
      - .offset:         140
        .size:           4
        .value_kind:     hidden_block_count_y
      - .offset:         144
        .size:           4
        .value_kind:     hidden_block_count_z
      - .offset:         148
        .size:           2
        .value_kind:     hidden_group_size_x
      - .offset:         150
        .size:           2
        .value_kind:     hidden_group_size_y
      - .offset:         152
        .size:           2
        .value_kind:     hidden_group_size_z
      - .offset:         154
        .size:           2
        .value_kind:     hidden_remainder_x
      - .offset:         156
        .size:           2
        .value_kind:     hidden_remainder_y
      - .offset:         158
        .size:           2
        .value_kind:     hidden_remainder_z
      - .offset:         176
        .size:           8
        .value_kind:     hidden_global_offset_x
      - .offset:         184
        .size:           8
        .value_kind:     hidden_global_offset_y
      - .offset:         192
        .size:           8
        .value_kind:     hidden_global_offset_z
      - .offset:         200
        .size:           2
        .value_kind:     hidden_grid_dims
    .group_segment_fixed_size: 16384
    .kernarg_segment_align: 8
    .kernarg_segment_size: 392
    .language:       OpenCL C
    .language_version:
      - 2
      - 0
    .max_flat_workgroup_size: 1024
    .name:           _ZL30rocblas_trmm_outofplace_kernelIdLi32ELi2ELb0ELb1ELb0ELb0EdKddEv17rocblas_diagonal_iiT6_lPT7_lllS4_lllPT8_llli
    .private_segment_fixed_size: 24
    .sgpr_count:     64
    .sgpr_spill_count: 0
    .symbol:         _ZL30rocblas_trmm_outofplace_kernelIdLi32ELi2ELb0ELb1ELb0ELb0EdKddEv17rocblas_diagonal_iiT6_lPT7_lllS4_lllPT8_llli.kd
    .uniform_work_group_size: 1
    .uses_dynamic_stack: false
    .vgpr_count:     64
    .vgpr_spill_count: 5
    .wavefront_size: 64
  - .args:
      - .offset:         0
        .size:           4
        .value_kind:     by_value
      - .offset:         4
        .size:           4
        .value_kind:     by_value
      - .offset:         8
        .size:           4
        .value_kind:     by_value
      - .address_space:  global
        .offset:         16
        .size:           8
        .value_kind:     global_buffer
      - .offset:         24
        .size:           8
        .value_kind:     by_value
      - .address_space:  global
        .offset:         32
        .size:           8
        .value_kind:     global_buffer
      - .offset:         40
        .size:           8
        .value_kind:     by_value
      - .offset:         48
        .size:           8
        .value_kind:     by_value
      - .offset:         56
        .size:           8
        .value_kind:     by_value
      - .address_space:  global
        .offset:         64
        .size:           8
        .value_kind:     global_buffer
      - .offset:         72
        .size:           8
        .value_kind:     by_value
      - .offset:         80
        .size:           8
        .value_kind:     by_value
      - .offset:         88
        .size:           8
        .value_kind:     by_value
      - .address_space:  global
        .offset:         96
        .size:           8
        .value_kind:     global_buffer
      - .offset:         104
        .size:           8
        .value_kind:     by_value
      - .offset:         112
        .size:           8
        .value_kind:     by_value
      - .offset:         120
        .size:           8
        .value_kind:     by_value
      - .offset:         128
        .size:           4
        .value_kind:     by_value
      - .offset:         136
        .size:           4
        .value_kind:     hidden_block_count_x
      - .offset:         140
        .size:           4
        .value_kind:     hidden_block_count_y
      - .offset:         144
        .size:           4
        .value_kind:     hidden_block_count_z
      - .offset:         148
        .size:           2
        .value_kind:     hidden_group_size_x
      - .offset:         150
        .size:           2
        .value_kind:     hidden_group_size_y
      - .offset:         152
        .size:           2
        .value_kind:     hidden_group_size_z
      - .offset:         154
        .size:           2
        .value_kind:     hidden_remainder_x
      - .offset:         156
        .size:           2
        .value_kind:     hidden_remainder_y
      - .offset:         158
        .size:           2
        .value_kind:     hidden_remainder_z
      - .offset:         176
        .size:           8
        .value_kind:     hidden_global_offset_x
      - .offset:         184
        .size:           8
        .value_kind:     hidden_global_offset_y
      - .offset:         192
        .size:           8
        .value_kind:     hidden_global_offset_z
      - .offset:         200
        .size:           2
        .value_kind:     hidden_grid_dims
    .group_segment_fixed_size: 16384
    .kernarg_segment_align: 8
    .kernarg_segment_size: 392
    .language:       OpenCL C
    .language_version:
      - 2
      - 0
    .max_flat_workgroup_size: 1024
    .name:           _ZL30rocblas_trmm_outofplace_kernelIdLi32ELi2ELb0ELb0ELb1ELb0EPKdS0_dEv17rocblas_diagonal_iiT6_lPT7_lllS5_lllPT8_llli
    .private_segment_fixed_size: 40
    .sgpr_count:     60
    .sgpr_spill_count: 0
    .symbol:         _ZL30rocblas_trmm_outofplace_kernelIdLi32ELi2ELb0ELb0ELb1ELb0EPKdS0_dEv17rocblas_diagonal_iiT6_lPT7_lllS5_lllPT8_llli.kd
    .uniform_work_group_size: 1
    .uses_dynamic_stack: false
    .vgpr_count:     64
    .vgpr_spill_count: 9
    .wavefront_size: 64
  - .args:
      - .offset:         0
        .size:           4
        .value_kind:     by_value
      - .offset:         4
        .size:           4
        .value_kind:     by_value
      - .offset:         8
        .size:           4
        .value_kind:     by_value
      - .offset:         16
        .size:           8
        .value_kind:     by_value
      - .offset:         24
        .size:           8
        .value_kind:     by_value
      - .address_space:  global
        .offset:         32
        .size:           8
        .value_kind:     global_buffer
      - .offset:         40
        .size:           8
        .value_kind:     by_value
      - .offset:         48
        .size:           8
        .value_kind:     by_value
      - .offset:         56
        .size:           8
        .value_kind:     by_value
      - .address_space:  global
        .offset:         64
        .size:           8
        .value_kind:     global_buffer
      - .offset:         72
        .size:           8
        .value_kind:     by_value
      - .offset:         80
        .size:           8
        .value_kind:     by_value
      - .offset:         88
        .size:           8
        .value_kind:     by_value
      - .address_space:  global
        .offset:         96
        .size:           8
        .value_kind:     global_buffer
      - .offset:         104
        .size:           8
        .value_kind:     by_value
      - .offset:         112
        .size:           8
        .value_kind:     by_value
      - .offset:         120
        .size:           8
        .value_kind:     by_value
      - .offset:         128
        .size:           4
        .value_kind:     by_value
      - .offset:         136
        .size:           4
        .value_kind:     hidden_block_count_x
      - .offset:         140
        .size:           4
        .value_kind:     hidden_block_count_y
      - .offset:         144
        .size:           4
        .value_kind:     hidden_block_count_z
      - .offset:         148
        .size:           2
        .value_kind:     hidden_group_size_x
      - .offset:         150
        .size:           2
        .value_kind:     hidden_group_size_y
      - .offset:         152
        .size:           2
        .value_kind:     hidden_group_size_z
      - .offset:         154
        .size:           2
        .value_kind:     hidden_remainder_x
      - .offset:         156
        .size:           2
        .value_kind:     hidden_remainder_y
      - .offset:         158
        .size:           2
        .value_kind:     hidden_remainder_z
      - .offset:         176
        .size:           8
        .value_kind:     hidden_global_offset_x
      - .offset:         184
        .size:           8
        .value_kind:     hidden_global_offset_y
      - .offset:         192
        .size:           8
        .value_kind:     hidden_global_offset_z
      - .offset:         200
        .size:           2
        .value_kind:     hidden_grid_dims
    .group_segment_fixed_size: 16384
    .kernarg_segment_align: 8
    .kernarg_segment_size: 392
    .language:       OpenCL C
    .language_version:
      - 2
      - 0
    .max_flat_workgroup_size: 1024
    .name:           _ZL30rocblas_trmm_outofplace_kernelIdLi32ELi2ELb0ELb0ELb1ELb0EdKddEv17rocblas_diagonal_iiT6_lPT7_lllS4_lllPT8_llli
    .private_segment_fixed_size: 40
    .sgpr_count:     56
    .sgpr_spill_count: 0
    .symbol:         _ZL30rocblas_trmm_outofplace_kernelIdLi32ELi2ELb0ELb0ELb1ELb0EdKddEv17rocblas_diagonal_iiT6_lPT7_lllS4_lllPT8_llli.kd
    .uniform_work_group_size: 1
    .uses_dynamic_stack: false
    .vgpr_count:     64
    .vgpr_spill_count: 9
    .wavefront_size: 64
  - .args:
      - .offset:         0
        .size:           4
        .value_kind:     by_value
      - .offset:         4
        .size:           4
        .value_kind:     by_value
      - .offset:         8
        .size:           4
        .value_kind:     by_value
      - .address_space:  global
        .offset:         16
        .size:           8
        .value_kind:     global_buffer
      - .offset:         24
        .size:           8
        .value_kind:     by_value
      - .address_space:  global
        .offset:         32
        .size:           8
        .value_kind:     global_buffer
      - .offset:         40
        .size:           8
        .value_kind:     by_value
      - .offset:         48
        .size:           8
        .value_kind:     by_value
      - .offset:         56
        .size:           8
        .value_kind:     by_value
      - .address_space:  global
        .offset:         64
        .size:           8
        .value_kind:     global_buffer
      - .offset:         72
        .size:           8
        .value_kind:     by_value
      - .offset:         80
        .size:           8
        .value_kind:     by_value
      - .offset:         88
        .size:           8
        .value_kind:     by_value
      - .address_space:  global
        .offset:         96
        .size:           8
        .value_kind:     global_buffer
      - .offset:         104
        .size:           8
        .value_kind:     by_value
      - .offset:         112
        .size:           8
        .value_kind:     by_value
      - .offset:         120
        .size:           8
        .value_kind:     by_value
      - .offset:         128
        .size:           4
        .value_kind:     by_value
      - .offset:         136
        .size:           4
        .value_kind:     hidden_block_count_x
      - .offset:         140
        .size:           4
        .value_kind:     hidden_block_count_y
      - .offset:         144
        .size:           4
        .value_kind:     hidden_block_count_z
      - .offset:         148
        .size:           2
        .value_kind:     hidden_group_size_x
      - .offset:         150
        .size:           2
        .value_kind:     hidden_group_size_y
      - .offset:         152
        .size:           2
        .value_kind:     hidden_group_size_z
      - .offset:         154
        .size:           2
        .value_kind:     hidden_remainder_x
      - .offset:         156
        .size:           2
        .value_kind:     hidden_remainder_y
      - .offset:         158
        .size:           2
        .value_kind:     hidden_remainder_z
      - .offset:         176
        .size:           8
        .value_kind:     hidden_global_offset_x
      - .offset:         184
        .size:           8
        .value_kind:     hidden_global_offset_y
      - .offset:         192
        .size:           8
        .value_kind:     hidden_global_offset_z
      - .offset:         200
        .size:           2
        .value_kind:     hidden_grid_dims
    .group_segment_fixed_size: 16384
    .kernarg_segment_align: 8
    .kernarg_segment_size: 392
    .language:       OpenCL C
    .language_version:
      - 2
      - 0
    .max_flat_workgroup_size: 1024
    .name:           _ZL30rocblas_trmm_outofplace_kernelIdLi32ELi2ELb0ELb1ELb1ELb0EPKdS0_dEv17rocblas_diagonal_iiT6_lPT7_lllS5_lllPT8_llli
    .private_segment_fixed_size: 28
    .sgpr_count:     72
    .sgpr_spill_count: 0
    .symbol:         _ZL30rocblas_trmm_outofplace_kernelIdLi32ELi2ELb0ELb1ELb1ELb0EPKdS0_dEv17rocblas_diagonal_iiT6_lPT7_lllS5_lllPT8_llli.kd
    .uniform_work_group_size: 1
    .uses_dynamic_stack: false
    .vgpr_count:     64
    .vgpr_spill_count: 6
    .wavefront_size: 64
  - .args:
      - .offset:         0
        .size:           4
        .value_kind:     by_value
      - .offset:         4
        .size:           4
        .value_kind:     by_value
      - .offset:         8
        .size:           4
        .value_kind:     by_value
      - .offset:         16
        .size:           8
        .value_kind:     by_value
      - .offset:         24
        .size:           8
        .value_kind:     by_value
      - .address_space:  global
        .offset:         32
        .size:           8
        .value_kind:     global_buffer
      - .offset:         40
        .size:           8
        .value_kind:     by_value
      - .offset:         48
        .size:           8
        .value_kind:     by_value
      - .offset:         56
        .size:           8
        .value_kind:     by_value
      - .address_space:  global
        .offset:         64
        .size:           8
        .value_kind:     global_buffer
      - .offset:         72
        .size:           8
        .value_kind:     by_value
      - .offset:         80
        .size:           8
        .value_kind:     by_value
      - .offset:         88
        .size:           8
        .value_kind:     by_value
      - .address_space:  global
        .offset:         96
        .size:           8
        .value_kind:     global_buffer
      - .offset:         104
        .size:           8
        .value_kind:     by_value
      - .offset:         112
        .size:           8
        .value_kind:     by_value
      - .offset:         120
        .size:           8
        .value_kind:     by_value
      - .offset:         128
        .size:           4
        .value_kind:     by_value
      - .offset:         136
        .size:           4
        .value_kind:     hidden_block_count_x
      - .offset:         140
        .size:           4
        .value_kind:     hidden_block_count_y
      - .offset:         144
        .size:           4
        .value_kind:     hidden_block_count_z
      - .offset:         148
        .size:           2
        .value_kind:     hidden_group_size_x
      - .offset:         150
        .size:           2
        .value_kind:     hidden_group_size_y
      - .offset:         152
        .size:           2
        .value_kind:     hidden_group_size_z
      - .offset:         154
        .size:           2
        .value_kind:     hidden_remainder_x
      - .offset:         156
        .size:           2
        .value_kind:     hidden_remainder_y
      - .offset:         158
        .size:           2
        .value_kind:     hidden_remainder_z
      - .offset:         176
        .size:           8
        .value_kind:     hidden_global_offset_x
      - .offset:         184
        .size:           8
        .value_kind:     hidden_global_offset_y
      - .offset:         192
        .size:           8
        .value_kind:     hidden_global_offset_z
      - .offset:         200
        .size:           2
        .value_kind:     hidden_grid_dims
    .group_segment_fixed_size: 16384
    .kernarg_segment_align: 8
    .kernarg_segment_size: 392
    .language:       OpenCL C
    .language_version:
      - 2
      - 0
    .max_flat_workgroup_size: 1024
    .name:           _ZL30rocblas_trmm_outofplace_kernelIdLi32ELi2ELb0ELb1ELb1ELb0EdKddEv17rocblas_diagonal_iiT6_lPT7_lllS4_lllPT8_llli
    .private_segment_fixed_size: 28
    .sgpr_count:     72
    .sgpr_spill_count: 0
    .symbol:         _ZL30rocblas_trmm_outofplace_kernelIdLi32ELi2ELb0ELb1ELb1ELb0EdKddEv17rocblas_diagonal_iiT6_lPT7_lllS4_lllPT8_llli.kd
    .uniform_work_group_size: 1
    .uses_dynamic_stack: false
    .vgpr_count:     64
    .vgpr_spill_count: 6
    .wavefront_size: 64
  - .args:
      - .offset:         0
        .size:           4
        .value_kind:     by_value
      - .offset:         4
        .size:           4
        .value_kind:     by_value
      - .offset:         8
        .size:           4
        .value_kind:     by_value
      - .address_space:  global
        .offset:         16
        .size:           8
        .value_kind:     global_buffer
      - .offset:         24
        .size:           8
        .value_kind:     by_value
      - .address_space:  global
        .offset:         32
        .size:           8
        .value_kind:     global_buffer
      - .offset:         40
        .size:           8
        .value_kind:     by_value
      - .offset:         48
        .size:           8
        .value_kind:     by_value
      - .offset:         56
        .size:           8
        .value_kind:     by_value
      - .address_space:  global
        .offset:         64
        .size:           8
        .value_kind:     global_buffer
      - .offset:         72
        .size:           8
        .value_kind:     by_value
      - .offset:         80
        .size:           8
        .value_kind:     by_value
      - .offset:         88
        .size:           8
        .value_kind:     by_value
      - .address_space:  global
        .offset:         96
        .size:           8
        .value_kind:     global_buffer
      - .offset:         104
        .size:           8
        .value_kind:     by_value
      - .offset:         112
        .size:           8
        .value_kind:     by_value
      - .offset:         120
        .size:           8
        .value_kind:     by_value
      - .offset:         128
        .size:           4
        .value_kind:     by_value
      - .offset:         136
        .size:           4
        .value_kind:     hidden_block_count_x
      - .offset:         140
        .size:           4
        .value_kind:     hidden_block_count_y
      - .offset:         144
        .size:           4
        .value_kind:     hidden_block_count_z
      - .offset:         148
        .size:           2
        .value_kind:     hidden_group_size_x
      - .offset:         150
        .size:           2
        .value_kind:     hidden_group_size_y
      - .offset:         152
        .size:           2
        .value_kind:     hidden_group_size_z
      - .offset:         154
        .size:           2
        .value_kind:     hidden_remainder_x
      - .offset:         156
        .size:           2
        .value_kind:     hidden_remainder_y
      - .offset:         158
        .size:           2
        .value_kind:     hidden_remainder_z
      - .offset:         176
        .size:           8
        .value_kind:     hidden_global_offset_x
      - .offset:         184
        .size:           8
        .value_kind:     hidden_global_offset_y
      - .offset:         192
        .size:           8
        .value_kind:     hidden_global_offset_z
      - .offset:         200
        .size:           2
        .value_kind:     hidden_grid_dims
    .group_segment_fixed_size: 16384
    .kernarg_segment_align: 8
    .kernarg_segment_size: 392
    .language:       OpenCL C
    .language_version:
      - 2
      - 0
    .max_flat_workgroup_size: 1024
    .name:           _ZL30rocblas_trmm_outofplace_kernelIdLi32ELi2ELb0ELb0ELb1ELb1EPKdS0_dEv17rocblas_diagonal_iiT6_lPT7_lllS5_lllPT8_llli
    .private_segment_fixed_size: 40
    .sgpr_count:     60
    .sgpr_spill_count: 0
    .symbol:         _ZL30rocblas_trmm_outofplace_kernelIdLi32ELi2ELb0ELb0ELb1ELb1EPKdS0_dEv17rocblas_diagonal_iiT6_lPT7_lllS5_lllPT8_llli.kd
    .uniform_work_group_size: 1
    .uses_dynamic_stack: false
    .vgpr_count:     64
    .vgpr_spill_count: 9
    .wavefront_size: 64
  - .args:
      - .offset:         0
        .size:           4
        .value_kind:     by_value
      - .offset:         4
        .size:           4
        .value_kind:     by_value
      - .offset:         8
        .size:           4
        .value_kind:     by_value
      - .offset:         16
        .size:           8
        .value_kind:     by_value
      - .offset:         24
        .size:           8
        .value_kind:     by_value
      - .address_space:  global
        .offset:         32
        .size:           8
        .value_kind:     global_buffer
      - .offset:         40
        .size:           8
        .value_kind:     by_value
      - .offset:         48
        .size:           8
        .value_kind:     by_value
      - .offset:         56
        .size:           8
        .value_kind:     by_value
      - .address_space:  global
        .offset:         64
        .size:           8
        .value_kind:     global_buffer
      - .offset:         72
        .size:           8
        .value_kind:     by_value
      - .offset:         80
        .size:           8
        .value_kind:     by_value
      - .offset:         88
        .size:           8
        .value_kind:     by_value
      - .address_space:  global
        .offset:         96
        .size:           8
        .value_kind:     global_buffer
      - .offset:         104
        .size:           8
        .value_kind:     by_value
      - .offset:         112
        .size:           8
        .value_kind:     by_value
      - .offset:         120
        .size:           8
        .value_kind:     by_value
      - .offset:         128
        .size:           4
        .value_kind:     by_value
      - .offset:         136
        .size:           4
        .value_kind:     hidden_block_count_x
      - .offset:         140
        .size:           4
        .value_kind:     hidden_block_count_y
      - .offset:         144
        .size:           4
        .value_kind:     hidden_block_count_z
      - .offset:         148
        .size:           2
        .value_kind:     hidden_group_size_x
      - .offset:         150
        .size:           2
        .value_kind:     hidden_group_size_y
      - .offset:         152
        .size:           2
        .value_kind:     hidden_group_size_z
      - .offset:         154
        .size:           2
        .value_kind:     hidden_remainder_x
      - .offset:         156
        .size:           2
        .value_kind:     hidden_remainder_y
      - .offset:         158
        .size:           2
        .value_kind:     hidden_remainder_z
      - .offset:         176
        .size:           8
        .value_kind:     hidden_global_offset_x
      - .offset:         184
        .size:           8
        .value_kind:     hidden_global_offset_y
      - .offset:         192
        .size:           8
        .value_kind:     hidden_global_offset_z
      - .offset:         200
        .size:           2
        .value_kind:     hidden_grid_dims
    .group_segment_fixed_size: 16384
    .kernarg_segment_align: 8
    .kernarg_segment_size: 392
    .language:       OpenCL C
    .language_version:
      - 2
      - 0
    .max_flat_workgroup_size: 1024
    .name:           _ZL30rocblas_trmm_outofplace_kernelIdLi32ELi2ELb0ELb0ELb1ELb1EdKddEv17rocblas_diagonal_iiT6_lPT7_lllS4_lllPT8_llli
    .private_segment_fixed_size: 40
    .sgpr_count:     56
    .sgpr_spill_count: 0
    .symbol:         _ZL30rocblas_trmm_outofplace_kernelIdLi32ELi2ELb0ELb0ELb1ELb1EdKddEv17rocblas_diagonal_iiT6_lPT7_lllS4_lllPT8_llli.kd
    .uniform_work_group_size: 1
    .uses_dynamic_stack: false
    .vgpr_count:     64
    .vgpr_spill_count: 9
    .wavefront_size: 64
  - .args:
      - .offset:         0
        .size:           4
        .value_kind:     by_value
      - .offset:         4
        .size:           4
        .value_kind:     by_value
      - .offset:         8
        .size:           4
        .value_kind:     by_value
      - .address_space:  global
        .offset:         16
        .size:           8
        .value_kind:     global_buffer
      - .offset:         24
        .size:           8
        .value_kind:     by_value
      - .address_space:  global
        .offset:         32
        .size:           8
        .value_kind:     global_buffer
      - .offset:         40
        .size:           8
        .value_kind:     by_value
      - .offset:         48
        .size:           8
        .value_kind:     by_value
      - .offset:         56
        .size:           8
        .value_kind:     by_value
      - .address_space:  global
        .offset:         64
        .size:           8
        .value_kind:     global_buffer
      - .offset:         72
        .size:           8
        .value_kind:     by_value
      - .offset:         80
        .size:           8
        .value_kind:     by_value
      - .offset:         88
        .size:           8
        .value_kind:     by_value
      - .address_space:  global
        .offset:         96
        .size:           8
        .value_kind:     global_buffer
      - .offset:         104
        .size:           8
        .value_kind:     by_value
      - .offset:         112
        .size:           8
        .value_kind:     by_value
      - .offset:         120
        .size:           8
        .value_kind:     by_value
      - .offset:         128
        .size:           4
        .value_kind:     by_value
      - .offset:         136
        .size:           4
        .value_kind:     hidden_block_count_x
      - .offset:         140
        .size:           4
        .value_kind:     hidden_block_count_y
      - .offset:         144
        .size:           4
        .value_kind:     hidden_block_count_z
      - .offset:         148
        .size:           2
        .value_kind:     hidden_group_size_x
      - .offset:         150
        .size:           2
        .value_kind:     hidden_group_size_y
      - .offset:         152
        .size:           2
        .value_kind:     hidden_group_size_z
      - .offset:         154
        .size:           2
        .value_kind:     hidden_remainder_x
      - .offset:         156
        .size:           2
        .value_kind:     hidden_remainder_y
      - .offset:         158
        .size:           2
        .value_kind:     hidden_remainder_z
      - .offset:         176
        .size:           8
        .value_kind:     hidden_global_offset_x
      - .offset:         184
        .size:           8
        .value_kind:     hidden_global_offset_y
      - .offset:         192
        .size:           8
        .value_kind:     hidden_global_offset_z
      - .offset:         200
        .size:           2
        .value_kind:     hidden_grid_dims
    .group_segment_fixed_size: 16384
    .kernarg_segment_align: 8
    .kernarg_segment_size: 392
    .language:       OpenCL C
    .language_version:
      - 2
      - 0
    .max_flat_workgroup_size: 1024
    .name:           _ZL30rocblas_trmm_outofplace_kernelIdLi32ELi2ELb0ELb1ELb1ELb1EPKdS0_dEv17rocblas_diagonal_iiT6_lPT7_lllS5_lllPT8_llli
    .private_segment_fixed_size: 28
    .sgpr_count:     72
    .sgpr_spill_count: 0
    .symbol:         _ZL30rocblas_trmm_outofplace_kernelIdLi32ELi2ELb0ELb1ELb1ELb1EPKdS0_dEv17rocblas_diagonal_iiT6_lPT7_lllS5_lllPT8_llli.kd
    .uniform_work_group_size: 1
    .uses_dynamic_stack: false
    .vgpr_count:     64
    .vgpr_spill_count: 6
    .wavefront_size: 64
  - .args:
      - .offset:         0
        .size:           4
        .value_kind:     by_value
      - .offset:         4
        .size:           4
        .value_kind:     by_value
      - .offset:         8
        .size:           4
        .value_kind:     by_value
      - .offset:         16
        .size:           8
        .value_kind:     by_value
      - .offset:         24
        .size:           8
        .value_kind:     by_value
      - .address_space:  global
        .offset:         32
        .size:           8
        .value_kind:     global_buffer
      - .offset:         40
        .size:           8
        .value_kind:     by_value
      - .offset:         48
        .size:           8
        .value_kind:     by_value
      - .offset:         56
        .size:           8
        .value_kind:     by_value
      - .address_space:  global
        .offset:         64
        .size:           8
        .value_kind:     global_buffer
      - .offset:         72
        .size:           8
        .value_kind:     by_value
      - .offset:         80
        .size:           8
        .value_kind:     by_value
      - .offset:         88
        .size:           8
        .value_kind:     by_value
      - .address_space:  global
        .offset:         96
        .size:           8
        .value_kind:     global_buffer
      - .offset:         104
        .size:           8
        .value_kind:     by_value
      - .offset:         112
        .size:           8
        .value_kind:     by_value
      - .offset:         120
        .size:           8
        .value_kind:     by_value
      - .offset:         128
        .size:           4
        .value_kind:     by_value
      - .offset:         136
        .size:           4
        .value_kind:     hidden_block_count_x
      - .offset:         140
        .size:           4
        .value_kind:     hidden_block_count_y
      - .offset:         144
        .size:           4
        .value_kind:     hidden_block_count_z
      - .offset:         148
        .size:           2
        .value_kind:     hidden_group_size_x
      - .offset:         150
        .size:           2
        .value_kind:     hidden_group_size_y
      - .offset:         152
        .size:           2
        .value_kind:     hidden_group_size_z
      - .offset:         154
        .size:           2
        .value_kind:     hidden_remainder_x
      - .offset:         156
        .size:           2
        .value_kind:     hidden_remainder_y
      - .offset:         158
        .size:           2
        .value_kind:     hidden_remainder_z
      - .offset:         176
        .size:           8
        .value_kind:     hidden_global_offset_x
      - .offset:         184
        .size:           8
        .value_kind:     hidden_global_offset_y
      - .offset:         192
        .size:           8
        .value_kind:     hidden_global_offset_z
      - .offset:         200
        .size:           2
        .value_kind:     hidden_grid_dims
    .group_segment_fixed_size: 16384
    .kernarg_segment_align: 8
    .kernarg_segment_size: 392
    .language:       OpenCL C
    .language_version:
      - 2
      - 0
    .max_flat_workgroup_size: 1024
    .name:           _ZL30rocblas_trmm_outofplace_kernelIdLi32ELi2ELb0ELb1ELb1ELb1EdKddEv17rocblas_diagonal_iiT6_lPT7_lllS4_lllPT8_llli
    .private_segment_fixed_size: 28
    .sgpr_count:     72
    .sgpr_spill_count: 0
    .symbol:         _ZL30rocblas_trmm_outofplace_kernelIdLi32ELi2ELb0ELb1ELb1ELb1EdKddEv17rocblas_diagonal_iiT6_lPT7_lllS4_lllPT8_llli.kd
    .uniform_work_group_size: 1
    .uses_dynamic_stack: false
    .vgpr_count:     64
    .vgpr_spill_count: 6
    .wavefront_size: 64
  - .args:
      - .offset:         0
        .size:           4
        .value_kind:     by_value
      - .offset:         4
        .size:           4
        .value_kind:     by_value
      - .offset:         8
        .size:           4
        .value_kind:     by_value
      - .offset:         12
        .size:           4
        .value_kind:     by_value
      - .address_space:  global
        .offset:         16
        .size:           8
        .value_kind:     global_buffer
      - .offset:         24
        .size:           8
        .value_kind:     by_value
      - .address_space:  global
        .offset:         32
        .size:           8
        .value_kind:     global_buffer
      - .offset:         40
        .size:           8
        .value_kind:     by_value
      - .offset:         48
        .size:           8
        .value_kind:     by_value
      - .address_space:  global
        .offset:         56
        .size:           8
        .value_kind:     global_buffer
      - .offset:         64
        .size:           8
        .value_kind:     by_value
      - .offset:         72
        .size:           8
        .value_kind:     by_value
      - .address_space:  global
        .offset:         80
        .size:           8
        .value_kind:     global_buffer
      - .offset:         88
        .size:           8
        .value_kind:     by_value
      - .offset:         96
        .size:           8
        .value_kind:     by_value
      - .offset:         104
        .size:           4
        .value_kind:     by_value
    .group_segment_fixed_size: 16384
    .kernarg_segment_align: 8
    .kernarg_segment_size: 108
    .language:       OpenCL C
    .language_version:
      - 2
      - 0
    .max_flat_workgroup_size: 1024
    .name:           _ZL23rocblas_trmm_lNx_kernelILi32EdPKdS0_dEv13rocblas_fill_17rocblas_diagonal_iiT1_lPT2_llS6_llPT3_lli
    .private_segment_fixed_size: 0
    .sgpr_count:     30
    .sgpr_spill_count: 0
    .symbol:         _ZL23rocblas_trmm_lNx_kernelILi32EdPKdS0_dEv13rocblas_fill_17rocblas_diagonal_iiT1_lPT2_llS6_llPT3_lli.kd
    .uniform_work_group_size: 1
    .uses_dynamic_stack: false
    .vgpr_count:     19
    .vgpr_spill_count: 0
    .wavefront_size: 64
  - .args:
      - .offset:         0
        .size:           4
        .value_kind:     by_value
      - .offset:         4
        .size:           4
        .value_kind:     by_value
      - .offset:         8
        .size:           4
        .value_kind:     by_value
      - .offset:         12
        .size:           4
        .value_kind:     by_value
      - .offset:         16
        .size:           8
        .value_kind:     by_value
      - .offset:         24
        .size:           8
        .value_kind:     by_value
      - .address_space:  global
        .offset:         32
        .size:           8
        .value_kind:     global_buffer
      - .offset:         40
        .size:           8
        .value_kind:     by_value
      - .offset:         48
        .size:           8
        .value_kind:     by_value
      - .address_space:  global
        .offset:         56
        .size:           8
        .value_kind:     global_buffer
      - .offset:         64
        .size:           8
        .value_kind:     by_value
      - .offset:         72
        .size:           8
        .value_kind:     by_value
      - .address_space:  global
        .offset:         80
        .size:           8
        .value_kind:     global_buffer
      - .offset:         88
        .size:           8
        .value_kind:     by_value
      - .offset:         96
        .size:           8
        .value_kind:     by_value
      - .offset:         104
        .size:           4
        .value_kind:     by_value
    .group_segment_fixed_size: 16384
    .kernarg_segment_align: 8
    .kernarg_segment_size: 108
    .language:       OpenCL C
    .language_version:
      - 2
      - 0
    .max_flat_workgroup_size: 1024
    .name:           _ZL23rocblas_trmm_lNx_kernelILi32EddKddEv13rocblas_fill_17rocblas_diagonal_iiT1_lPT2_llS5_llPT3_lli
    .private_segment_fixed_size: 0
    .sgpr_count:     34
    .sgpr_spill_count: 0
    .symbol:         _ZL23rocblas_trmm_lNx_kernelILi32EddKddEv13rocblas_fill_17rocblas_diagonal_iiT1_lPT2_llS5_llPT3_lli.kd
    .uniform_work_group_size: 1
    .uses_dynamic_stack: false
    .vgpr_count:     18
    .vgpr_spill_count: 0
    .wavefront_size: 64
  - .args:
      - .offset:         0
        .size:           4
        .value_kind:     by_value
      - .offset:         4
        .size:           4
        .value_kind:     by_value
      - .offset:         8
        .size:           4
        .value_kind:     by_value
      - .offset:         12
        .size:           4
        .value_kind:     by_value
      - .address_space:  global
        .offset:         16
        .size:           8
        .value_kind:     global_buffer
      - .offset:         24
        .size:           8
        .value_kind:     by_value
      - .address_space:  global
        .offset:         32
        .size:           8
        .value_kind:     global_buffer
      - .offset:         40
        .size:           8
        .value_kind:     by_value
      - .offset:         48
        .size:           8
        .value_kind:     by_value
      - .address_space:  global
        .offset:         56
        .size:           8
        .value_kind:     global_buffer
      - .offset:         64
        .size:           8
        .value_kind:     by_value
      - .offset:         72
        .size:           8
        .value_kind:     by_value
      - .address_space:  global
        .offset:         80
        .size:           8
        .value_kind:     global_buffer
      - .offset:         88
        .size:           8
        .value_kind:     by_value
      - .offset:         96
        .size:           8
        .value_kind:     by_value
      - .offset:         104
        .size:           4
        .value_kind:     by_value
    .group_segment_fixed_size: 16384
    .kernarg_segment_align: 8
    .kernarg_segment_size: 108
    .language:       OpenCL C
    .language_version:
      - 2
      - 0
    .max_flat_workgroup_size: 1024
    .name:           _ZL23rocblas_trmm_lTx_kernelILi32ELb0EdPKdS0_dEv13rocblas_fill_17rocblas_diagonal_iiT2_lPT3_llS6_llPT4_lli
    .private_segment_fixed_size: 0
    .sgpr_count:     30
    .sgpr_spill_count: 0
    .symbol:         _ZL23rocblas_trmm_lTx_kernelILi32ELb0EdPKdS0_dEv13rocblas_fill_17rocblas_diagonal_iiT2_lPT3_llS6_llPT4_lli.kd
    .uniform_work_group_size: 1
    .uses_dynamic_stack: false
    .vgpr_count:     19
    .vgpr_spill_count: 0
    .wavefront_size: 64
  - .args:
      - .offset:         0
        .size:           4
        .value_kind:     by_value
      - .offset:         4
        .size:           4
        .value_kind:     by_value
      - .offset:         8
        .size:           4
        .value_kind:     by_value
      - .offset:         12
        .size:           4
        .value_kind:     by_value
      - .offset:         16
        .size:           8
        .value_kind:     by_value
      - .offset:         24
        .size:           8
        .value_kind:     by_value
      - .address_space:  global
        .offset:         32
        .size:           8
        .value_kind:     global_buffer
      - .offset:         40
        .size:           8
        .value_kind:     by_value
      - .offset:         48
        .size:           8
        .value_kind:     by_value
      - .address_space:  global
        .offset:         56
        .size:           8
        .value_kind:     global_buffer
      - .offset:         64
        .size:           8
        .value_kind:     by_value
      - .offset:         72
        .size:           8
        .value_kind:     by_value
      - .address_space:  global
        .offset:         80
        .size:           8
        .value_kind:     global_buffer
      - .offset:         88
        .size:           8
        .value_kind:     by_value
      - .offset:         96
        .size:           8
        .value_kind:     by_value
      - .offset:         104
        .size:           4
        .value_kind:     by_value
    .group_segment_fixed_size: 16384
    .kernarg_segment_align: 8
    .kernarg_segment_size: 108
    .language:       OpenCL C
    .language_version:
      - 2
      - 0
    .max_flat_workgroup_size: 1024
    .name:           _ZL23rocblas_trmm_lTx_kernelILi32ELb0EddKddEv13rocblas_fill_17rocblas_diagonal_iiT2_lPT3_llS5_llPT4_lli
    .private_segment_fixed_size: 0
    .sgpr_count:     34
    .sgpr_spill_count: 0
    .symbol:         _ZL23rocblas_trmm_lTx_kernelILi32ELb0EddKddEv13rocblas_fill_17rocblas_diagonal_iiT2_lPT3_llS5_llPT4_lli.kd
    .uniform_work_group_size: 1
    .uses_dynamic_stack: false
    .vgpr_count:     18
    .vgpr_spill_count: 0
    .wavefront_size: 64
  - .args:
      - .offset:         0
        .size:           4
        .value_kind:     by_value
      - .offset:         4
        .size:           4
        .value_kind:     by_value
      - .offset:         8
        .size:           4
        .value_kind:     by_value
      - .offset:         12
        .size:           4
        .value_kind:     by_value
      - .address_space:  global
        .offset:         16
        .size:           8
        .value_kind:     global_buffer
      - .offset:         24
        .size:           8
        .value_kind:     by_value
      - .address_space:  global
        .offset:         32
        .size:           8
        .value_kind:     global_buffer
      - .offset:         40
        .size:           8
        .value_kind:     by_value
      - .offset:         48
        .size:           8
        .value_kind:     by_value
      - .address_space:  global
        .offset:         56
        .size:           8
        .value_kind:     global_buffer
      - .offset:         64
        .size:           8
        .value_kind:     by_value
      - .offset:         72
        .size:           8
        .value_kind:     by_value
      - .address_space:  global
        .offset:         80
        .size:           8
        .value_kind:     global_buffer
      - .offset:         88
        .size:           8
        .value_kind:     by_value
      - .offset:         96
        .size:           8
        .value_kind:     by_value
      - .offset:         104
        .size:           4
        .value_kind:     by_value
    .group_segment_fixed_size: 16384
    .kernarg_segment_align: 8
    .kernarg_segment_size: 108
    .language:       OpenCL C
    .language_version:
      - 2
      - 0
    .max_flat_workgroup_size: 1024
    .name:           _ZL23rocblas_trmm_lTx_kernelILi32ELb1EdPKdS0_dEv13rocblas_fill_17rocblas_diagonal_iiT2_lPT3_llS6_llPT4_lli
    .private_segment_fixed_size: 0
    .sgpr_count:     30
    .sgpr_spill_count: 0
    .symbol:         _ZL23rocblas_trmm_lTx_kernelILi32ELb1EdPKdS0_dEv13rocblas_fill_17rocblas_diagonal_iiT2_lPT3_llS6_llPT4_lli.kd
    .uniform_work_group_size: 1
    .uses_dynamic_stack: false
    .vgpr_count:     19
    .vgpr_spill_count: 0
    .wavefront_size: 64
  - .args:
      - .offset:         0
        .size:           4
        .value_kind:     by_value
      - .offset:         4
        .size:           4
        .value_kind:     by_value
      - .offset:         8
        .size:           4
        .value_kind:     by_value
      - .offset:         12
        .size:           4
        .value_kind:     by_value
      - .offset:         16
        .size:           8
        .value_kind:     by_value
      - .offset:         24
        .size:           8
        .value_kind:     by_value
      - .address_space:  global
        .offset:         32
        .size:           8
        .value_kind:     global_buffer
      - .offset:         40
        .size:           8
        .value_kind:     by_value
      - .offset:         48
        .size:           8
        .value_kind:     by_value
      - .address_space:  global
        .offset:         56
        .size:           8
        .value_kind:     global_buffer
      - .offset:         64
        .size:           8
        .value_kind:     by_value
      - .offset:         72
        .size:           8
        .value_kind:     by_value
      - .address_space:  global
        .offset:         80
        .size:           8
        .value_kind:     global_buffer
      - .offset:         88
        .size:           8
        .value_kind:     by_value
      - .offset:         96
        .size:           8
        .value_kind:     by_value
      - .offset:         104
        .size:           4
        .value_kind:     by_value
    .group_segment_fixed_size: 16384
    .kernarg_segment_align: 8
    .kernarg_segment_size: 108
    .language:       OpenCL C
    .language_version:
      - 2
      - 0
    .max_flat_workgroup_size: 1024
    .name:           _ZL23rocblas_trmm_lTx_kernelILi32ELb1EddKddEv13rocblas_fill_17rocblas_diagonal_iiT2_lPT3_llS5_llPT4_lli
    .private_segment_fixed_size: 0
    .sgpr_count:     34
    .sgpr_spill_count: 0
    .symbol:         _ZL23rocblas_trmm_lTx_kernelILi32ELb1EddKddEv13rocblas_fill_17rocblas_diagonal_iiT2_lPT3_llS5_llPT4_lli.kd
    .uniform_work_group_size: 1
    .uses_dynamic_stack: false
    .vgpr_count:     18
    .vgpr_spill_count: 0
    .wavefront_size: 64
  - .args:
      - .offset:         0
        .size:           4
        .value_kind:     by_value
      - .offset:         4
        .size:           4
        .value_kind:     by_value
      - .offset:         8
        .size:           4
        .value_kind:     by_value
      - .offset:         12
        .size:           4
        .value_kind:     by_value
      - .address_space:  global
        .offset:         16
        .size:           8
        .value_kind:     global_buffer
      - .offset:         24
        .size:           8
        .value_kind:     by_value
      - .address_space:  global
        .offset:         32
        .size:           8
        .value_kind:     global_buffer
      - .offset:         40
        .size:           8
        .value_kind:     by_value
      - .offset:         48
        .size:           8
        .value_kind:     by_value
      - .address_space:  global
        .offset:         56
        .size:           8
        .value_kind:     global_buffer
      - .offset:         64
        .size:           8
        .value_kind:     by_value
      - .offset:         72
        .size:           8
        .value_kind:     by_value
      - .address_space:  global
        .offset:         80
        .size:           8
        .value_kind:     global_buffer
      - .offset:         88
        .size:           8
        .value_kind:     by_value
      - .offset:         96
        .size:           8
        .value_kind:     by_value
      - .offset:         104
        .size:           4
        .value_kind:     by_value
    .group_segment_fixed_size: 16384
    .kernarg_segment_align: 8
    .kernarg_segment_size: 108
    .language:       OpenCL C
    .language_version:
      - 2
      - 0
    .max_flat_workgroup_size: 1024
    .name:           _ZL23rocblas_trmm_rNx_kernelILi32EdPKdS0_dEv13rocblas_fill_17rocblas_diagonal_iiT1_lPT2_llS6_llPT3_lli
    .private_segment_fixed_size: 0
    .sgpr_count:     30
    .sgpr_spill_count: 0
    .symbol:         _ZL23rocblas_trmm_rNx_kernelILi32EdPKdS0_dEv13rocblas_fill_17rocblas_diagonal_iiT1_lPT2_llS6_llPT3_lli.kd
    .uniform_work_group_size: 1
    .uses_dynamic_stack: false
    .vgpr_count:     18
    .vgpr_spill_count: 0
    .wavefront_size: 64
  - .args:
      - .offset:         0
        .size:           4
        .value_kind:     by_value
      - .offset:         4
        .size:           4
        .value_kind:     by_value
      - .offset:         8
        .size:           4
        .value_kind:     by_value
      - .offset:         12
        .size:           4
        .value_kind:     by_value
      - .offset:         16
        .size:           8
        .value_kind:     by_value
      - .offset:         24
        .size:           8
        .value_kind:     by_value
      - .address_space:  global
        .offset:         32
        .size:           8
        .value_kind:     global_buffer
      - .offset:         40
        .size:           8
        .value_kind:     by_value
      - .offset:         48
        .size:           8
        .value_kind:     by_value
      - .address_space:  global
        .offset:         56
        .size:           8
        .value_kind:     global_buffer
      - .offset:         64
        .size:           8
        .value_kind:     by_value
      - .offset:         72
        .size:           8
        .value_kind:     by_value
      - .address_space:  global
        .offset:         80
        .size:           8
        .value_kind:     global_buffer
      - .offset:         88
        .size:           8
        .value_kind:     by_value
      - .offset:         96
        .size:           8
        .value_kind:     by_value
      - .offset:         104
        .size:           4
        .value_kind:     by_value
    .group_segment_fixed_size: 16384
    .kernarg_segment_align: 8
    .kernarg_segment_size: 108
    .language:       OpenCL C
    .language_version:
      - 2
      - 0
    .max_flat_workgroup_size: 1024
    .name:           _ZL23rocblas_trmm_rNx_kernelILi32EddKddEv13rocblas_fill_17rocblas_diagonal_iiT1_lPT2_llS5_llPT3_lli
    .private_segment_fixed_size: 0
    .sgpr_count:     34
    .sgpr_spill_count: 0
    .symbol:         _ZL23rocblas_trmm_rNx_kernelILi32EddKddEv13rocblas_fill_17rocblas_diagonal_iiT1_lPT2_llS5_llPT3_lli.kd
    .uniform_work_group_size: 1
    .uses_dynamic_stack: false
    .vgpr_count:     18
    .vgpr_spill_count: 0
    .wavefront_size: 64
  - .args:
      - .offset:         0
        .size:           4
        .value_kind:     by_value
      - .offset:         4
        .size:           4
        .value_kind:     by_value
      - .offset:         8
        .size:           4
        .value_kind:     by_value
      - .offset:         12
        .size:           4
        .value_kind:     by_value
      - .address_space:  global
        .offset:         16
        .size:           8
        .value_kind:     global_buffer
      - .offset:         24
        .size:           8
        .value_kind:     by_value
      - .address_space:  global
        .offset:         32
        .size:           8
        .value_kind:     global_buffer
      - .offset:         40
        .size:           8
        .value_kind:     by_value
      - .offset:         48
        .size:           8
        .value_kind:     by_value
      - .address_space:  global
        .offset:         56
        .size:           8
        .value_kind:     global_buffer
      - .offset:         64
        .size:           8
        .value_kind:     by_value
      - .offset:         72
        .size:           8
        .value_kind:     by_value
      - .address_space:  global
        .offset:         80
        .size:           8
        .value_kind:     global_buffer
      - .offset:         88
        .size:           8
        .value_kind:     by_value
      - .offset:         96
        .size:           8
        .value_kind:     by_value
      - .offset:         104
        .size:           4
        .value_kind:     by_value
    .group_segment_fixed_size: 16384
    .kernarg_segment_align: 8
    .kernarg_segment_size: 108
    .language:       OpenCL C
    .language_version:
      - 2
      - 0
    .max_flat_workgroup_size: 1024
    .name:           _ZL23rocblas_trmm_rTx_kernelILi32ELb0EdPKdS0_dEv13rocblas_fill_17rocblas_diagonal_iiT2_lPT3_llS6_llPT4_lli
    .private_segment_fixed_size: 0
    .sgpr_count:     30
    .sgpr_spill_count: 0
    .symbol:         _ZL23rocblas_trmm_rTx_kernelILi32ELb0EdPKdS0_dEv13rocblas_fill_17rocblas_diagonal_iiT2_lPT3_llS6_llPT4_lli.kd
    .uniform_work_group_size: 1
    .uses_dynamic_stack: false
    .vgpr_count:     15
    .vgpr_spill_count: 0
    .wavefront_size: 64
  - .args:
      - .offset:         0
        .size:           4
        .value_kind:     by_value
      - .offset:         4
        .size:           4
        .value_kind:     by_value
      - .offset:         8
        .size:           4
        .value_kind:     by_value
      - .offset:         12
        .size:           4
        .value_kind:     by_value
      - .offset:         16
        .size:           8
        .value_kind:     by_value
      - .offset:         24
        .size:           8
        .value_kind:     by_value
      - .address_space:  global
        .offset:         32
        .size:           8
        .value_kind:     global_buffer
      - .offset:         40
        .size:           8
        .value_kind:     by_value
      - .offset:         48
        .size:           8
        .value_kind:     by_value
      - .address_space:  global
        .offset:         56
        .size:           8
        .value_kind:     global_buffer
      - .offset:         64
        .size:           8
        .value_kind:     by_value
      - .offset:         72
        .size:           8
        .value_kind:     by_value
      - .address_space:  global
        .offset:         80
        .size:           8
        .value_kind:     global_buffer
      - .offset:         88
        .size:           8
        .value_kind:     by_value
      - .offset:         96
        .size:           8
        .value_kind:     by_value
      - .offset:         104
        .size:           4
        .value_kind:     by_value
    .group_segment_fixed_size: 16384
    .kernarg_segment_align: 8
    .kernarg_segment_size: 108
    .language:       OpenCL C
    .language_version:
      - 2
      - 0
    .max_flat_workgroup_size: 1024
    .name:           _ZL23rocblas_trmm_rTx_kernelILi32ELb0EddKddEv13rocblas_fill_17rocblas_diagonal_iiT2_lPT3_llS5_llPT4_lli
    .private_segment_fixed_size: 0
    .sgpr_count:     34
    .sgpr_spill_count: 0
    .symbol:         _ZL23rocblas_trmm_rTx_kernelILi32ELb0EddKddEv13rocblas_fill_17rocblas_diagonal_iiT2_lPT3_llS5_llPT4_lli.kd
    .uniform_work_group_size: 1
    .uses_dynamic_stack: false
    .vgpr_count:     16
    .vgpr_spill_count: 0
    .wavefront_size: 64
  - .args:
      - .offset:         0
        .size:           4
        .value_kind:     by_value
      - .offset:         4
        .size:           4
        .value_kind:     by_value
      - .offset:         8
        .size:           4
        .value_kind:     by_value
      - .offset:         12
        .size:           4
        .value_kind:     by_value
      - .address_space:  global
        .offset:         16
        .size:           8
        .value_kind:     global_buffer
      - .offset:         24
        .size:           8
        .value_kind:     by_value
      - .address_space:  global
        .offset:         32
        .size:           8
        .value_kind:     global_buffer
      - .offset:         40
        .size:           8
        .value_kind:     by_value
      - .offset:         48
        .size:           8
        .value_kind:     by_value
      - .address_space:  global
        .offset:         56
        .size:           8
        .value_kind:     global_buffer
      - .offset:         64
        .size:           8
        .value_kind:     by_value
      - .offset:         72
        .size:           8
        .value_kind:     by_value
      - .address_space:  global
        .offset:         80
        .size:           8
        .value_kind:     global_buffer
      - .offset:         88
        .size:           8
        .value_kind:     by_value
      - .offset:         96
        .size:           8
        .value_kind:     by_value
      - .offset:         104
        .size:           4
        .value_kind:     by_value
    .group_segment_fixed_size: 16384
    .kernarg_segment_align: 8
    .kernarg_segment_size: 108
    .language:       OpenCL C
    .language_version:
      - 2
      - 0
    .max_flat_workgroup_size: 1024
    .name:           _ZL23rocblas_trmm_rTx_kernelILi32ELb1EdPKdS0_dEv13rocblas_fill_17rocblas_diagonal_iiT2_lPT3_llS6_llPT4_lli
    .private_segment_fixed_size: 0
    .sgpr_count:     30
    .sgpr_spill_count: 0
    .symbol:         _ZL23rocblas_trmm_rTx_kernelILi32ELb1EdPKdS0_dEv13rocblas_fill_17rocblas_diagonal_iiT2_lPT3_llS6_llPT4_lli.kd
    .uniform_work_group_size: 1
    .uses_dynamic_stack: false
    .vgpr_count:     15
    .vgpr_spill_count: 0
    .wavefront_size: 64
  - .args:
      - .offset:         0
        .size:           4
        .value_kind:     by_value
      - .offset:         4
        .size:           4
        .value_kind:     by_value
      - .offset:         8
        .size:           4
        .value_kind:     by_value
      - .offset:         12
        .size:           4
        .value_kind:     by_value
      - .offset:         16
        .size:           8
        .value_kind:     by_value
      - .offset:         24
        .size:           8
        .value_kind:     by_value
      - .address_space:  global
        .offset:         32
        .size:           8
        .value_kind:     global_buffer
      - .offset:         40
        .size:           8
        .value_kind:     by_value
      - .offset:         48
        .size:           8
        .value_kind:     by_value
      - .address_space:  global
        .offset:         56
        .size:           8
        .value_kind:     global_buffer
      - .offset:         64
        .size:           8
        .value_kind:     by_value
      - .offset:         72
        .size:           8
        .value_kind:     by_value
      - .address_space:  global
        .offset:         80
        .size:           8
        .value_kind:     global_buffer
      - .offset:         88
        .size:           8
        .value_kind:     by_value
      - .offset:         96
        .size:           8
        .value_kind:     by_value
      - .offset:         104
        .size:           4
        .value_kind:     by_value
    .group_segment_fixed_size: 16384
    .kernarg_segment_align: 8
    .kernarg_segment_size: 108
    .language:       OpenCL C
    .language_version:
      - 2
      - 0
    .max_flat_workgroup_size: 1024
    .name:           _ZL23rocblas_trmm_rTx_kernelILi32ELb1EddKddEv13rocblas_fill_17rocblas_diagonal_iiT2_lPT3_llS5_llPT4_lli
    .private_segment_fixed_size: 0
    .sgpr_count:     34
    .sgpr_spill_count: 0
    .symbol:         _ZL23rocblas_trmm_rTx_kernelILi32ELb1EddKddEv13rocblas_fill_17rocblas_diagonal_iiT2_lPT3_llS5_llPT4_lli.kd
    .uniform_work_group_size: 1
    .uses_dynamic_stack: false
    .vgpr_count:     16
    .vgpr_spill_count: 0
    .wavefront_size: 64
  - .args:
      - .offset:         0
        .size:           4
        .value_kind:     by_value
      - .offset:         4
        .size:           4
        .value_kind:     by_value
      - .offset:         8
        .size:           4
        .value_kind:     by_value
      - .address_space:  global
        .offset:         16
        .size:           8
        .value_kind:     global_buffer
      - .offset:         24
        .size:           8
        .value_kind:     by_value
      - .address_space:  global
        .offset:         32
        .size:           8
        .value_kind:     global_buffer
      - .offset:         40
        .size:           8
        .value_kind:     by_value
      - .offset:         48
        .size:           8
        .value_kind:     by_value
      - .offset:         56
        .size:           8
        .value_kind:     by_value
      - .address_space:  global
        .offset:         64
        .size:           8
        .value_kind:     global_buffer
      - .offset:         72
        .size:           8
        .value_kind:     by_value
      - .offset:         80
        .size:           8
        .value_kind:     by_value
      - .offset:         88
        .size:           8
        .value_kind:     by_value
      - .address_space:  global
        .offset:         96
        .size:           8
        .value_kind:     global_buffer
      - .offset:         104
        .size:           8
        .value_kind:     by_value
      - .offset:         112
        .size:           8
        .value_kind:     by_value
      - .offset:         120
        .size:           8
        .value_kind:     by_value
      - .offset:         128
        .size:           4
        .value_kind:     by_value
      - .offset:         136
        .size:           4
        .value_kind:     hidden_block_count_x
      - .offset:         140
        .size:           4
        .value_kind:     hidden_block_count_y
      - .offset:         144
        .size:           4
        .value_kind:     hidden_block_count_z
      - .offset:         148
        .size:           2
        .value_kind:     hidden_group_size_x
      - .offset:         150
        .size:           2
        .value_kind:     hidden_group_size_y
      - .offset:         152
        .size:           2
        .value_kind:     hidden_group_size_z
      - .offset:         154
        .size:           2
        .value_kind:     hidden_remainder_x
      - .offset:         156
        .size:           2
        .value_kind:     hidden_remainder_y
      - .offset:         158
        .size:           2
        .value_kind:     hidden_remainder_z
      - .offset:         176
        .size:           8
        .value_kind:     hidden_global_offset_x
      - .offset:         184
        .size:           8
        .value_kind:     hidden_global_offset_y
      - .offset:         192
        .size:           8
        .value_kind:     hidden_global_offset_z
      - .offset:         200
        .size:           2
        .value_kind:     hidden_grid_dims
    .group_segment_fixed_size: 16384
    .kernarg_segment_align: 8
    .kernarg_segment_size: 392
    .language:       OpenCL C
    .language_version:
      - 2
      - 0
    .max_flat_workgroup_size: 1024
    .name:           _ZL30rocblas_trmm_outofplace_kernelI19rocblas_complex_numIfELi32ELi2ELb1ELb0ELb0ELb0EPKS1_S2_S1_Ev17rocblas_diagonal_iiT6_lPT7_lllS7_lllPT8_llli
    .private_segment_fixed_size: 28
    .sgpr_count:     64
    .sgpr_spill_count: 0
    .symbol:         _ZL30rocblas_trmm_outofplace_kernelI19rocblas_complex_numIfELi32ELi2ELb1ELb0ELb0ELb0EPKS1_S2_S1_Ev17rocblas_diagonal_iiT6_lPT7_lllS7_lllPT8_llli.kd
    .uniform_work_group_size: 1
    .uses_dynamic_stack: false
    .vgpr_count:     64
    .vgpr_spill_count: 6
    .wavefront_size: 64
  - .args:
      - .offset:         0
        .size:           4
        .value_kind:     by_value
      - .offset:         4
        .size:           4
        .value_kind:     by_value
      - .offset:         8
        .size:           4
        .value_kind:     by_value
      - .offset:         12
        .size:           8
        .value_kind:     by_value
      - .offset:         24
        .size:           8
        .value_kind:     by_value
      - .address_space:  global
        .offset:         32
        .size:           8
        .value_kind:     global_buffer
      - .offset:         40
        .size:           8
        .value_kind:     by_value
      - .offset:         48
        .size:           8
        .value_kind:     by_value
      - .offset:         56
        .size:           8
        .value_kind:     by_value
      - .address_space:  global
        .offset:         64
        .size:           8
        .value_kind:     global_buffer
      - .offset:         72
        .size:           8
        .value_kind:     by_value
      - .offset:         80
        .size:           8
        .value_kind:     by_value
      - .offset:         88
        .size:           8
        .value_kind:     by_value
      - .address_space:  global
        .offset:         96
        .size:           8
        .value_kind:     global_buffer
      - .offset:         104
        .size:           8
        .value_kind:     by_value
      - .offset:         112
        .size:           8
        .value_kind:     by_value
      - .offset:         120
        .size:           8
        .value_kind:     by_value
      - .offset:         128
        .size:           4
        .value_kind:     by_value
      - .offset:         136
        .size:           4
        .value_kind:     hidden_block_count_x
      - .offset:         140
        .size:           4
        .value_kind:     hidden_block_count_y
      - .offset:         144
        .size:           4
        .value_kind:     hidden_block_count_z
      - .offset:         148
        .size:           2
        .value_kind:     hidden_group_size_x
      - .offset:         150
        .size:           2
        .value_kind:     hidden_group_size_y
      - .offset:         152
        .size:           2
        .value_kind:     hidden_group_size_z
      - .offset:         154
        .size:           2
        .value_kind:     hidden_remainder_x
      - .offset:         156
        .size:           2
        .value_kind:     hidden_remainder_y
      - .offset:         158
        .size:           2
        .value_kind:     hidden_remainder_z
      - .offset:         176
        .size:           8
        .value_kind:     hidden_global_offset_x
      - .offset:         184
        .size:           8
        .value_kind:     hidden_global_offset_y
      - .offset:         192
        .size:           8
        .value_kind:     hidden_global_offset_z
      - .offset:         200
        .size:           2
        .value_kind:     hidden_grid_dims
    .group_segment_fixed_size: 16384
    .kernarg_segment_align: 8
    .kernarg_segment_size: 392
    .language:       OpenCL C
    .language_version:
      - 2
      - 0
    .max_flat_workgroup_size: 1024
    .name:           _ZL30rocblas_trmm_outofplace_kernelI19rocblas_complex_numIfELi32ELi2ELb1ELb0ELb0ELb0ES1_KS1_S1_Ev17rocblas_diagonal_iiT6_lPT7_lllS6_lllPT8_llli
    .private_segment_fixed_size: 28
    .sgpr_count:     64
    .sgpr_spill_count: 0
    .symbol:         _ZL30rocblas_trmm_outofplace_kernelI19rocblas_complex_numIfELi32ELi2ELb1ELb0ELb0ELb0ES1_KS1_S1_Ev17rocblas_diagonal_iiT6_lPT7_lllS6_lllPT8_llli.kd
    .uniform_work_group_size: 1
    .uses_dynamic_stack: false
    .vgpr_count:     64
    .vgpr_spill_count: 6
    .wavefront_size: 64
  - .args:
      - .offset:         0
        .size:           4
        .value_kind:     by_value
      - .offset:         4
        .size:           4
        .value_kind:     by_value
      - .offset:         8
        .size:           4
        .value_kind:     by_value
      - .address_space:  global
        .offset:         16
        .size:           8
        .value_kind:     global_buffer
      - .offset:         24
        .size:           8
        .value_kind:     by_value
      - .address_space:  global
        .offset:         32
        .size:           8
        .value_kind:     global_buffer
      - .offset:         40
        .size:           8
        .value_kind:     by_value
      - .offset:         48
        .size:           8
        .value_kind:     by_value
      - .offset:         56
        .size:           8
        .value_kind:     by_value
      - .address_space:  global
        .offset:         64
        .size:           8
        .value_kind:     global_buffer
      - .offset:         72
        .size:           8
        .value_kind:     by_value
      - .offset:         80
        .size:           8
        .value_kind:     by_value
      - .offset:         88
        .size:           8
        .value_kind:     by_value
      - .address_space:  global
        .offset:         96
        .size:           8
        .value_kind:     global_buffer
      - .offset:         104
        .size:           8
        .value_kind:     by_value
      - .offset:         112
        .size:           8
        .value_kind:     by_value
      - .offset:         120
        .size:           8
        .value_kind:     by_value
      - .offset:         128
        .size:           4
        .value_kind:     by_value
      - .offset:         136
        .size:           4
        .value_kind:     hidden_block_count_x
      - .offset:         140
        .size:           4
        .value_kind:     hidden_block_count_y
      - .offset:         144
        .size:           4
        .value_kind:     hidden_block_count_z
      - .offset:         148
        .size:           2
        .value_kind:     hidden_group_size_x
      - .offset:         150
        .size:           2
        .value_kind:     hidden_group_size_y
      - .offset:         152
        .size:           2
        .value_kind:     hidden_group_size_z
      - .offset:         154
        .size:           2
        .value_kind:     hidden_remainder_x
      - .offset:         156
        .size:           2
        .value_kind:     hidden_remainder_y
      - .offset:         158
        .size:           2
        .value_kind:     hidden_remainder_z
      - .offset:         176
        .size:           8
        .value_kind:     hidden_global_offset_x
      - .offset:         184
        .size:           8
        .value_kind:     hidden_global_offset_y
      - .offset:         192
        .size:           8
        .value_kind:     hidden_global_offset_z
      - .offset:         200
        .size:           2
        .value_kind:     hidden_grid_dims
    .group_segment_fixed_size: 16384
    .kernarg_segment_align: 8
    .kernarg_segment_size: 392
    .language:       OpenCL C
    .language_version:
      - 2
      - 0
    .max_flat_workgroup_size: 1024
    .name:           _ZL30rocblas_trmm_outofplace_kernelI19rocblas_complex_numIfELi32ELi2ELb1ELb1ELb0ELb0EPKS1_S2_S1_Ev17rocblas_diagonal_iiT6_lPT7_lllS7_lllPT8_llli
    .private_segment_fixed_size: 28
    .sgpr_count:     68
    .sgpr_spill_count: 0
    .symbol:         _ZL30rocblas_trmm_outofplace_kernelI19rocblas_complex_numIfELi32ELi2ELb1ELb1ELb0ELb0EPKS1_S2_S1_Ev17rocblas_diagonal_iiT6_lPT7_lllS7_lllPT8_llli.kd
    .uniform_work_group_size: 1
    .uses_dynamic_stack: false
    .vgpr_count:     64
    .vgpr_spill_count: 6
    .wavefront_size: 64
  - .args:
      - .offset:         0
        .size:           4
        .value_kind:     by_value
      - .offset:         4
        .size:           4
        .value_kind:     by_value
      - .offset:         8
        .size:           4
        .value_kind:     by_value
      - .offset:         12
        .size:           8
        .value_kind:     by_value
      - .offset:         24
        .size:           8
        .value_kind:     by_value
      - .address_space:  global
        .offset:         32
        .size:           8
        .value_kind:     global_buffer
      - .offset:         40
        .size:           8
        .value_kind:     by_value
      - .offset:         48
        .size:           8
        .value_kind:     by_value
      - .offset:         56
        .size:           8
        .value_kind:     by_value
      - .address_space:  global
        .offset:         64
        .size:           8
        .value_kind:     global_buffer
      - .offset:         72
        .size:           8
        .value_kind:     by_value
      - .offset:         80
        .size:           8
        .value_kind:     by_value
      - .offset:         88
        .size:           8
        .value_kind:     by_value
      - .address_space:  global
        .offset:         96
        .size:           8
        .value_kind:     global_buffer
      - .offset:         104
        .size:           8
        .value_kind:     by_value
      - .offset:         112
        .size:           8
        .value_kind:     by_value
      - .offset:         120
        .size:           8
        .value_kind:     by_value
      - .offset:         128
        .size:           4
        .value_kind:     by_value
      - .offset:         136
        .size:           4
        .value_kind:     hidden_block_count_x
      - .offset:         140
        .size:           4
        .value_kind:     hidden_block_count_y
      - .offset:         144
        .size:           4
        .value_kind:     hidden_block_count_z
      - .offset:         148
        .size:           2
        .value_kind:     hidden_group_size_x
      - .offset:         150
        .size:           2
        .value_kind:     hidden_group_size_y
      - .offset:         152
        .size:           2
        .value_kind:     hidden_group_size_z
      - .offset:         154
        .size:           2
        .value_kind:     hidden_remainder_x
      - .offset:         156
        .size:           2
        .value_kind:     hidden_remainder_y
      - .offset:         158
        .size:           2
        .value_kind:     hidden_remainder_z
      - .offset:         176
        .size:           8
        .value_kind:     hidden_global_offset_x
      - .offset:         184
        .size:           8
        .value_kind:     hidden_global_offset_y
      - .offset:         192
        .size:           8
        .value_kind:     hidden_global_offset_z
      - .offset:         200
        .size:           2
        .value_kind:     hidden_grid_dims
    .group_segment_fixed_size: 16384
    .kernarg_segment_align: 8
    .kernarg_segment_size: 392
    .language:       OpenCL C
    .language_version:
      - 2
      - 0
    .max_flat_workgroup_size: 1024
    .name:           _ZL30rocblas_trmm_outofplace_kernelI19rocblas_complex_numIfELi32ELi2ELb1ELb1ELb0ELb0ES1_KS1_S1_Ev17rocblas_diagonal_iiT6_lPT7_lllS6_lllPT8_llli
    .private_segment_fixed_size: 28
    .sgpr_count:     68
    .sgpr_spill_count: 0
    .symbol:         _ZL30rocblas_trmm_outofplace_kernelI19rocblas_complex_numIfELi32ELi2ELb1ELb1ELb0ELb0ES1_KS1_S1_Ev17rocblas_diagonal_iiT6_lPT7_lllS6_lllPT8_llli.kd
    .uniform_work_group_size: 1
    .uses_dynamic_stack: false
    .vgpr_count:     64
    .vgpr_spill_count: 6
    .wavefront_size: 64
  - .args:
      - .offset:         0
        .size:           4
        .value_kind:     by_value
      - .offset:         4
        .size:           4
        .value_kind:     by_value
      - .offset:         8
        .size:           4
        .value_kind:     by_value
      - .address_space:  global
        .offset:         16
        .size:           8
        .value_kind:     global_buffer
      - .offset:         24
        .size:           8
        .value_kind:     by_value
      - .address_space:  global
        .offset:         32
        .size:           8
        .value_kind:     global_buffer
      - .offset:         40
        .size:           8
        .value_kind:     by_value
      - .offset:         48
        .size:           8
        .value_kind:     by_value
      - .offset:         56
        .size:           8
        .value_kind:     by_value
      - .address_space:  global
        .offset:         64
        .size:           8
        .value_kind:     global_buffer
      - .offset:         72
        .size:           8
        .value_kind:     by_value
      - .offset:         80
        .size:           8
        .value_kind:     by_value
      - .offset:         88
        .size:           8
        .value_kind:     by_value
      - .address_space:  global
        .offset:         96
        .size:           8
        .value_kind:     global_buffer
      - .offset:         104
        .size:           8
        .value_kind:     by_value
      - .offset:         112
        .size:           8
        .value_kind:     by_value
      - .offset:         120
        .size:           8
        .value_kind:     by_value
      - .offset:         128
        .size:           4
        .value_kind:     by_value
      - .offset:         136
        .size:           4
        .value_kind:     hidden_block_count_x
      - .offset:         140
        .size:           4
        .value_kind:     hidden_block_count_y
      - .offset:         144
        .size:           4
        .value_kind:     hidden_block_count_z
      - .offset:         148
        .size:           2
        .value_kind:     hidden_group_size_x
      - .offset:         150
        .size:           2
        .value_kind:     hidden_group_size_y
      - .offset:         152
        .size:           2
        .value_kind:     hidden_group_size_z
      - .offset:         154
        .size:           2
        .value_kind:     hidden_remainder_x
      - .offset:         156
        .size:           2
        .value_kind:     hidden_remainder_y
      - .offset:         158
        .size:           2
        .value_kind:     hidden_remainder_z
      - .offset:         176
        .size:           8
        .value_kind:     hidden_global_offset_x
      - .offset:         184
        .size:           8
        .value_kind:     hidden_global_offset_y
      - .offset:         192
        .size:           8
        .value_kind:     hidden_global_offset_z
      - .offset:         200
        .size:           2
        .value_kind:     hidden_grid_dims
    .group_segment_fixed_size: 16384
    .kernarg_segment_align: 8
    .kernarg_segment_size: 392
    .language:       OpenCL C
    .language_version:
      - 2
      - 0
    .max_flat_workgroup_size: 1024
    .name:           _ZL30rocblas_trmm_outofplace_kernelI19rocblas_complex_numIfELi32ELi2ELb1ELb0ELb1ELb0EPKS1_S2_S1_Ev17rocblas_diagonal_iiT6_lPT7_lllS7_lllPT8_llli
    .private_segment_fixed_size: 20
    .sgpr_count:     64
    .sgpr_spill_count: 0
    .symbol:         _ZL30rocblas_trmm_outofplace_kernelI19rocblas_complex_numIfELi32ELi2ELb1ELb0ELb1ELb0EPKS1_S2_S1_Ev17rocblas_diagonal_iiT6_lPT7_lllS7_lllPT8_llli.kd
    .uniform_work_group_size: 1
    .uses_dynamic_stack: false
    .vgpr_count:     64
    .vgpr_spill_count: 4
    .wavefront_size: 64
  - .args:
      - .offset:         0
        .size:           4
        .value_kind:     by_value
      - .offset:         4
        .size:           4
        .value_kind:     by_value
      - .offset:         8
        .size:           4
        .value_kind:     by_value
      - .offset:         12
        .size:           8
        .value_kind:     by_value
      - .offset:         24
        .size:           8
        .value_kind:     by_value
      - .address_space:  global
        .offset:         32
        .size:           8
        .value_kind:     global_buffer
      - .offset:         40
        .size:           8
        .value_kind:     by_value
      - .offset:         48
        .size:           8
        .value_kind:     by_value
      - .offset:         56
        .size:           8
        .value_kind:     by_value
      - .address_space:  global
        .offset:         64
        .size:           8
        .value_kind:     global_buffer
      - .offset:         72
        .size:           8
        .value_kind:     by_value
      - .offset:         80
        .size:           8
        .value_kind:     by_value
      - .offset:         88
        .size:           8
        .value_kind:     by_value
      - .address_space:  global
        .offset:         96
        .size:           8
        .value_kind:     global_buffer
      - .offset:         104
        .size:           8
        .value_kind:     by_value
      - .offset:         112
        .size:           8
        .value_kind:     by_value
      - .offset:         120
        .size:           8
        .value_kind:     by_value
      - .offset:         128
        .size:           4
        .value_kind:     by_value
      - .offset:         136
        .size:           4
        .value_kind:     hidden_block_count_x
      - .offset:         140
        .size:           4
        .value_kind:     hidden_block_count_y
      - .offset:         144
        .size:           4
        .value_kind:     hidden_block_count_z
      - .offset:         148
        .size:           2
        .value_kind:     hidden_group_size_x
      - .offset:         150
        .size:           2
        .value_kind:     hidden_group_size_y
      - .offset:         152
        .size:           2
        .value_kind:     hidden_group_size_z
      - .offset:         154
        .size:           2
        .value_kind:     hidden_remainder_x
      - .offset:         156
        .size:           2
        .value_kind:     hidden_remainder_y
      - .offset:         158
        .size:           2
        .value_kind:     hidden_remainder_z
      - .offset:         176
        .size:           8
        .value_kind:     hidden_global_offset_x
      - .offset:         184
        .size:           8
        .value_kind:     hidden_global_offset_y
      - .offset:         192
        .size:           8
        .value_kind:     hidden_global_offset_z
      - .offset:         200
        .size:           2
        .value_kind:     hidden_grid_dims
    .group_segment_fixed_size: 16384
    .kernarg_segment_align: 8
    .kernarg_segment_size: 392
    .language:       OpenCL C
    .language_version:
      - 2
      - 0
    .max_flat_workgroup_size: 1024
    .name:           _ZL30rocblas_trmm_outofplace_kernelI19rocblas_complex_numIfELi32ELi2ELb1ELb0ELb1ELb0ES1_KS1_S1_Ev17rocblas_diagonal_iiT6_lPT7_lllS6_lllPT8_llli
    .private_segment_fixed_size: 20
    .sgpr_count:     64
    .sgpr_spill_count: 0
    .symbol:         _ZL30rocblas_trmm_outofplace_kernelI19rocblas_complex_numIfELi32ELi2ELb1ELb0ELb1ELb0ES1_KS1_S1_Ev17rocblas_diagonal_iiT6_lPT7_lllS6_lllPT8_llli.kd
    .uniform_work_group_size: 1
    .uses_dynamic_stack: false
    .vgpr_count:     64
    .vgpr_spill_count: 4
    .wavefront_size: 64
  - .args:
      - .offset:         0
        .size:           4
        .value_kind:     by_value
      - .offset:         4
        .size:           4
        .value_kind:     by_value
      - .offset:         8
        .size:           4
        .value_kind:     by_value
      - .address_space:  global
        .offset:         16
        .size:           8
        .value_kind:     global_buffer
      - .offset:         24
        .size:           8
        .value_kind:     by_value
      - .address_space:  global
        .offset:         32
        .size:           8
        .value_kind:     global_buffer
      - .offset:         40
        .size:           8
        .value_kind:     by_value
      - .offset:         48
        .size:           8
        .value_kind:     by_value
      - .offset:         56
        .size:           8
        .value_kind:     by_value
      - .address_space:  global
        .offset:         64
        .size:           8
        .value_kind:     global_buffer
      - .offset:         72
        .size:           8
        .value_kind:     by_value
      - .offset:         80
        .size:           8
        .value_kind:     by_value
      - .offset:         88
        .size:           8
        .value_kind:     by_value
      - .address_space:  global
        .offset:         96
        .size:           8
        .value_kind:     global_buffer
      - .offset:         104
        .size:           8
        .value_kind:     by_value
      - .offset:         112
        .size:           8
        .value_kind:     by_value
      - .offset:         120
        .size:           8
        .value_kind:     by_value
      - .offset:         128
        .size:           4
        .value_kind:     by_value
      - .offset:         136
        .size:           4
        .value_kind:     hidden_block_count_x
      - .offset:         140
        .size:           4
        .value_kind:     hidden_block_count_y
      - .offset:         144
        .size:           4
        .value_kind:     hidden_block_count_z
      - .offset:         148
        .size:           2
        .value_kind:     hidden_group_size_x
      - .offset:         150
        .size:           2
        .value_kind:     hidden_group_size_y
      - .offset:         152
        .size:           2
        .value_kind:     hidden_group_size_z
      - .offset:         154
        .size:           2
        .value_kind:     hidden_remainder_x
      - .offset:         156
        .size:           2
        .value_kind:     hidden_remainder_y
      - .offset:         158
        .size:           2
        .value_kind:     hidden_remainder_z
      - .offset:         176
        .size:           8
        .value_kind:     hidden_global_offset_x
      - .offset:         184
        .size:           8
        .value_kind:     hidden_global_offset_y
      - .offset:         192
        .size:           8
        .value_kind:     hidden_global_offset_z
      - .offset:         200
        .size:           2
        .value_kind:     hidden_grid_dims
    .group_segment_fixed_size: 16384
    .kernarg_segment_align: 8
    .kernarg_segment_size: 392
    .language:       OpenCL C
    .language_version:
      - 2
      - 0
    .max_flat_workgroup_size: 1024
    .name:           _ZL30rocblas_trmm_outofplace_kernelI19rocblas_complex_numIfELi32ELi2ELb1ELb1ELb1ELb0EPKS1_S2_S1_Ev17rocblas_diagonal_iiT6_lPT7_lllS7_lllPT8_llli
    .private_segment_fixed_size: 20
    .sgpr_count:     64
    .sgpr_spill_count: 0
    .symbol:         _ZL30rocblas_trmm_outofplace_kernelI19rocblas_complex_numIfELi32ELi2ELb1ELb1ELb1ELb0EPKS1_S2_S1_Ev17rocblas_diagonal_iiT6_lPT7_lllS7_lllPT8_llli.kd
    .uniform_work_group_size: 1
    .uses_dynamic_stack: false
    .vgpr_count:     64
    .vgpr_spill_count: 4
    .wavefront_size: 64
  - .args:
      - .offset:         0
        .size:           4
        .value_kind:     by_value
      - .offset:         4
        .size:           4
        .value_kind:     by_value
      - .offset:         8
        .size:           4
        .value_kind:     by_value
      - .offset:         12
        .size:           8
        .value_kind:     by_value
      - .offset:         24
        .size:           8
        .value_kind:     by_value
      - .address_space:  global
        .offset:         32
        .size:           8
        .value_kind:     global_buffer
      - .offset:         40
        .size:           8
        .value_kind:     by_value
      - .offset:         48
        .size:           8
        .value_kind:     by_value
      - .offset:         56
        .size:           8
        .value_kind:     by_value
      - .address_space:  global
        .offset:         64
        .size:           8
        .value_kind:     global_buffer
      - .offset:         72
        .size:           8
        .value_kind:     by_value
      - .offset:         80
        .size:           8
        .value_kind:     by_value
      - .offset:         88
        .size:           8
        .value_kind:     by_value
      - .address_space:  global
        .offset:         96
        .size:           8
        .value_kind:     global_buffer
      - .offset:         104
        .size:           8
        .value_kind:     by_value
      - .offset:         112
        .size:           8
        .value_kind:     by_value
      - .offset:         120
        .size:           8
        .value_kind:     by_value
      - .offset:         128
        .size:           4
        .value_kind:     by_value
      - .offset:         136
        .size:           4
        .value_kind:     hidden_block_count_x
      - .offset:         140
        .size:           4
        .value_kind:     hidden_block_count_y
      - .offset:         144
        .size:           4
        .value_kind:     hidden_block_count_z
      - .offset:         148
        .size:           2
        .value_kind:     hidden_group_size_x
      - .offset:         150
        .size:           2
        .value_kind:     hidden_group_size_y
      - .offset:         152
        .size:           2
        .value_kind:     hidden_group_size_z
      - .offset:         154
        .size:           2
        .value_kind:     hidden_remainder_x
      - .offset:         156
        .size:           2
        .value_kind:     hidden_remainder_y
      - .offset:         158
        .size:           2
        .value_kind:     hidden_remainder_z
      - .offset:         176
        .size:           8
        .value_kind:     hidden_global_offset_x
      - .offset:         184
        .size:           8
        .value_kind:     hidden_global_offset_y
      - .offset:         192
        .size:           8
        .value_kind:     hidden_global_offset_z
      - .offset:         200
        .size:           2
        .value_kind:     hidden_grid_dims
    .group_segment_fixed_size: 16384
    .kernarg_segment_align: 8
    .kernarg_segment_size: 392
    .language:       OpenCL C
    .language_version:
      - 2
      - 0
    .max_flat_workgroup_size: 1024
    .name:           _ZL30rocblas_trmm_outofplace_kernelI19rocblas_complex_numIfELi32ELi2ELb1ELb1ELb1ELb0ES1_KS1_S1_Ev17rocblas_diagonal_iiT6_lPT7_lllS6_lllPT8_llli
    .private_segment_fixed_size: 20
    .sgpr_count:     64
    .sgpr_spill_count: 0
    .symbol:         _ZL30rocblas_trmm_outofplace_kernelI19rocblas_complex_numIfELi32ELi2ELb1ELb1ELb1ELb0ES1_KS1_S1_Ev17rocblas_diagonal_iiT6_lPT7_lllS6_lllPT8_llli.kd
    .uniform_work_group_size: 1
    .uses_dynamic_stack: false
    .vgpr_count:     64
    .vgpr_spill_count: 4
    .wavefront_size: 64
  - .args:
      - .offset:         0
        .size:           4
        .value_kind:     by_value
      - .offset:         4
        .size:           4
        .value_kind:     by_value
      - .offset:         8
        .size:           4
        .value_kind:     by_value
      - .address_space:  global
        .offset:         16
        .size:           8
        .value_kind:     global_buffer
      - .offset:         24
        .size:           8
        .value_kind:     by_value
      - .address_space:  global
        .offset:         32
        .size:           8
        .value_kind:     global_buffer
      - .offset:         40
        .size:           8
        .value_kind:     by_value
      - .offset:         48
        .size:           8
        .value_kind:     by_value
      - .offset:         56
        .size:           8
        .value_kind:     by_value
      - .address_space:  global
        .offset:         64
        .size:           8
        .value_kind:     global_buffer
      - .offset:         72
        .size:           8
        .value_kind:     by_value
      - .offset:         80
        .size:           8
        .value_kind:     by_value
      - .offset:         88
        .size:           8
        .value_kind:     by_value
      - .address_space:  global
        .offset:         96
        .size:           8
        .value_kind:     global_buffer
      - .offset:         104
        .size:           8
        .value_kind:     by_value
      - .offset:         112
        .size:           8
        .value_kind:     by_value
      - .offset:         120
        .size:           8
        .value_kind:     by_value
      - .offset:         128
        .size:           4
        .value_kind:     by_value
      - .offset:         136
        .size:           4
        .value_kind:     hidden_block_count_x
      - .offset:         140
        .size:           4
        .value_kind:     hidden_block_count_y
      - .offset:         144
        .size:           4
        .value_kind:     hidden_block_count_z
      - .offset:         148
        .size:           2
        .value_kind:     hidden_group_size_x
      - .offset:         150
        .size:           2
        .value_kind:     hidden_group_size_y
      - .offset:         152
        .size:           2
        .value_kind:     hidden_group_size_z
      - .offset:         154
        .size:           2
        .value_kind:     hidden_remainder_x
      - .offset:         156
        .size:           2
        .value_kind:     hidden_remainder_y
      - .offset:         158
        .size:           2
        .value_kind:     hidden_remainder_z
      - .offset:         176
        .size:           8
        .value_kind:     hidden_global_offset_x
      - .offset:         184
        .size:           8
        .value_kind:     hidden_global_offset_y
      - .offset:         192
        .size:           8
        .value_kind:     hidden_global_offset_z
      - .offset:         200
        .size:           2
        .value_kind:     hidden_grid_dims
    .group_segment_fixed_size: 16384
    .kernarg_segment_align: 8
    .kernarg_segment_size: 392
    .language:       OpenCL C
    .language_version:
      - 2
      - 0
    .max_flat_workgroup_size: 1024
    .name:           _ZL30rocblas_trmm_outofplace_kernelI19rocblas_complex_numIfELi32ELi2ELb1ELb0ELb1ELb1EPKS1_S2_S1_Ev17rocblas_diagonal_iiT6_lPT7_lllS7_lllPT8_llli
    .private_segment_fixed_size: 20
    .sgpr_count:     64
    .sgpr_spill_count: 0
    .symbol:         _ZL30rocblas_trmm_outofplace_kernelI19rocblas_complex_numIfELi32ELi2ELb1ELb0ELb1ELb1EPKS1_S2_S1_Ev17rocblas_diagonal_iiT6_lPT7_lllS7_lllPT8_llli.kd
    .uniform_work_group_size: 1
    .uses_dynamic_stack: false
    .vgpr_count:     64
    .vgpr_spill_count: 4
    .wavefront_size: 64
  - .args:
      - .offset:         0
        .size:           4
        .value_kind:     by_value
      - .offset:         4
        .size:           4
        .value_kind:     by_value
      - .offset:         8
        .size:           4
        .value_kind:     by_value
      - .offset:         12
        .size:           8
        .value_kind:     by_value
      - .offset:         24
        .size:           8
        .value_kind:     by_value
      - .address_space:  global
        .offset:         32
        .size:           8
        .value_kind:     global_buffer
      - .offset:         40
        .size:           8
        .value_kind:     by_value
      - .offset:         48
        .size:           8
        .value_kind:     by_value
      - .offset:         56
        .size:           8
        .value_kind:     by_value
      - .address_space:  global
        .offset:         64
        .size:           8
        .value_kind:     global_buffer
      - .offset:         72
        .size:           8
        .value_kind:     by_value
      - .offset:         80
        .size:           8
        .value_kind:     by_value
      - .offset:         88
        .size:           8
        .value_kind:     by_value
      - .address_space:  global
        .offset:         96
        .size:           8
        .value_kind:     global_buffer
      - .offset:         104
        .size:           8
        .value_kind:     by_value
      - .offset:         112
        .size:           8
        .value_kind:     by_value
      - .offset:         120
        .size:           8
        .value_kind:     by_value
      - .offset:         128
        .size:           4
        .value_kind:     by_value
      - .offset:         136
        .size:           4
        .value_kind:     hidden_block_count_x
      - .offset:         140
        .size:           4
        .value_kind:     hidden_block_count_y
      - .offset:         144
        .size:           4
        .value_kind:     hidden_block_count_z
      - .offset:         148
        .size:           2
        .value_kind:     hidden_group_size_x
      - .offset:         150
        .size:           2
        .value_kind:     hidden_group_size_y
      - .offset:         152
        .size:           2
        .value_kind:     hidden_group_size_z
      - .offset:         154
        .size:           2
        .value_kind:     hidden_remainder_x
      - .offset:         156
        .size:           2
        .value_kind:     hidden_remainder_y
      - .offset:         158
        .size:           2
        .value_kind:     hidden_remainder_z
      - .offset:         176
        .size:           8
        .value_kind:     hidden_global_offset_x
      - .offset:         184
        .size:           8
        .value_kind:     hidden_global_offset_y
      - .offset:         192
        .size:           8
        .value_kind:     hidden_global_offset_z
      - .offset:         200
        .size:           2
        .value_kind:     hidden_grid_dims
    .group_segment_fixed_size: 16384
    .kernarg_segment_align: 8
    .kernarg_segment_size: 392
    .language:       OpenCL C
    .language_version:
      - 2
      - 0
    .max_flat_workgroup_size: 1024
    .name:           _ZL30rocblas_trmm_outofplace_kernelI19rocblas_complex_numIfELi32ELi2ELb1ELb0ELb1ELb1ES1_KS1_S1_Ev17rocblas_diagonal_iiT6_lPT7_lllS6_lllPT8_llli
    .private_segment_fixed_size: 20
    .sgpr_count:     64
    .sgpr_spill_count: 0
    .symbol:         _ZL30rocblas_trmm_outofplace_kernelI19rocblas_complex_numIfELi32ELi2ELb1ELb0ELb1ELb1ES1_KS1_S1_Ev17rocblas_diagonal_iiT6_lPT7_lllS6_lllPT8_llli.kd
    .uniform_work_group_size: 1
    .uses_dynamic_stack: false
    .vgpr_count:     64
    .vgpr_spill_count: 4
    .wavefront_size: 64
  - .args:
      - .offset:         0
        .size:           4
        .value_kind:     by_value
      - .offset:         4
        .size:           4
        .value_kind:     by_value
      - .offset:         8
        .size:           4
        .value_kind:     by_value
      - .address_space:  global
        .offset:         16
        .size:           8
        .value_kind:     global_buffer
      - .offset:         24
        .size:           8
        .value_kind:     by_value
      - .address_space:  global
        .offset:         32
        .size:           8
        .value_kind:     global_buffer
      - .offset:         40
        .size:           8
        .value_kind:     by_value
      - .offset:         48
        .size:           8
        .value_kind:     by_value
      - .offset:         56
        .size:           8
        .value_kind:     by_value
      - .address_space:  global
        .offset:         64
        .size:           8
        .value_kind:     global_buffer
      - .offset:         72
        .size:           8
        .value_kind:     by_value
      - .offset:         80
        .size:           8
        .value_kind:     by_value
      - .offset:         88
        .size:           8
        .value_kind:     by_value
      - .address_space:  global
        .offset:         96
        .size:           8
        .value_kind:     global_buffer
      - .offset:         104
        .size:           8
        .value_kind:     by_value
      - .offset:         112
        .size:           8
        .value_kind:     by_value
      - .offset:         120
        .size:           8
        .value_kind:     by_value
      - .offset:         128
        .size:           4
        .value_kind:     by_value
      - .offset:         136
        .size:           4
        .value_kind:     hidden_block_count_x
      - .offset:         140
        .size:           4
        .value_kind:     hidden_block_count_y
      - .offset:         144
        .size:           4
        .value_kind:     hidden_block_count_z
      - .offset:         148
        .size:           2
        .value_kind:     hidden_group_size_x
      - .offset:         150
        .size:           2
        .value_kind:     hidden_group_size_y
      - .offset:         152
        .size:           2
        .value_kind:     hidden_group_size_z
      - .offset:         154
        .size:           2
        .value_kind:     hidden_remainder_x
      - .offset:         156
        .size:           2
        .value_kind:     hidden_remainder_y
      - .offset:         158
        .size:           2
        .value_kind:     hidden_remainder_z
      - .offset:         176
        .size:           8
        .value_kind:     hidden_global_offset_x
      - .offset:         184
        .size:           8
        .value_kind:     hidden_global_offset_y
      - .offset:         192
        .size:           8
        .value_kind:     hidden_global_offset_z
      - .offset:         200
        .size:           2
        .value_kind:     hidden_grid_dims
    .group_segment_fixed_size: 16384
    .kernarg_segment_align: 8
    .kernarg_segment_size: 392
    .language:       OpenCL C
    .language_version:
      - 2
      - 0
    .max_flat_workgroup_size: 1024
    .name:           _ZL30rocblas_trmm_outofplace_kernelI19rocblas_complex_numIfELi32ELi2ELb1ELb1ELb1ELb1EPKS1_S2_S1_Ev17rocblas_diagonal_iiT6_lPT7_lllS7_lllPT8_llli
    .private_segment_fixed_size: 20
    .sgpr_count:     64
    .sgpr_spill_count: 0
    .symbol:         _ZL30rocblas_trmm_outofplace_kernelI19rocblas_complex_numIfELi32ELi2ELb1ELb1ELb1ELb1EPKS1_S2_S1_Ev17rocblas_diagonal_iiT6_lPT7_lllS7_lllPT8_llli.kd
    .uniform_work_group_size: 1
    .uses_dynamic_stack: false
    .vgpr_count:     64
    .vgpr_spill_count: 4
    .wavefront_size: 64
  - .args:
      - .offset:         0
        .size:           4
        .value_kind:     by_value
      - .offset:         4
        .size:           4
        .value_kind:     by_value
      - .offset:         8
        .size:           4
        .value_kind:     by_value
      - .offset:         12
        .size:           8
        .value_kind:     by_value
      - .offset:         24
        .size:           8
        .value_kind:     by_value
      - .address_space:  global
        .offset:         32
        .size:           8
        .value_kind:     global_buffer
      - .offset:         40
        .size:           8
        .value_kind:     by_value
      - .offset:         48
        .size:           8
        .value_kind:     by_value
      - .offset:         56
        .size:           8
        .value_kind:     by_value
      - .address_space:  global
        .offset:         64
        .size:           8
        .value_kind:     global_buffer
      - .offset:         72
        .size:           8
        .value_kind:     by_value
      - .offset:         80
        .size:           8
        .value_kind:     by_value
      - .offset:         88
        .size:           8
        .value_kind:     by_value
      - .address_space:  global
        .offset:         96
        .size:           8
        .value_kind:     global_buffer
      - .offset:         104
        .size:           8
        .value_kind:     by_value
      - .offset:         112
        .size:           8
        .value_kind:     by_value
      - .offset:         120
        .size:           8
        .value_kind:     by_value
      - .offset:         128
        .size:           4
        .value_kind:     by_value
      - .offset:         136
        .size:           4
        .value_kind:     hidden_block_count_x
      - .offset:         140
        .size:           4
        .value_kind:     hidden_block_count_y
      - .offset:         144
        .size:           4
        .value_kind:     hidden_block_count_z
      - .offset:         148
        .size:           2
        .value_kind:     hidden_group_size_x
      - .offset:         150
        .size:           2
        .value_kind:     hidden_group_size_y
      - .offset:         152
        .size:           2
        .value_kind:     hidden_group_size_z
      - .offset:         154
        .size:           2
        .value_kind:     hidden_remainder_x
      - .offset:         156
        .size:           2
        .value_kind:     hidden_remainder_y
      - .offset:         158
        .size:           2
        .value_kind:     hidden_remainder_z
      - .offset:         176
        .size:           8
        .value_kind:     hidden_global_offset_x
      - .offset:         184
        .size:           8
        .value_kind:     hidden_global_offset_y
      - .offset:         192
        .size:           8
        .value_kind:     hidden_global_offset_z
      - .offset:         200
        .size:           2
        .value_kind:     hidden_grid_dims
    .group_segment_fixed_size: 16384
    .kernarg_segment_align: 8
    .kernarg_segment_size: 392
    .language:       OpenCL C
    .language_version:
      - 2
      - 0
    .max_flat_workgroup_size: 1024
    .name:           _ZL30rocblas_trmm_outofplace_kernelI19rocblas_complex_numIfELi32ELi2ELb1ELb1ELb1ELb1ES1_KS1_S1_Ev17rocblas_diagonal_iiT6_lPT7_lllS6_lllPT8_llli
    .private_segment_fixed_size: 20
    .sgpr_count:     64
    .sgpr_spill_count: 0
    .symbol:         _ZL30rocblas_trmm_outofplace_kernelI19rocblas_complex_numIfELi32ELi2ELb1ELb1ELb1ELb1ES1_KS1_S1_Ev17rocblas_diagonal_iiT6_lPT7_lllS6_lllPT8_llli.kd
    .uniform_work_group_size: 1
    .uses_dynamic_stack: false
    .vgpr_count:     64
    .vgpr_spill_count: 4
    .wavefront_size: 64
  - .args:
      - .offset:         0
        .size:           4
        .value_kind:     by_value
      - .offset:         4
        .size:           4
        .value_kind:     by_value
      - .offset:         8
        .size:           4
        .value_kind:     by_value
      - .address_space:  global
        .offset:         16
        .size:           8
        .value_kind:     global_buffer
      - .offset:         24
        .size:           8
        .value_kind:     by_value
      - .address_space:  global
        .offset:         32
        .size:           8
        .value_kind:     global_buffer
      - .offset:         40
        .size:           8
        .value_kind:     by_value
      - .offset:         48
        .size:           8
        .value_kind:     by_value
      - .offset:         56
        .size:           8
        .value_kind:     by_value
      - .address_space:  global
        .offset:         64
        .size:           8
        .value_kind:     global_buffer
      - .offset:         72
        .size:           8
        .value_kind:     by_value
      - .offset:         80
        .size:           8
        .value_kind:     by_value
      - .offset:         88
        .size:           8
        .value_kind:     by_value
      - .address_space:  global
        .offset:         96
        .size:           8
        .value_kind:     global_buffer
      - .offset:         104
        .size:           8
        .value_kind:     by_value
      - .offset:         112
        .size:           8
        .value_kind:     by_value
      - .offset:         120
        .size:           8
        .value_kind:     by_value
      - .offset:         128
        .size:           4
        .value_kind:     by_value
      - .offset:         136
        .size:           4
        .value_kind:     hidden_block_count_x
      - .offset:         140
        .size:           4
        .value_kind:     hidden_block_count_y
      - .offset:         144
        .size:           4
        .value_kind:     hidden_block_count_z
      - .offset:         148
        .size:           2
        .value_kind:     hidden_group_size_x
      - .offset:         150
        .size:           2
        .value_kind:     hidden_group_size_y
      - .offset:         152
        .size:           2
        .value_kind:     hidden_group_size_z
      - .offset:         154
        .size:           2
        .value_kind:     hidden_remainder_x
      - .offset:         156
        .size:           2
        .value_kind:     hidden_remainder_y
      - .offset:         158
        .size:           2
        .value_kind:     hidden_remainder_z
      - .offset:         176
        .size:           8
        .value_kind:     hidden_global_offset_x
      - .offset:         184
        .size:           8
        .value_kind:     hidden_global_offset_y
      - .offset:         192
        .size:           8
        .value_kind:     hidden_global_offset_z
      - .offset:         200
        .size:           2
        .value_kind:     hidden_grid_dims
    .group_segment_fixed_size: 16384
    .kernarg_segment_align: 8
    .kernarg_segment_size: 392
    .language:       OpenCL C
    .language_version:
      - 2
      - 0
    .max_flat_workgroup_size: 1024
    .name:           _ZL30rocblas_trmm_outofplace_kernelI19rocblas_complex_numIfELi32ELi2ELb0ELb0ELb0ELb0EPKS1_S2_S1_Ev17rocblas_diagonal_iiT6_lPT7_lllS7_lllPT8_llli
    .private_segment_fixed_size: 36
    .sgpr_count:     72
    .sgpr_spill_count: 0
    .symbol:         _ZL30rocblas_trmm_outofplace_kernelI19rocblas_complex_numIfELi32ELi2ELb0ELb0ELb0ELb0EPKS1_S2_S1_Ev17rocblas_diagonal_iiT6_lPT7_lllS7_lllPT8_llli.kd
    .uniform_work_group_size: 1
    .uses_dynamic_stack: false
    .vgpr_count:     64
    .vgpr_spill_count: 8
    .wavefront_size: 64
  - .args:
      - .offset:         0
        .size:           4
        .value_kind:     by_value
      - .offset:         4
        .size:           4
        .value_kind:     by_value
      - .offset:         8
        .size:           4
        .value_kind:     by_value
      - .offset:         12
        .size:           8
        .value_kind:     by_value
      - .offset:         24
        .size:           8
        .value_kind:     by_value
      - .address_space:  global
        .offset:         32
        .size:           8
        .value_kind:     global_buffer
      - .offset:         40
        .size:           8
        .value_kind:     by_value
      - .offset:         48
        .size:           8
        .value_kind:     by_value
      - .offset:         56
        .size:           8
        .value_kind:     by_value
      - .address_space:  global
        .offset:         64
        .size:           8
        .value_kind:     global_buffer
      - .offset:         72
        .size:           8
        .value_kind:     by_value
      - .offset:         80
        .size:           8
        .value_kind:     by_value
      - .offset:         88
        .size:           8
        .value_kind:     by_value
      - .address_space:  global
        .offset:         96
        .size:           8
        .value_kind:     global_buffer
      - .offset:         104
        .size:           8
        .value_kind:     by_value
      - .offset:         112
        .size:           8
        .value_kind:     by_value
      - .offset:         120
        .size:           8
        .value_kind:     by_value
      - .offset:         128
        .size:           4
        .value_kind:     by_value
      - .offset:         136
        .size:           4
        .value_kind:     hidden_block_count_x
      - .offset:         140
        .size:           4
        .value_kind:     hidden_block_count_y
      - .offset:         144
        .size:           4
        .value_kind:     hidden_block_count_z
      - .offset:         148
        .size:           2
        .value_kind:     hidden_group_size_x
      - .offset:         150
        .size:           2
        .value_kind:     hidden_group_size_y
      - .offset:         152
        .size:           2
        .value_kind:     hidden_group_size_z
      - .offset:         154
        .size:           2
        .value_kind:     hidden_remainder_x
      - .offset:         156
        .size:           2
        .value_kind:     hidden_remainder_y
      - .offset:         158
        .size:           2
        .value_kind:     hidden_remainder_z
      - .offset:         176
        .size:           8
        .value_kind:     hidden_global_offset_x
      - .offset:         184
        .size:           8
        .value_kind:     hidden_global_offset_y
      - .offset:         192
        .size:           8
        .value_kind:     hidden_global_offset_z
      - .offset:         200
        .size:           2
        .value_kind:     hidden_grid_dims
    .group_segment_fixed_size: 16384
    .kernarg_segment_align: 8
    .kernarg_segment_size: 392
    .language:       OpenCL C
    .language_version:
      - 2
      - 0
    .max_flat_workgroup_size: 1024
    .name:           _ZL30rocblas_trmm_outofplace_kernelI19rocblas_complex_numIfELi32ELi2ELb0ELb0ELb0ELb0ES1_KS1_S1_Ev17rocblas_diagonal_iiT6_lPT7_lllS6_lllPT8_llli
    .private_segment_fixed_size: 36
    .sgpr_count:     72
    .sgpr_spill_count: 0
    .symbol:         _ZL30rocblas_trmm_outofplace_kernelI19rocblas_complex_numIfELi32ELi2ELb0ELb0ELb0ELb0ES1_KS1_S1_Ev17rocblas_diagonal_iiT6_lPT7_lllS6_lllPT8_llli.kd
    .uniform_work_group_size: 1
    .uses_dynamic_stack: false
    .vgpr_count:     64
    .vgpr_spill_count: 8
    .wavefront_size: 64
  - .args:
      - .offset:         0
        .size:           4
        .value_kind:     by_value
      - .offset:         4
        .size:           4
        .value_kind:     by_value
      - .offset:         8
        .size:           4
        .value_kind:     by_value
      - .address_space:  global
        .offset:         16
        .size:           8
        .value_kind:     global_buffer
      - .offset:         24
        .size:           8
        .value_kind:     by_value
      - .address_space:  global
        .offset:         32
        .size:           8
        .value_kind:     global_buffer
      - .offset:         40
        .size:           8
        .value_kind:     by_value
      - .offset:         48
        .size:           8
        .value_kind:     by_value
      - .offset:         56
        .size:           8
        .value_kind:     by_value
      - .address_space:  global
        .offset:         64
        .size:           8
        .value_kind:     global_buffer
      - .offset:         72
        .size:           8
        .value_kind:     by_value
      - .offset:         80
        .size:           8
        .value_kind:     by_value
      - .offset:         88
        .size:           8
        .value_kind:     by_value
      - .address_space:  global
        .offset:         96
        .size:           8
        .value_kind:     global_buffer
      - .offset:         104
        .size:           8
        .value_kind:     by_value
      - .offset:         112
        .size:           8
        .value_kind:     by_value
      - .offset:         120
        .size:           8
        .value_kind:     by_value
      - .offset:         128
        .size:           4
        .value_kind:     by_value
      - .offset:         136
        .size:           4
        .value_kind:     hidden_block_count_x
      - .offset:         140
        .size:           4
        .value_kind:     hidden_block_count_y
      - .offset:         144
        .size:           4
        .value_kind:     hidden_block_count_z
      - .offset:         148
        .size:           2
        .value_kind:     hidden_group_size_x
      - .offset:         150
        .size:           2
        .value_kind:     hidden_group_size_y
      - .offset:         152
        .size:           2
        .value_kind:     hidden_group_size_z
      - .offset:         154
        .size:           2
        .value_kind:     hidden_remainder_x
      - .offset:         156
        .size:           2
        .value_kind:     hidden_remainder_y
      - .offset:         158
        .size:           2
        .value_kind:     hidden_remainder_z
      - .offset:         176
        .size:           8
        .value_kind:     hidden_global_offset_x
      - .offset:         184
        .size:           8
        .value_kind:     hidden_global_offset_y
      - .offset:         192
        .size:           8
        .value_kind:     hidden_global_offset_z
      - .offset:         200
        .size:           2
        .value_kind:     hidden_grid_dims
    .group_segment_fixed_size: 16384
    .kernarg_segment_align: 8
    .kernarg_segment_size: 392
    .language:       OpenCL C
    .language_version:
      - 2
      - 0
    .max_flat_workgroup_size: 1024
    .name:           _ZL30rocblas_trmm_outofplace_kernelI19rocblas_complex_numIfELi32ELi2ELb0ELb1ELb0ELb0EPKS1_S2_S1_Ev17rocblas_diagonal_iiT6_lPT7_lllS7_lllPT8_llli
    .private_segment_fixed_size: 28
    .sgpr_count:     64
    .sgpr_spill_count: 0
    .symbol:         _ZL30rocblas_trmm_outofplace_kernelI19rocblas_complex_numIfELi32ELi2ELb0ELb1ELb0ELb0EPKS1_S2_S1_Ev17rocblas_diagonal_iiT6_lPT7_lllS7_lllPT8_llli.kd
    .uniform_work_group_size: 1
    .uses_dynamic_stack: false
    .vgpr_count:     64
    .vgpr_spill_count: 6
    .wavefront_size: 64
  - .args:
      - .offset:         0
        .size:           4
        .value_kind:     by_value
      - .offset:         4
        .size:           4
        .value_kind:     by_value
      - .offset:         8
        .size:           4
        .value_kind:     by_value
      - .offset:         12
        .size:           8
        .value_kind:     by_value
      - .offset:         24
        .size:           8
        .value_kind:     by_value
      - .address_space:  global
        .offset:         32
        .size:           8
        .value_kind:     global_buffer
      - .offset:         40
        .size:           8
        .value_kind:     by_value
      - .offset:         48
        .size:           8
        .value_kind:     by_value
      - .offset:         56
        .size:           8
        .value_kind:     by_value
      - .address_space:  global
        .offset:         64
        .size:           8
        .value_kind:     global_buffer
      - .offset:         72
        .size:           8
        .value_kind:     by_value
      - .offset:         80
        .size:           8
        .value_kind:     by_value
      - .offset:         88
        .size:           8
        .value_kind:     by_value
      - .address_space:  global
        .offset:         96
        .size:           8
        .value_kind:     global_buffer
      - .offset:         104
        .size:           8
        .value_kind:     by_value
      - .offset:         112
        .size:           8
        .value_kind:     by_value
      - .offset:         120
        .size:           8
        .value_kind:     by_value
      - .offset:         128
        .size:           4
        .value_kind:     by_value
      - .offset:         136
        .size:           4
        .value_kind:     hidden_block_count_x
      - .offset:         140
        .size:           4
        .value_kind:     hidden_block_count_y
      - .offset:         144
        .size:           4
        .value_kind:     hidden_block_count_z
      - .offset:         148
        .size:           2
        .value_kind:     hidden_group_size_x
      - .offset:         150
        .size:           2
        .value_kind:     hidden_group_size_y
      - .offset:         152
        .size:           2
        .value_kind:     hidden_group_size_z
      - .offset:         154
        .size:           2
        .value_kind:     hidden_remainder_x
      - .offset:         156
        .size:           2
        .value_kind:     hidden_remainder_y
      - .offset:         158
        .size:           2
        .value_kind:     hidden_remainder_z
      - .offset:         176
        .size:           8
        .value_kind:     hidden_global_offset_x
      - .offset:         184
        .size:           8
        .value_kind:     hidden_global_offset_y
      - .offset:         192
        .size:           8
        .value_kind:     hidden_global_offset_z
      - .offset:         200
        .size:           2
        .value_kind:     hidden_grid_dims
    .group_segment_fixed_size: 16384
    .kernarg_segment_align: 8
    .kernarg_segment_size: 392
    .language:       OpenCL C
    .language_version:
      - 2
      - 0
    .max_flat_workgroup_size: 1024
    .name:           _ZL30rocblas_trmm_outofplace_kernelI19rocblas_complex_numIfELi32ELi2ELb0ELb1ELb0ELb0ES1_KS1_S1_Ev17rocblas_diagonal_iiT6_lPT7_lllS6_lllPT8_llli
    .private_segment_fixed_size: 28
    .sgpr_count:     64
    .sgpr_spill_count: 0
    .symbol:         _ZL30rocblas_trmm_outofplace_kernelI19rocblas_complex_numIfELi32ELi2ELb0ELb1ELb0ELb0ES1_KS1_S1_Ev17rocblas_diagonal_iiT6_lPT7_lllS6_lllPT8_llli.kd
    .uniform_work_group_size: 1
    .uses_dynamic_stack: false
    .vgpr_count:     64
    .vgpr_spill_count: 6
    .wavefront_size: 64
  - .args:
      - .offset:         0
        .size:           4
        .value_kind:     by_value
      - .offset:         4
        .size:           4
        .value_kind:     by_value
      - .offset:         8
        .size:           4
        .value_kind:     by_value
      - .address_space:  global
        .offset:         16
        .size:           8
        .value_kind:     global_buffer
      - .offset:         24
        .size:           8
        .value_kind:     by_value
      - .address_space:  global
        .offset:         32
        .size:           8
        .value_kind:     global_buffer
      - .offset:         40
        .size:           8
        .value_kind:     by_value
      - .offset:         48
        .size:           8
        .value_kind:     by_value
      - .offset:         56
        .size:           8
        .value_kind:     by_value
      - .address_space:  global
        .offset:         64
        .size:           8
        .value_kind:     global_buffer
      - .offset:         72
        .size:           8
        .value_kind:     by_value
      - .offset:         80
        .size:           8
        .value_kind:     by_value
      - .offset:         88
        .size:           8
        .value_kind:     by_value
      - .address_space:  global
        .offset:         96
        .size:           8
        .value_kind:     global_buffer
      - .offset:         104
        .size:           8
        .value_kind:     by_value
      - .offset:         112
        .size:           8
        .value_kind:     by_value
      - .offset:         120
        .size:           8
        .value_kind:     by_value
      - .offset:         128
        .size:           4
        .value_kind:     by_value
      - .offset:         136
        .size:           4
        .value_kind:     hidden_block_count_x
      - .offset:         140
        .size:           4
        .value_kind:     hidden_block_count_y
      - .offset:         144
        .size:           4
        .value_kind:     hidden_block_count_z
      - .offset:         148
        .size:           2
        .value_kind:     hidden_group_size_x
      - .offset:         150
        .size:           2
        .value_kind:     hidden_group_size_y
      - .offset:         152
        .size:           2
        .value_kind:     hidden_group_size_z
      - .offset:         154
        .size:           2
        .value_kind:     hidden_remainder_x
      - .offset:         156
        .size:           2
        .value_kind:     hidden_remainder_y
      - .offset:         158
        .size:           2
        .value_kind:     hidden_remainder_z
      - .offset:         176
        .size:           8
        .value_kind:     hidden_global_offset_x
      - .offset:         184
        .size:           8
        .value_kind:     hidden_global_offset_y
      - .offset:         192
        .size:           8
        .value_kind:     hidden_global_offset_z
      - .offset:         200
        .size:           2
        .value_kind:     hidden_grid_dims
    .group_segment_fixed_size: 16384
    .kernarg_segment_align: 8
    .kernarg_segment_size: 392
    .language:       OpenCL C
    .language_version:
      - 2
      - 0
    .max_flat_workgroup_size: 1024
    .name:           _ZL30rocblas_trmm_outofplace_kernelI19rocblas_complex_numIfELi32ELi2ELb0ELb0ELb1ELb0EPKS1_S2_S1_Ev17rocblas_diagonal_iiT6_lPT7_lllS7_lllPT8_llli
    .private_segment_fixed_size: 44
    .sgpr_count:     60
    .sgpr_spill_count: 0
    .symbol:         _ZL30rocblas_trmm_outofplace_kernelI19rocblas_complex_numIfELi32ELi2ELb0ELb0ELb1ELb0EPKS1_S2_S1_Ev17rocblas_diagonal_iiT6_lPT7_lllS7_lllPT8_llli.kd
    .uniform_work_group_size: 1
    .uses_dynamic_stack: false
    .vgpr_count:     64
    .vgpr_spill_count: 10
    .wavefront_size: 64
  - .args:
      - .offset:         0
        .size:           4
        .value_kind:     by_value
      - .offset:         4
        .size:           4
        .value_kind:     by_value
      - .offset:         8
        .size:           4
        .value_kind:     by_value
      - .offset:         12
        .size:           8
        .value_kind:     by_value
      - .offset:         24
        .size:           8
        .value_kind:     by_value
      - .address_space:  global
        .offset:         32
        .size:           8
        .value_kind:     global_buffer
      - .offset:         40
        .size:           8
        .value_kind:     by_value
      - .offset:         48
        .size:           8
        .value_kind:     by_value
      - .offset:         56
        .size:           8
        .value_kind:     by_value
      - .address_space:  global
        .offset:         64
        .size:           8
        .value_kind:     global_buffer
      - .offset:         72
        .size:           8
        .value_kind:     by_value
      - .offset:         80
        .size:           8
        .value_kind:     by_value
      - .offset:         88
        .size:           8
        .value_kind:     by_value
      - .address_space:  global
        .offset:         96
        .size:           8
        .value_kind:     global_buffer
      - .offset:         104
        .size:           8
        .value_kind:     by_value
      - .offset:         112
        .size:           8
        .value_kind:     by_value
      - .offset:         120
        .size:           8
        .value_kind:     by_value
      - .offset:         128
        .size:           4
        .value_kind:     by_value
      - .offset:         136
        .size:           4
        .value_kind:     hidden_block_count_x
      - .offset:         140
        .size:           4
        .value_kind:     hidden_block_count_y
      - .offset:         144
        .size:           4
        .value_kind:     hidden_block_count_z
      - .offset:         148
        .size:           2
        .value_kind:     hidden_group_size_x
      - .offset:         150
        .size:           2
        .value_kind:     hidden_group_size_y
      - .offset:         152
        .size:           2
        .value_kind:     hidden_group_size_z
      - .offset:         154
        .size:           2
        .value_kind:     hidden_remainder_x
      - .offset:         156
        .size:           2
        .value_kind:     hidden_remainder_y
      - .offset:         158
        .size:           2
        .value_kind:     hidden_remainder_z
      - .offset:         176
        .size:           8
        .value_kind:     hidden_global_offset_x
      - .offset:         184
        .size:           8
        .value_kind:     hidden_global_offset_y
      - .offset:         192
        .size:           8
        .value_kind:     hidden_global_offset_z
      - .offset:         200
        .size:           2
        .value_kind:     hidden_grid_dims
    .group_segment_fixed_size: 16384
    .kernarg_segment_align: 8
    .kernarg_segment_size: 392
    .language:       OpenCL C
    .language_version:
      - 2
      - 0
    .max_flat_workgroup_size: 1024
    .name:           _ZL30rocblas_trmm_outofplace_kernelI19rocblas_complex_numIfELi32ELi2ELb0ELb0ELb1ELb0ES1_KS1_S1_Ev17rocblas_diagonal_iiT6_lPT7_lllS6_lllPT8_llli
    .private_segment_fixed_size: 44
    .sgpr_count:     60
    .sgpr_spill_count: 0
    .symbol:         _ZL30rocblas_trmm_outofplace_kernelI19rocblas_complex_numIfELi32ELi2ELb0ELb0ELb1ELb0ES1_KS1_S1_Ev17rocblas_diagonal_iiT6_lPT7_lllS6_lllPT8_llli.kd
    .uniform_work_group_size: 1
    .uses_dynamic_stack: false
    .vgpr_count:     64
    .vgpr_spill_count: 10
    .wavefront_size: 64
  - .args:
      - .offset:         0
        .size:           4
        .value_kind:     by_value
      - .offset:         4
        .size:           4
        .value_kind:     by_value
      - .offset:         8
        .size:           4
        .value_kind:     by_value
      - .address_space:  global
        .offset:         16
        .size:           8
        .value_kind:     global_buffer
      - .offset:         24
        .size:           8
        .value_kind:     by_value
      - .address_space:  global
        .offset:         32
        .size:           8
        .value_kind:     global_buffer
      - .offset:         40
        .size:           8
        .value_kind:     by_value
      - .offset:         48
        .size:           8
        .value_kind:     by_value
      - .offset:         56
        .size:           8
        .value_kind:     by_value
      - .address_space:  global
        .offset:         64
        .size:           8
        .value_kind:     global_buffer
      - .offset:         72
        .size:           8
        .value_kind:     by_value
      - .offset:         80
        .size:           8
        .value_kind:     by_value
      - .offset:         88
        .size:           8
        .value_kind:     by_value
      - .address_space:  global
        .offset:         96
        .size:           8
        .value_kind:     global_buffer
      - .offset:         104
        .size:           8
        .value_kind:     by_value
      - .offset:         112
        .size:           8
        .value_kind:     by_value
      - .offset:         120
        .size:           8
        .value_kind:     by_value
      - .offset:         128
        .size:           4
        .value_kind:     by_value
      - .offset:         136
        .size:           4
        .value_kind:     hidden_block_count_x
      - .offset:         140
        .size:           4
        .value_kind:     hidden_block_count_y
      - .offset:         144
        .size:           4
        .value_kind:     hidden_block_count_z
      - .offset:         148
        .size:           2
        .value_kind:     hidden_group_size_x
      - .offset:         150
        .size:           2
        .value_kind:     hidden_group_size_y
      - .offset:         152
        .size:           2
        .value_kind:     hidden_group_size_z
      - .offset:         154
        .size:           2
        .value_kind:     hidden_remainder_x
      - .offset:         156
        .size:           2
        .value_kind:     hidden_remainder_y
      - .offset:         158
        .size:           2
        .value_kind:     hidden_remainder_z
      - .offset:         176
        .size:           8
        .value_kind:     hidden_global_offset_x
      - .offset:         184
        .size:           8
        .value_kind:     hidden_global_offset_y
      - .offset:         192
        .size:           8
        .value_kind:     hidden_global_offset_z
      - .offset:         200
        .size:           2
        .value_kind:     hidden_grid_dims
    .group_segment_fixed_size: 16384
    .kernarg_segment_align: 8
    .kernarg_segment_size: 392
    .language:       OpenCL C
    .language_version:
      - 2
      - 0
    .max_flat_workgroup_size: 1024
    .name:           _ZL30rocblas_trmm_outofplace_kernelI19rocblas_complex_numIfELi32ELi2ELb0ELb1ELb1ELb0EPKS1_S2_S1_Ev17rocblas_diagonal_iiT6_lPT7_lllS7_lllPT8_llli
    .private_segment_fixed_size: 36
    .sgpr_count:     76
    .sgpr_spill_count: 0
    .symbol:         _ZL30rocblas_trmm_outofplace_kernelI19rocblas_complex_numIfELi32ELi2ELb0ELb1ELb1ELb0EPKS1_S2_S1_Ev17rocblas_diagonal_iiT6_lPT7_lllS7_lllPT8_llli.kd
    .uniform_work_group_size: 1
    .uses_dynamic_stack: false
    .vgpr_count:     64
    .vgpr_spill_count: 8
    .wavefront_size: 64
  - .args:
      - .offset:         0
        .size:           4
        .value_kind:     by_value
      - .offset:         4
        .size:           4
        .value_kind:     by_value
      - .offset:         8
        .size:           4
        .value_kind:     by_value
      - .offset:         12
        .size:           8
        .value_kind:     by_value
      - .offset:         24
        .size:           8
        .value_kind:     by_value
      - .address_space:  global
        .offset:         32
        .size:           8
        .value_kind:     global_buffer
      - .offset:         40
        .size:           8
        .value_kind:     by_value
      - .offset:         48
        .size:           8
        .value_kind:     by_value
      - .offset:         56
        .size:           8
        .value_kind:     by_value
      - .address_space:  global
        .offset:         64
        .size:           8
        .value_kind:     global_buffer
      - .offset:         72
        .size:           8
        .value_kind:     by_value
      - .offset:         80
        .size:           8
        .value_kind:     by_value
      - .offset:         88
        .size:           8
        .value_kind:     by_value
      - .address_space:  global
        .offset:         96
        .size:           8
        .value_kind:     global_buffer
      - .offset:         104
        .size:           8
        .value_kind:     by_value
      - .offset:         112
        .size:           8
        .value_kind:     by_value
      - .offset:         120
        .size:           8
        .value_kind:     by_value
      - .offset:         128
        .size:           4
        .value_kind:     by_value
      - .offset:         136
        .size:           4
        .value_kind:     hidden_block_count_x
      - .offset:         140
        .size:           4
        .value_kind:     hidden_block_count_y
      - .offset:         144
        .size:           4
        .value_kind:     hidden_block_count_z
      - .offset:         148
        .size:           2
        .value_kind:     hidden_group_size_x
      - .offset:         150
        .size:           2
        .value_kind:     hidden_group_size_y
      - .offset:         152
        .size:           2
        .value_kind:     hidden_group_size_z
      - .offset:         154
        .size:           2
        .value_kind:     hidden_remainder_x
      - .offset:         156
        .size:           2
        .value_kind:     hidden_remainder_y
      - .offset:         158
        .size:           2
        .value_kind:     hidden_remainder_z
      - .offset:         176
        .size:           8
        .value_kind:     hidden_global_offset_x
      - .offset:         184
        .size:           8
        .value_kind:     hidden_global_offset_y
      - .offset:         192
        .size:           8
        .value_kind:     hidden_global_offset_z
      - .offset:         200
        .size:           2
        .value_kind:     hidden_grid_dims
    .group_segment_fixed_size: 16384
    .kernarg_segment_align: 8
    .kernarg_segment_size: 392
    .language:       OpenCL C
    .language_version:
      - 2
      - 0
    .max_flat_workgroup_size: 1024
    .name:           _ZL30rocblas_trmm_outofplace_kernelI19rocblas_complex_numIfELi32ELi2ELb0ELb1ELb1ELb0ES1_KS1_S1_Ev17rocblas_diagonal_iiT6_lPT7_lllS6_lllPT8_llli
    .private_segment_fixed_size: 36
    .sgpr_count:     76
    .sgpr_spill_count: 0
    .symbol:         _ZL30rocblas_trmm_outofplace_kernelI19rocblas_complex_numIfELi32ELi2ELb0ELb1ELb1ELb0ES1_KS1_S1_Ev17rocblas_diagonal_iiT6_lPT7_lllS6_lllPT8_llli.kd
    .uniform_work_group_size: 1
    .uses_dynamic_stack: false
    .vgpr_count:     64
    .vgpr_spill_count: 8
    .wavefront_size: 64
  - .args:
      - .offset:         0
        .size:           4
        .value_kind:     by_value
      - .offset:         4
        .size:           4
        .value_kind:     by_value
      - .offset:         8
        .size:           4
        .value_kind:     by_value
      - .address_space:  global
        .offset:         16
        .size:           8
        .value_kind:     global_buffer
      - .offset:         24
        .size:           8
        .value_kind:     by_value
      - .address_space:  global
        .offset:         32
        .size:           8
        .value_kind:     global_buffer
      - .offset:         40
        .size:           8
        .value_kind:     by_value
      - .offset:         48
        .size:           8
        .value_kind:     by_value
      - .offset:         56
        .size:           8
        .value_kind:     by_value
      - .address_space:  global
        .offset:         64
        .size:           8
        .value_kind:     global_buffer
      - .offset:         72
        .size:           8
        .value_kind:     by_value
      - .offset:         80
        .size:           8
        .value_kind:     by_value
      - .offset:         88
        .size:           8
        .value_kind:     by_value
      - .address_space:  global
        .offset:         96
        .size:           8
        .value_kind:     global_buffer
      - .offset:         104
        .size:           8
        .value_kind:     by_value
      - .offset:         112
        .size:           8
        .value_kind:     by_value
      - .offset:         120
        .size:           8
        .value_kind:     by_value
      - .offset:         128
        .size:           4
        .value_kind:     by_value
      - .offset:         136
        .size:           4
        .value_kind:     hidden_block_count_x
      - .offset:         140
        .size:           4
        .value_kind:     hidden_block_count_y
      - .offset:         144
        .size:           4
        .value_kind:     hidden_block_count_z
      - .offset:         148
        .size:           2
        .value_kind:     hidden_group_size_x
      - .offset:         150
        .size:           2
        .value_kind:     hidden_group_size_y
      - .offset:         152
        .size:           2
        .value_kind:     hidden_group_size_z
      - .offset:         154
        .size:           2
        .value_kind:     hidden_remainder_x
      - .offset:         156
        .size:           2
        .value_kind:     hidden_remainder_y
      - .offset:         158
        .size:           2
        .value_kind:     hidden_remainder_z
      - .offset:         176
        .size:           8
        .value_kind:     hidden_global_offset_x
      - .offset:         184
        .size:           8
        .value_kind:     hidden_global_offset_y
      - .offset:         192
        .size:           8
        .value_kind:     hidden_global_offset_z
      - .offset:         200
        .size:           2
        .value_kind:     hidden_grid_dims
    .group_segment_fixed_size: 16384
    .kernarg_segment_align: 8
    .kernarg_segment_size: 392
    .language:       OpenCL C
    .language_version:
      - 2
      - 0
    .max_flat_workgroup_size: 1024
    .name:           _ZL30rocblas_trmm_outofplace_kernelI19rocblas_complex_numIfELi32ELi2ELb0ELb0ELb1ELb1EPKS1_S2_S1_Ev17rocblas_diagonal_iiT6_lPT7_lllS7_lllPT8_llli
    .private_segment_fixed_size: 44
    .sgpr_count:     60
    .sgpr_spill_count: 0
    .symbol:         _ZL30rocblas_trmm_outofplace_kernelI19rocblas_complex_numIfELi32ELi2ELb0ELb0ELb1ELb1EPKS1_S2_S1_Ev17rocblas_diagonal_iiT6_lPT7_lllS7_lllPT8_llli.kd
    .uniform_work_group_size: 1
    .uses_dynamic_stack: false
    .vgpr_count:     64
    .vgpr_spill_count: 10
    .wavefront_size: 64
  - .args:
      - .offset:         0
        .size:           4
        .value_kind:     by_value
      - .offset:         4
        .size:           4
        .value_kind:     by_value
      - .offset:         8
        .size:           4
        .value_kind:     by_value
      - .offset:         12
        .size:           8
        .value_kind:     by_value
      - .offset:         24
        .size:           8
        .value_kind:     by_value
      - .address_space:  global
        .offset:         32
        .size:           8
        .value_kind:     global_buffer
      - .offset:         40
        .size:           8
        .value_kind:     by_value
      - .offset:         48
        .size:           8
        .value_kind:     by_value
      - .offset:         56
        .size:           8
        .value_kind:     by_value
      - .address_space:  global
        .offset:         64
        .size:           8
        .value_kind:     global_buffer
      - .offset:         72
        .size:           8
        .value_kind:     by_value
      - .offset:         80
        .size:           8
        .value_kind:     by_value
      - .offset:         88
        .size:           8
        .value_kind:     by_value
      - .address_space:  global
        .offset:         96
        .size:           8
        .value_kind:     global_buffer
      - .offset:         104
        .size:           8
        .value_kind:     by_value
      - .offset:         112
        .size:           8
        .value_kind:     by_value
      - .offset:         120
        .size:           8
        .value_kind:     by_value
      - .offset:         128
        .size:           4
        .value_kind:     by_value
      - .offset:         136
        .size:           4
        .value_kind:     hidden_block_count_x
      - .offset:         140
        .size:           4
        .value_kind:     hidden_block_count_y
      - .offset:         144
        .size:           4
        .value_kind:     hidden_block_count_z
      - .offset:         148
        .size:           2
        .value_kind:     hidden_group_size_x
      - .offset:         150
        .size:           2
        .value_kind:     hidden_group_size_y
      - .offset:         152
        .size:           2
        .value_kind:     hidden_group_size_z
      - .offset:         154
        .size:           2
        .value_kind:     hidden_remainder_x
      - .offset:         156
        .size:           2
        .value_kind:     hidden_remainder_y
      - .offset:         158
        .size:           2
        .value_kind:     hidden_remainder_z
      - .offset:         176
        .size:           8
        .value_kind:     hidden_global_offset_x
      - .offset:         184
        .size:           8
        .value_kind:     hidden_global_offset_y
      - .offset:         192
        .size:           8
        .value_kind:     hidden_global_offset_z
      - .offset:         200
        .size:           2
        .value_kind:     hidden_grid_dims
    .group_segment_fixed_size: 16384
    .kernarg_segment_align: 8
    .kernarg_segment_size: 392
    .language:       OpenCL C
    .language_version:
      - 2
      - 0
    .max_flat_workgroup_size: 1024
    .name:           _ZL30rocblas_trmm_outofplace_kernelI19rocblas_complex_numIfELi32ELi2ELb0ELb0ELb1ELb1ES1_KS1_S1_Ev17rocblas_diagonal_iiT6_lPT7_lllS6_lllPT8_llli
    .private_segment_fixed_size: 44
    .sgpr_count:     60
    .sgpr_spill_count: 0
    .symbol:         _ZL30rocblas_trmm_outofplace_kernelI19rocblas_complex_numIfELi32ELi2ELb0ELb0ELb1ELb1ES1_KS1_S1_Ev17rocblas_diagonal_iiT6_lPT7_lllS6_lllPT8_llli.kd
    .uniform_work_group_size: 1
    .uses_dynamic_stack: false
    .vgpr_count:     64
    .vgpr_spill_count: 10
    .wavefront_size: 64
  - .args:
      - .offset:         0
        .size:           4
        .value_kind:     by_value
      - .offset:         4
        .size:           4
        .value_kind:     by_value
      - .offset:         8
        .size:           4
        .value_kind:     by_value
      - .address_space:  global
        .offset:         16
        .size:           8
        .value_kind:     global_buffer
      - .offset:         24
        .size:           8
        .value_kind:     by_value
      - .address_space:  global
        .offset:         32
        .size:           8
        .value_kind:     global_buffer
      - .offset:         40
        .size:           8
        .value_kind:     by_value
      - .offset:         48
        .size:           8
        .value_kind:     by_value
      - .offset:         56
        .size:           8
        .value_kind:     by_value
      - .address_space:  global
        .offset:         64
        .size:           8
        .value_kind:     global_buffer
      - .offset:         72
        .size:           8
        .value_kind:     by_value
      - .offset:         80
        .size:           8
        .value_kind:     by_value
      - .offset:         88
        .size:           8
        .value_kind:     by_value
      - .address_space:  global
        .offset:         96
        .size:           8
        .value_kind:     global_buffer
      - .offset:         104
        .size:           8
        .value_kind:     by_value
      - .offset:         112
        .size:           8
        .value_kind:     by_value
      - .offset:         120
        .size:           8
        .value_kind:     by_value
      - .offset:         128
        .size:           4
        .value_kind:     by_value
      - .offset:         136
        .size:           4
        .value_kind:     hidden_block_count_x
      - .offset:         140
        .size:           4
        .value_kind:     hidden_block_count_y
      - .offset:         144
        .size:           4
        .value_kind:     hidden_block_count_z
      - .offset:         148
        .size:           2
        .value_kind:     hidden_group_size_x
      - .offset:         150
        .size:           2
        .value_kind:     hidden_group_size_y
      - .offset:         152
        .size:           2
        .value_kind:     hidden_group_size_z
      - .offset:         154
        .size:           2
        .value_kind:     hidden_remainder_x
      - .offset:         156
        .size:           2
        .value_kind:     hidden_remainder_y
      - .offset:         158
        .size:           2
        .value_kind:     hidden_remainder_z
      - .offset:         176
        .size:           8
        .value_kind:     hidden_global_offset_x
      - .offset:         184
        .size:           8
        .value_kind:     hidden_global_offset_y
      - .offset:         192
        .size:           8
        .value_kind:     hidden_global_offset_z
      - .offset:         200
        .size:           2
        .value_kind:     hidden_grid_dims
    .group_segment_fixed_size: 16384
    .kernarg_segment_align: 8
    .kernarg_segment_size: 392
    .language:       OpenCL C
    .language_version:
      - 2
      - 0
    .max_flat_workgroup_size: 1024
    .name:           _ZL30rocblas_trmm_outofplace_kernelI19rocblas_complex_numIfELi32ELi2ELb0ELb1ELb1ELb1EPKS1_S2_S1_Ev17rocblas_diagonal_iiT6_lPT7_lllS7_lllPT8_llli
    .private_segment_fixed_size: 36
    .sgpr_count:     76
    .sgpr_spill_count: 0
    .symbol:         _ZL30rocblas_trmm_outofplace_kernelI19rocblas_complex_numIfELi32ELi2ELb0ELb1ELb1ELb1EPKS1_S2_S1_Ev17rocblas_diagonal_iiT6_lPT7_lllS7_lllPT8_llli.kd
    .uniform_work_group_size: 1
    .uses_dynamic_stack: false
    .vgpr_count:     64
    .vgpr_spill_count: 8
    .wavefront_size: 64
  - .args:
      - .offset:         0
        .size:           4
        .value_kind:     by_value
      - .offset:         4
        .size:           4
        .value_kind:     by_value
      - .offset:         8
        .size:           4
        .value_kind:     by_value
      - .offset:         12
        .size:           8
        .value_kind:     by_value
      - .offset:         24
        .size:           8
        .value_kind:     by_value
      - .address_space:  global
        .offset:         32
        .size:           8
        .value_kind:     global_buffer
      - .offset:         40
        .size:           8
        .value_kind:     by_value
      - .offset:         48
        .size:           8
        .value_kind:     by_value
      - .offset:         56
        .size:           8
        .value_kind:     by_value
      - .address_space:  global
        .offset:         64
        .size:           8
        .value_kind:     global_buffer
      - .offset:         72
        .size:           8
        .value_kind:     by_value
      - .offset:         80
        .size:           8
        .value_kind:     by_value
      - .offset:         88
        .size:           8
        .value_kind:     by_value
      - .address_space:  global
        .offset:         96
        .size:           8
        .value_kind:     global_buffer
      - .offset:         104
        .size:           8
        .value_kind:     by_value
      - .offset:         112
        .size:           8
        .value_kind:     by_value
      - .offset:         120
        .size:           8
        .value_kind:     by_value
      - .offset:         128
        .size:           4
        .value_kind:     by_value
      - .offset:         136
        .size:           4
        .value_kind:     hidden_block_count_x
      - .offset:         140
        .size:           4
        .value_kind:     hidden_block_count_y
      - .offset:         144
        .size:           4
        .value_kind:     hidden_block_count_z
      - .offset:         148
        .size:           2
        .value_kind:     hidden_group_size_x
      - .offset:         150
        .size:           2
        .value_kind:     hidden_group_size_y
      - .offset:         152
        .size:           2
        .value_kind:     hidden_group_size_z
      - .offset:         154
        .size:           2
        .value_kind:     hidden_remainder_x
      - .offset:         156
        .size:           2
        .value_kind:     hidden_remainder_y
      - .offset:         158
        .size:           2
        .value_kind:     hidden_remainder_z
      - .offset:         176
        .size:           8
        .value_kind:     hidden_global_offset_x
      - .offset:         184
        .size:           8
        .value_kind:     hidden_global_offset_y
      - .offset:         192
        .size:           8
        .value_kind:     hidden_global_offset_z
      - .offset:         200
        .size:           2
        .value_kind:     hidden_grid_dims
    .group_segment_fixed_size: 16384
    .kernarg_segment_align: 8
    .kernarg_segment_size: 392
    .language:       OpenCL C
    .language_version:
      - 2
      - 0
    .max_flat_workgroup_size: 1024
    .name:           _ZL30rocblas_trmm_outofplace_kernelI19rocblas_complex_numIfELi32ELi2ELb0ELb1ELb1ELb1ES1_KS1_S1_Ev17rocblas_diagonal_iiT6_lPT7_lllS6_lllPT8_llli
    .private_segment_fixed_size: 36
    .sgpr_count:     76
    .sgpr_spill_count: 0
    .symbol:         _ZL30rocblas_trmm_outofplace_kernelI19rocblas_complex_numIfELi32ELi2ELb0ELb1ELb1ELb1ES1_KS1_S1_Ev17rocblas_diagonal_iiT6_lPT7_lllS6_lllPT8_llli.kd
    .uniform_work_group_size: 1
    .uses_dynamic_stack: false
    .vgpr_count:     64
    .vgpr_spill_count: 8
    .wavefront_size: 64
  - .args:
      - .offset:         0
        .size:           4
        .value_kind:     by_value
      - .offset:         4
        .size:           4
        .value_kind:     by_value
      - .offset:         8
        .size:           4
        .value_kind:     by_value
      - .offset:         12
        .size:           4
        .value_kind:     by_value
      - .address_space:  global
        .offset:         16
        .size:           8
        .value_kind:     global_buffer
      - .offset:         24
        .size:           8
        .value_kind:     by_value
      - .address_space:  global
        .offset:         32
        .size:           8
        .value_kind:     global_buffer
      - .offset:         40
        .size:           8
        .value_kind:     by_value
      - .offset:         48
        .size:           8
        .value_kind:     by_value
      - .address_space:  global
        .offset:         56
        .size:           8
        .value_kind:     global_buffer
      - .offset:         64
        .size:           8
        .value_kind:     by_value
      - .offset:         72
        .size:           8
        .value_kind:     by_value
      - .address_space:  global
        .offset:         80
        .size:           8
        .value_kind:     global_buffer
      - .offset:         88
        .size:           8
        .value_kind:     by_value
      - .offset:         96
        .size:           8
        .value_kind:     by_value
      - .offset:         104
        .size:           4
        .value_kind:     by_value
    .group_segment_fixed_size: 4096
    .kernarg_segment_align: 8
    .kernarg_segment_size: 108
    .language:       OpenCL C
    .language_version:
      - 2
      - 0
    .max_flat_workgroup_size: 256
    .name:           _ZL23rocblas_trmm_lNx_kernelILi16E19rocblas_complex_numIfEPKS1_S2_S1_Ev13rocblas_fill_17rocblas_diagonal_iiT1_lPT2_llS8_llPT3_lli
    .private_segment_fixed_size: 0
    .sgpr_count:     30
    .sgpr_spill_count: 0
    .symbol:         _ZL23rocblas_trmm_lNx_kernelILi16E19rocblas_complex_numIfEPKS1_S2_S1_Ev13rocblas_fill_17rocblas_diagonal_iiT1_lPT2_llS8_llPT3_lli.kd
    .uniform_work_group_size: 1
    .uses_dynamic_stack: false
    .vgpr_count:     39
    .vgpr_spill_count: 0
    .wavefront_size: 64
  - .args:
      - .offset:         0
        .size:           4
        .value_kind:     by_value
      - .offset:         4
        .size:           4
        .value_kind:     by_value
      - .offset:         8
        .size:           4
        .value_kind:     by_value
      - .offset:         12
        .size:           4
        .value_kind:     by_value
      - .offset:         16
        .size:           8
        .value_kind:     by_value
      - .offset:         24
        .size:           8
        .value_kind:     by_value
      - .address_space:  global
        .offset:         32
        .size:           8
        .value_kind:     global_buffer
      - .offset:         40
        .size:           8
        .value_kind:     by_value
      - .offset:         48
        .size:           8
        .value_kind:     by_value
      - .address_space:  global
        .offset:         56
        .size:           8
        .value_kind:     global_buffer
      - .offset:         64
        .size:           8
        .value_kind:     by_value
      - .offset:         72
        .size:           8
        .value_kind:     by_value
      - .address_space:  global
        .offset:         80
        .size:           8
        .value_kind:     global_buffer
      - .offset:         88
        .size:           8
        .value_kind:     by_value
      - .offset:         96
        .size:           8
        .value_kind:     by_value
      - .offset:         104
        .size:           4
        .value_kind:     by_value
    .group_segment_fixed_size: 4096
    .kernarg_segment_align: 8
    .kernarg_segment_size: 108
    .language:       OpenCL C
    .language_version:
      - 2
      - 0
    .max_flat_workgroup_size: 256
    .name:           _ZL23rocblas_trmm_lNx_kernelILi16E19rocblas_complex_numIfES1_KS1_S1_Ev13rocblas_fill_17rocblas_diagonal_iiT1_lPT2_llS7_llPT3_lli
    .private_segment_fixed_size: 0
    .sgpr_count:     34
    .sgpr_spill_count: 0
    .symbol:         _ZL23rocblas_trmm_lNx_kernelILi16E19rocblas_complex_numIfES1_KS1_S1_Ev13rocblas_fill_17rocblas_diagonal_iiT1_lPT2_llS7_llPT3_lli.kd
    .uniform_work_group_size: 1
    .uses_dynamic_stack: false
    .vgpr_count:     39
    .vgpr_spill_count: 0
    .wavefront_size: 64
  - .args:
      - .offset:         0
        .size:           4
        .value_kind:     by_value
      - .offset:         4
        .size:           4
        .value_kind:     by_value
      - .offset:         8
        .size:           4
        .value_kind:     by_value
      - .offset:         12
        .size:           4
        .value_kind:     by_value
      - .address_space:  global
        .offset:         16
        .size:           8
        .value_kind:     global_buffer
      - .offset:         24
        .size:           8
        .value_kind:     by_value
      - .address_space:  global
        .offset:         32
        .size:           8
        .value_kind:     global_buffer
      - .offset:         40
        .size:           8
        .value_kind:     by_value
      - .offset:         48
        .size:           8
        .value_kind:     by_value
      - .address_space:  global
        .offset:         56
        .size:           8
        .value_kind:     global_buffer
      - .offset:         64
        .size:           8
        .value_kind:     by_value
      - .offset:         72
        .size:           8
        .value_kind:     by_value
      - .address_space:  global
        .offset:         80
        .size:           8
        .value_kind:     global_buffer
      - .offset:         88
        .size:           8
        .value_kind:     by_value
      - .offset:         96
        .size:           8
        .value_kind:     by_value
      - .offset:         104
        .size:           4
        .value_kind:     by_value
    .group_segment_fixed_size: 4096
    .kernarg_segment_align: 8
    .kernarg_segment_size: 108
    .language:       OpenCL C
    .language_version:
      - 2
      - 0
    .max_flat_workgroup_size: 256
    .name:           _ZL23rocblas_trmm_lTx_kernelILi16ELb0E19rocblas_complex_numIfEPKS1_S2_S1_Ev13rocblas_fill_17rocblas_diagonal_iiT2_lPT3_llS8_llPT4_lli
    .private_segment_fixed_size: 0
    .sgpr_count:     30
    .sgpr_spill_count: 0
    .symbol:         _ZL23rocblas_trmm_lTx_kernelILi16ELb0E19rocblas_complex_numIfEPKS1_S2_S1_Ev13rocblas_fill_17rocblas_diagonal_iiT2_lPT3_llS8_llPT4_lli.kd
    .uniform_work_group_size: 1
    .uses_dynamic_stack: false
    .vgpr_count:     39
    .vgpr_spill_count: 0
    .wavefront_size: 64
  - .args:
      - .offset:         0
        .size:           4
        .value_kind:     by_value
      - .offset:         4
        .size:           4
        .value_kind:     by_value
      - .offset:         8
        .size:           4
        .value_kind:     by_value
      - .offset:         12
        .size:           4
        .value_kind:     by_value
      - .offset:         16
        .size:           8
        .value_kind:     by_value
      - .offset:         24
        .size:           8
        .value_kind:     by_value
      - .address_space:  global
        .offset:         32
        .size:           8
        .value_kind:     global_buffer
      - .offset:         40
        .size:           8
        .value_kind:     by_value
      - .offset:         48
        .size:           8
        .value_kind:     by_value
      - .address_space:  global
        .offset:         56
        .size:           8
        .value_kind:     global_buffer
      - .offset:         64
        .size:           8
        .value_kind:     by_value
      - .offset:         72
        .size:           8
        .value_kind:     by_value
      - .address_space:  global
        .offset:         80
        .size:           8
        .value_kind:     global_buffer
      - .offset:         88
        .size:           8
        .value_kind:     by_value
      - .offset:         96
        .size:           8
        .value_kind:     by_value
      - .offset:         104
        .size:           4
        .value_kind:     by_value
    .group_segment_fixed_size: 4096
    .kernarg_segment_align: 8
    .kernarg_segment_size: 108
    .language:       OpenCL C
    .language_version:
      - 2
      - 0
    .max_flat_workgroup_size: 256
    .name:           _ZL23rocblas_trmm_lTx_kernelILi16ELb0E19rocblas_complex_numIfES1_KS1_S1_Ev13rocblas_fill_17rocblas_diagonal_iiT2_lPT3_llS7_llPT4_lli
    .private_segment_fixed_size: 0
    .sgpr_count:     34
    .sgpr_spill_count: 0
    .symbol:         _ZL23rocblas_trmm_lTx_kernelILi16ELb0E19rocblas_complex_numIfES1_KS1_S1_Ev13rocblas_fill_17rocblas_diagonal_iiT2_lPT3_llS7_llPT4_lli.kd
    .uniform_work_group_size: 1
    .uses_dynamic_stack: false
    .vgpr_count:     39
    .vgpr_spill_count: 0
    .wavefront_size: 64
  - .args:
      - .offset:         0
        .size:           4
        .value_kind:     by_value
      - .offset:         4
        .size:           4
        .value_kind:     by_value
      - .offset:         8
        .size:           4
        .value_kind:     by_value
      - .offset:         12
        .size:           4
        .value_kind:     by_value
      - .address_space:  global
        .offset:         16
        .size:           8
        .value_kind:     global_buffer
      - .offset:         24
        .size:           8
        .value_kind:     by_value
      - .address_space:  global
        .offset:         32
        .size:           8
        .value_kind:     global_buffer
      - .offset:         40
        .size:           8
        .value_kind:     by_value
      - .offset:         48
        .size:           8
        .value_kind:     by_value
      - .address_space:  global
        .offset:         56
        .size:           8
        .value_kind:     global_buffer
      - .offset:         64
        .size:           8
        .value_kind:     by_value
      - .offset:         72
        .size:           8
        .value_kind:     by_value
      - .address_space:  global
        .offset:         80
        .size:           8
        .value_kind:     global_buffer
      - .offset:         88
        .size:           8
        .value_kind:     by_value
      - .offset:         96
        .size:           8
        .value_kind:     by_value
      - .offset:         104
        .size:           4
        .value_kind:     by_value
    .group_segment_fixed_size: 4096
    .kernarg_segment_align: 8
    .kernarg_segment_size: 108
    .language:       OpenCL C
    .language_version:
      - 2
      - 0
    .max_flat_workgroup_size: 256
    .name:           _ZL23rocblas_trmm_lTx_kernelILi16ELb1E19rocblas_complex_numIfEPKS1_S2_S1_Ev13rocblas_fill_17rocblas_diagonal_iiT2_lPT3_llS8_llPT4_lli
    .private_segment_fixed_size: 0
    .sgpr_count:     30
    .sgpr_spill_count: 0
    .symbol:         _ZL23rocblas_trmm_lTx_kernelILi16ELb1E19rocblas_complex_numIfEPKS1_S2_S1_Ev13rocblas_fill_17rocblas_diagonal_iiT2_lPT3_llS8_llPT4_lli.kd
    .uniform_work_group_size: 1
    .uses_dynamic_stack: false
    .vgpr_count:     39
    .vgpr_spill_count: 0
    .wavefront_size: 64
  - .args:
      - .offset:         0
        .size:           4
        .value_kind:     by_value
      - .offset:         4
        .size:           4
        .value_kind:     by_value
      - .offset:         8
        .size:           4
        .value_kind:     by_value
      - .offset:         12
        .size:           4
        .value_kind:     by_value
      - .offset:         16
        .size:           8
        .value_kind:     by_value
      - .offset:         24
        .size:           8
        .value_kind:     by_value
      - .address_space:  global
        .offset:         32
        .size:           8
        .value_kind:     global_buffer
      - .offset:         40
        .size:           8
        .value_kind:     by_value
      - .offset:         48
        .size:           8
        .value_kind:     by_value
      - .address_space:  global
        .offset:         56
        .size:           8
        .value_kind:     global_buffer
      - .offset:         64
        .size:           8
        .value_kind:     by_value
      - .offset:         72
        .size:           8
        .value_kind:     by_value
      - .address_space:  global
        .offset:         80
        .size:           8
        .value_kind:     global_buffer
      - .offset:         88
        .size:           8
        .value_kind:     by_value
      - .offset:         96
        .size:           8
        .value_kind:     by_value
      - .offset:         104
        .size:           4
        .value_kind:     by_value
    .group_segment_fixed_size: 4096
    .kernarg_segment_align: 8
    .kernarg_segment_size: 108
    .language:       OpenCL C
    .language_version:
      - 2
      - 0
    .max_flat_workgroup_size: 256
    .name:           _ZL23rocblas_trmm_lTx_kernelILi16ELb1E19rocblas_complex_numIfES1_KS1_S1_Ev13rocblas_fill_17rocblas_diagonal_iiT2_lPT3_llS7_llPT4_lli
    .private_segment_fixed_size: 0
    .sgpr_count:     34
    .sgpr_spill_count: 0
    .symbol:         _ZL23rocblas_trmm_lTx_kernelILi16ELb1E19rocblas_complex_numIfES1_KS1_S1_Ev13rocblas_fill_17rocblas_diagonal_iiT2_lPT3_llS7_llPT4_lli.kd
    .uniform_work_group_size: 1
    .uses_dynamic_stack: false
    .vgpr_count:     39
    .vgpr_spill_count: 0
    .wavefront_size: 64
  - .args:
      - .offset:         0
        .size:           4
        .value_kind:     by_value
      - .offset:         4
        .size:           4
        .value_kind:     by_value
      - .offset:         8
        .size:           4
        .value_kind:     by_value
      - .offset:         12
        .size:           4
        .value_kind:     by_value
      - .address_space:  global
        .offset:         16
        .size:           8
        .value_kind:     global_buffer
      - .offset:         24
        .size:           8
        .value_kind:     by_value
      - .address_space:  global
        .offset:         32
        .size:           8
        .value_kind:     global_buffer
      - .offset:         40
        .size:           8
        .value_kind:     by_value
      - .offset:         48
        .size:           8
        .value_kind:     by_value
      - .address_space:  global
        .offset:         56
        .size:           8
        .value_kind:     global_buffer
      - .offset:         64
        .size:           8
        .value_kind:     by_value
      - .offset:         72
        .size:           8
        .value_kind:     by_value
      - .address_space:  global
        .offset:         80
        .size:           8
        .value_kind:     global_buffer
      - .offset:         88
        .size:           8
        .value_kind:     by_value
      - .offset:         96
        .size:           8
        .value_kind:     by_value
      - .offset:         104
        .size:           4
        .value_kind:     by_value
    .group_segment_fixed_size: 4096
    .kernarg_segment_align: 8
    .kernarg_segment_size: 108
    .language:       OpenCL C
    .language_version:
      - 2
      - 0
    .max_flat_workgroup_size: 256
    .name:           _ZL23rocblas_trmm_rNx_kernelILi16E19rocblas_complex_numIfEPKS1_S2_S1_Ev13rocblas_fill_17rocblas_diagonal_iiT1_lPT2_llS8_llPT3_lli
    .private_segment_fixed_size: 0
    .sgpr_count:     30
    .sgpr_spill_count: 0
    .symbol:         _ZL23rocblas_trmm_rNx_kernelILi16E19rocblas_complex_numIfEPKS1_S2_S1_Ev13rocblas_fill_17rocblas_diagonal_iiT1_lPT2_llS8_llPT3_lli.kd
    .uniform_work_group_size: 1
    .uses_dynamic_stack: false
    .vgpr_count:     40
    .vgpr_spill_count: 0
    .wavefront_size: 64
  - .args:
      - .offset:         0
        .size:           4
        .value_kind:     by_value
      - .offset:         4
        .size:           4
        .value_kind:     by_value
      - .offset:         8
        .size:           4
        .value_kind:     by_value
      - .offset:         12
        .size:           4
        .value_kind:     by_value
      - .offset:         16
        .size:           8
        .value_kind:     by_value
      - .offset:         24
        .size:           8
        .value_kind:     by_value
      - .address_space:  global
        .offset:         32
        .size:           8
        .value_kind:     global_buffer
      - .offset:         40
        .size:           8
        .value_kind:     by_value
      - .offset:         48
        .size:           8
        .value_kind:     by_value
      - .address_space:  global
        .offset:         56
        .size:           8
        .value_kind:     global_buffer
      - .offset:         64
        .size:           8
        .value_kind:     by_value
      - .offset:         72
        .size:           8
        .value_kind:     by_value
      - .address_space:  global
        .offset:         80
        .size:           8
        .value_kind:     global_buffer
      - .offset:         88
        .size:           8
        .value_kind:     by_value
      - .offset:         96
        .size:           8
        .value_kind:     by_value
      - .offset:         104
        .size:           4
        .value_kind:     by_value
    .group_segment_fixed_size: 4096
    .kernarg_segment_align: 8
    .kernarg_segment_size: 108
    .language:       OpenCL C
    .language_version:
      - 2
      - 0
    .max_flat_workgroup_size: 256
    .name:           _ZL23rocblas_trmm_rNx_kernelILi16E19rocblas_complex_numIfES1_KS1_S1_Ev13rocblas_fill_17rocblas_diagonal_iiT1_lPT2_llS7_llPT3_lli
    .private_segment_fixed_size: 0
    .sgpr_count:     34
    .sgpr_spill_count: 0
    .symbol:         _ZL23rocblas_trmm_rNx_kernelILi16E19rocblas_complex_numIfES1_KS1_S1_Ev13rocblas_fill_17rocblas_diagonal_iiT1_lPT2_llS7_llPT3_lli.kd
    .uniform_work_group_size: 1
    .uses_dynamic_stack: false
    .vgpr_count:     40
    .vgpr_spill_count: 0
    .wavefront_size: 64
  - .args:
      - .offset:         0
        .size:           4
        .value_kind:     by_value
      - .offset:         4
        .size:           4
        .value_kind:     by_value
      - .offset:         8
        .size:           4
        .value_kind:     by_value
      - .offset:         12
        .size:           4
        .value_kind:     by_value
      - .address_space:  global
        .offset:         16
        .size:           8
        .value_kind:     global_buffer
      - .offset:         24
        .size:           8
        .value_kind:     by_value
      - .address_space:  global
        .offset:         32
        .size:           8
        .value_kind:     global_buffer
      - .offset:         40
        .size:           8
        .value_kind:     by_value
      - .offset:         48
        .size:           8
        .value_kind:     by_value
      - .address_space:  global
        .offset:         56
        .size:           8
        .value_kind:     global_buffer
      - .offset:         64
        .size:           8
        .value_kind:     by_value
      - .offset:         72
        .size:           8
        .value_kind:     by_value
      - .address_space:  global
        .offset:         80
        .size:           8
        .value_kind:     global_buffer
      - .offset:         88
        .size:           8
        .value_kind:     by_value
      - .offset:         96
        .size:           8
        .value_kind:     by_value
      - .offset:         104
        .size:           4
        .value_kind:     by_value
    .group_segment_fixed_size: 4096
    .kernarg_segment_align: 8
    .kernarg_segment_size: 108
    .language:       OpenCL C
    .language_version:
      - 2
      - 0
    .max_flat_workgroup_size: 256
    .name:           _ZL23rocblas_trmm_rTx_kernelILi16ELb0E19rocblas_complex_numIfEPKS1_S2_S1_Ev13rocblas_fill_17rocblas_diagonal_iiT2_lPT3_llS8_llPT4_lli
    .private_segment_fixed_size: 0
    .sgpr_count:     30
    .sgpr_spill_count: 0
    .symbol:         _ZL23rocblas_trmm_rTx_kernelILi16ELb0E19rocblas_complex_numIfEPKS1_S2_S1_Ev13rocblas_fill_17rocblas_diagonal_iiT2_lPT3_llS8_llPT4_lli.kd
    .uniform_work_group_size: 1
    .uses_dynamic_stack: false
    .vgpr_count:     40
    .vgpr_spill_count: 0
    .wavefront_size: 64
  - .args:
      - .offset:         0
        .size:           4
        .value_kind:     by_value
      - .offset:         4
        .size:           4
        .value_kind:     by_value
      - .offset:         8
        .size:           4
        .value_kind:     by_value
      - .offset:         12
        .size:           4
        .value_kind:     by_value
      - .offset:         16
        .size:           8
        .value_kind:     by_value
      - .offset:         24
        .size:           8
        .value_kind:     by_value
      - .address_space:  global
        .offset:         32
        .size:           8
        .value_kind:     global_buffer
      - .offset:         40
        .size:           8
        .value_kind:     by_value
      - .offset:         48
        .size:           8
        .value_kind:     by_value
      - .address_space:  global
        .offset:         56
        .size:           8
        .value_kind:     global_buffer
      - .offset:         64
        .size:           8
        .value_kind:     by_value
      - .offset:         72
        .size:           8
        .value_kind:     by_value
      - .address_space:  global
        .offset:         80
        .size:           8
        .value_kind:     global_buffer
      - .offset:         88
        .size:           8
        .value_kind:     by_value
      - .offset:         96
        .size:           8
        .value_kind:     by_value
      - .offset:         104
        .size:           4
        .value_kind:     by_value
    .group_segment_fixed_size: 4096
    .kernarg_segment_align: 8
    .kernarg_segment_size: 108
    .language:       OpenCL C
    .language_version:
      - 2
      - 0
    .max_flat_workgroup_size: 256
    .name:           _ZL23rocblas_trmm_rTx_kernelILi16ELb0E19rocblas_complex_numIfES1_KS1_S1_Ev13rocblas_fill_17rocblas_diagonal_iiT2_lPT3_llS7_llPT4_lli
    .private_segment_fixed_size: 0
    .sgpr_count:     34
    .sgpr_spill_count: 0
    .symbol:         _ZL23rocblas_trmm_rTx_kernelILi16ELb0E19rocblas_complex_numIfES1_KS1_S1_Ev13rocblas_fill_17rocblas_diagonal_iiT2_lPT3_llS7_llPT4_lli.kd
    .uniform_work_group_size: 1
    .uses_dynamic_stack: false
    .vgpr_count:     40
    .vgpr_spill_count: 0
    .wavefront_size: 64
  - .args:
      - .offset:         0
        .size:           4
        .value_kind:     by_value
      - .offset:         4
        .size:           4
        .value_kind:     by_value
      - .offset:         8
        .size:           4
        .value_kind:     by_value
      - .offset:         12
        .size:           4
        .value_kind:     by_value
      - .address_space:  global
        .offset:         16
        .size:           8
        .value_kind:     global_buffer
      - .offset:         24
        .size:           8
        .value_kind:     by_value
      - .address_space:  global
        .offset:         32
        .size:           8
        .value_kind:     global_buffer
      - .offset:         40
        .size:           8
        .value_kind:     by_value
      - .offset:         48
        .size:           8
        .value_kind:     by_value
      - .address_space:  global
        .offset:         56
        .size:           8
        .value_kind:     global_buffer
      - .offset:         64
        .size:           8
        .value_kind:     by_value
      - .offset:         72
        .size:           8
        .value_kind:     by_value
      - .address_space:  global
        .offset:         80
        .size:           8
        .value_kind:     global_buffer
      - .offset:         88
        .size:           8
        .value_kind:     by_value
      - .offset:         96
        .size:           8
        .value_kind:     by_value
      - .offset:         104
        .size:           4
        .value_kind:     by_value
    .group_segment_fixed_size: 4096
    .kernarg_segment_align: 8
    .kernarg_segment_size: 108
    .language:       OpenCL C
    .language_version:
      - 2
      - 0
    .max_flat_workgroup_size: 256
    .name:           _ZL23rocblas_trmm_rTx_kernelILi16ELb1E19rocblas_complex_numIfEPKS1_S2_S1_Ev13rocblas_fill_17rocblas_diagonal_iiT2_lPT3_llS8_llPT4_lli
    .private_segment_fixed_size: 0
    .sgpr_count:     30
    .sgpr_spill_count: 0
    .symbol:         _ZL23rocblas_trmm_rTx_kernelILi16ELb1E19rocblas_complex_numIfEPKS1_S2_S1_Ev13rocblas_fill_17rocblas_diagonal_iiT2_lPT3_llS8_llPT4_lli.kd
    .uniform_work_group_size: 1
    .uses_dynamic_stack: false
    .vgpr_count:     40
    .vgpr_spill_count: 0
    .wavefront_size: 64
  - .args:
      - .offset:         0
        .size:           4
        .value_kind:     by_value
      - .offset:         4
        .size:           4
        .value_kind:     by_value
      - .offset:         8
        .size:           4
        .value_kind:     by_value
      - .offset:         12
        .size:           4
        .value_kind:     by_value
      - .offset:         16
        .size:           8
        .value_kind:     by_value
      - .offset:         24
        .size:           8
        .value_kind:     by_value
      - .address_space:  global
        .offset:         32
        .size:           8
        .value_kind:     global_buffer
      - .offset:         40
        .size:           8
        .value_kind:     by_value
      - .offset:         48
        .size:           8
        .value_kind:     by_value
      - .address_space:  global
        .offset:         56
        .size:           8
        .value_kind:     global_buffer
      - .offset:         64
        .size:           8
        .value_kind:     by_value
      - .offset:         72
        .size:           8
        .value_kind:     by_value
      - .address_space:  global
        .offset:         80
        .size:           8
        .value_kind:     global_buffer
      - .offset:         88
        .size:           8
        .value_kind:     by_value
      - .offset:         96
        .size:           8
        .value_kind:     by_value
      - .offset:         104
        .size:           4
        .value_kind:     by_value
    .group_segment_fixed_size: 4096
    .kernarg_segment_align: 8
    .kernarg_segment_size: 108
    .language:       OpenCL C
    .language_version:
      - 2
      - 0
    .max_flat_workgroup_size: 256
    .name:           _ZL23rocblas_trmm_rTx_kernelILi16ELb1E19rocblas_complex_numIfES1_KS1_S1_Ev13rocblas_fill_17rocblas_diagonal_iiT2_lPT3_llS7_llPT4_lli
    .private_segment_fixed_size: 0
    .sgpr_count:     34
    .sgpr_spill_count: 0
    .symbol:         _ZL23rocblas_trmm_rTx_kernelILi16ELb1E19rocblas_complex_numIfES1_KS1_S1_Ev13rocblas_fill_17rocblas_diagonal_iiT2_lPT3_llS7_llPT4_lli.kd
    .uniform_work_group_size: 1
    .uses_dynamic_stack: false
    .vgpr_count:     40
    .vgpr_spill_count: 0
    .wavefront_size: 64
  - .args:
      - .offset:         0
        .size:           4
        .value_kind:     by_value
      - .offset:         4
        .size:           4
        .value_kind:     by_value
      - .offset:         8
        .size:           4
        .value_kind:     by_value
      - .address_space:  global
        .offset:         16
        .size:           8
        .value_kind:     global_buffer
      - .offset:         24
        .size:           8
        .value_kind:     by_value
      - .address_space:  global
        .offset:         32
        .size:           8
        .value_kind:     global_buffer
      - .offset:         40
        .size:           8
        .value_kind:     by_value
      - .offset:         48
        .size:           8
        .value_kind:     by_value
      - .offset:         56
        .size:           8
        .value_kind:     by_value
      - .address_space:  global
        .offset:         64
        .size:           8
        .value_kind:     global_buffer
      - .offset:         72
        .size:           8
        .value_kind:     by_value
      - .offset:         80
        .size:           8
        .value_kind:     by_value
      - .offset:         88
        .size:           8
        .value_kind:     by_value
      - .address_space:  global
        .offset:         96
        .size:           8
        .value_kind:     global_buffer
      - .offset:         104
        .size:           8
        .value_kind:     by_value
      - .offset:         112
        .size:           8
        .value_kind:     by_value
      - .offset:         120
        .size:           8
        .value_kind:     by_value
      - .offset:         128
        .size:           4
        .value_kind:     by_value
      - .offset:         136
        .size:           4
        .value_kind:     hidden_block_count_x
      - .offset:         140
        .size:           4
        .value_kind:     hidden_block_count_y
      - .offset:         144
        .size:           4
        .value_kind:     hidden_block_count_z
      - .offset:         148
        .size:           2
        .value_kind:     hidden_group_size_x
      - .offset:         150
        .size:           2
        .value_kind:     hidden_group_size_y
      - .offset:         152
        .size:           2
        .value_kind:     hidden_group_size_z
      - .offset:         154
        .size:           2
        .value_kind:     hidden_remainder_x
      - .offset:         156
        .size:           2
        .value_kind:     hidden_remainder_y
      - .offset:         158
        .size:           2
        .value_kind:     hidden_remainder_z
      - .offset:         176
        .size:           8
        .value_kind:     hidden_global_offset_x
      - .offset:         184
        .size:           8
        .value_kind:     hidden_global_offset_y
      - .offset:         192
        .size:           8
        .value_kind:     hidden_global_offset_z
      - .offset:         200
        .size:           2
        .value_kind:     hidden_grid_dims
    .group_segment_fixed_size: 32768
    .kernarg_segment_align: 8
    .kernarg_segment_size: 392
    .language:       OpenCL C
    .language_version:
      - 2
      - 0
    .max_flat_workgroup_size: 1024
    .name:           _ZL30rocblas_trmm_outofplace_kernelI19rocblas_complex_numIdELi32ELi2ELb1ELb0ELb0ELb0EPKS1_S2_S1_Ev17rocblas_diagonal_iiT6_lPT7_lllS7_lllPT8_llli
    .private_segment_fixed_size: 124
    .sgpr_count:     68
    .sgpr_spill_count: 0
    .symbol:         _ZL30rocblas_trmm_outofplace_kernelI19rocblas_complex_numIdELi32ELi2ELb1ELb0ELb0ELb0EPKS1_S2_S1_Ev17rocblas_diagonal_iiT6_lPT7_lllS7_lllPT8_llli.kd
    .uniform_work_group_size: 1
    .uses_dynamic_stack: false
    .vgpr_count:     64
    .vgpr_spill_count: 32
    .wavefront_size: 64
  - .args:
      - .offset:         0
        .size:           4
        .value_kind:     by_value
      - .offset:         4
        .size:           4
        .value_kind:     by_value
      - .offset:         8
        .size:           4
        .value_kind:     by_value
      - .offset:         16
        .size:           16
        .value_kind:     by_value
      - .offset:         32
        .size:           8
        .value_kind:     by_value
      - .address_space:  global
        .offset:         40
        .size:           8
        .value_kind:     global_buffer
      - .offset:         48
        .size:           8
        .value_kind:     by_value
      - .offset:         56
        .size:           8
        .value_kind:     by_value
      - .offset:         64
        .size:           8
        .value_kind:     by_value
      - .address_space:  global
        .offset:         72
        .size:           8
        .value_kind:     global_buffer
      - .offset:         80
        .size:           8
        .value_kind:     by_value
      - .offset:         88
        .size:           8
        .value_kind:     by_value
      - .offset:         96
        .size:           8
        .value_kind:     by_value
      - .address_space:  global
        .offset:         104
        .size:           8
        .value_kind:     global_buffer
      - .offset:         112
        .size:           8
        .value_kind:     by_value
      - .offset:         120
        .size:           8
        .value_kind:     by_value
      - .offset:         128
        .size:           8
        .value_kind:     by_value
      - .offset:         136
        .size:           4
        .value_kind:     by_value
      - .offset:         144
        .size:           4
        .value_kind:     hidden_block_count_x
      - .offset:         148
        .size:           4
        .value_kind:     hidden_block_count_y
      - .offset:         152
        .size:           4
        .value_kind:     hidden_block_count_z
      - .offset:         156
        .size:           2
        .value_kind:     hidden_group_size_x
      - .offset:         158
        .size:           2
        .value_kind:     hidden_group_size_y
      - .offset:         160
        .size:           2
        .value_kind:     hidden_group_size_z
      - .offset:         162
        .size:           2
        .value_kind:     hidden_remainder_x
      - .offset:         164
        .size:           2
        .value_kind:     hidden_remainder_y
      - .offset:         166
        .size:           2
        .value_kind:     hidden_remainder_z
      - .offset:         184
        .size:           8
        .value_kind:     hidden_global_offset_x
      - .offset:         192
        .size:           8
        .value_kind:     hidden_global_offset_y
      - .offset:         200
        .size:           8
        .value_kind:     hidden_global_offset_z
      - .offset:         208
        .size:           2
        .value_kind:     hidden_grid_dims
    .group_segment_fixed_size: 32768
    .kernarg_segment_align: 8
    .kernarg_segment_size: 400
    .language:       OpenCL C
    .language_version:
      - 2
      - 0
    .max_flat_workgroup_size: 1024
    .name:           _ZL30rocblas_trmm_outofplace_kernelI19rocblas_complex_numIdELi32ELi2ELb1ELb0ELb0ELb0ES1_KS1_S1_Ev17rocblas_diagonal_iiT6_lPT7_lllS6_lllPT8_llli
    .private_segment_fixed_size: 124
    .sgpr_count:     68
    .sgpr_spill_count: 0
    .symbol:         _ZL30rocblas_trmm_outofplace_kernelI19rocblas_complex_numIdELi32ELi2ELb1ELb0ELb0ELb0ES1_KS1_S1_Ev17rocblas_diagonal_iiT6_lPT7_lllS6_lllPT8_llli.kd
    .uniform_work_group_size: 1
    .uses_dynamic_stack: false
    .vgpr_count:     64
    .vgpr_spill_count: 32
    .wavefront_size: 64
  - .args:
      - .offset:         0
        .size:           4
        .value_kind:     by_value
      - .offset:         4
        .size:           4
        .value_kind:     by_value
      - .offset:         8
        .size:           4
        .value_kind:     by_value
      - .address_space:  global
        .offset:         16
        .size:           8
        .value_kind:     global_buffer
      - .offset:         24
        .size:           8
        .value_kind:     by_value
      - .address_space:  global
        .offset:         32
        .size:           8
        .value_kind:     global_buffer
      - .offset:         40
        .size:           8
        .value_kind:     by_value
      - .offset:         48
        .size:           8
        .value_kind:     by_value
      - .offset:         56
        .size:           8
        .value_kind:     by_value
      - .address_space:  global
        .offset:         64
        .size:           8
        .value_kind:     global_buffer
      - .offset:         72
        .size:           8
        .value_kind:     by_value
      - .offset:         80
        .size:           8
        .value_kind:     by_value
      - .offset:         88
        .size:           8
        .value_kind:     by_value
      - .address_space:  global
        .offset:         96
        .size:           8
        .value_kind:     global_buffer
      - .offset:         104
        .size:           8
        .value_kind:     by_value
      - .offset:         112
        .size:           8
        .value_kind:     by_value
      - .offset:         120
        .size:           8
        .value_kind:     by_value
      - .offset:         128
        .size:           4
        .value_kind:     by_value
      - .offset:         136
        .size:           4
        .value_kind:     hidden_block_count_x
      - .offset:         140
        .size:           4
        .value_kind:     hidden_block_count_y
      - .offset:         144
        .size:           4
        .value_kind:     hidden_block_count_z
      - .offset:         148
        .size:           2
        .value_kind:     hidden_group_size_x
      - .offset:         150
        .size:           2
        .value_kind:     hidden_group_size_y
      - .offset:         152
        .size:           2
        .value_kind:     hidden_group_size_z
      - .offset:         154
        .size:           2
        .value_kind:     hidden_remainder_x
      - .offset:         156
        .size:           2
        .value_kind:     hidden_remainder_y
      - .offset:         158
        .size:           2
        .value_kind:     hidden_remainder_z
      - .offset:         176
        .size:           8
        .value_kind:     hidden_global_offset_x
      - .offset:         184
        .size:           8
        .value_kind:     hidden_global_offset_y
      - .offset:         192
        .size:           8
        .value_kind:     hidden_global_offset_z
      - .offset:         200
        .size:           2
        .value_kind:     hidden_grid_dims
    .group_segment_fixed_size: 32768
    .kernarg_segment_align: 8
    .kernarg_segment_size: 392
    .language:       OpenCL C
    .language_version:
      - 2
      - 0
    .max_flat_workgroup_size: 1024
    .name:           _ZL30rocblas_trmm_outofplace_kernelI19rocblas_complex_numIdELi32ELi2ELb1ELb1ELb0ELb0EPKS1_S2_S1_Ev17rocblas_diagonal_iiT6_lPT7_lllS7_lllPT8_llli
    .private_segment_fixed_size: 104
    .sgpr_count:     72
    .sgpr_spill_count: 0
    .symbol:         _ZL30rocblas_trmm_outofplace_kernelI19rocblas_complex_numIdELi32ELi2ELb1ELb1ELb0ELb0EPKS1_S2_S1_Ev17rocblas_diagonal_iiT6_lPT7_lllS7_lllPT8_llli.kd
    .uniform_work_group_size: 1
    .uses_dynamic_stack: false
    .vgpr_count:     64
    .vgpr_spill_count: 27
    .wavefront_size: 64
  - .args:
      - .offset:         0
        .size:           4
        .value_kind:     by_value
      - .offset:         4
        .size:           4
        .value_kind:     by_value
      - .offset:         8
        .size:           4
        .value_kind:     by_value
      - .offset:         16
        .size:           16
        .value_kind:     by_value
      - .offset:         32
        .size:           8
        .value_kind:     by_value
      - .address_space:  global
        .offset:         40
        .size:           8
        .value_kind:     global_buffer
      - .offset:         48
        .size:           8
        .value_kind:     by_value
      - .offset:         56
        .size:           8
        .value_kind:     by_value
      - .offset:         64
        .size:           8
        .value_kind:     by_value
      - .address_space:  global
        .offset:         72
        .size:           8
        .value_kind:     global_buffer
      - .offset:         80
        .size:           8
        .value_kind:     by_value
      - .offset:         88
        .size:           8
        .value_kind:     by_value
      - .offset:         96
        .size:           8
        .value_kind:     by_value
      - .address_space:  global
        .offset:         104
        .size:           8
        .value_kind:     global_buffer
      - .offset:         112
        .size:           8
        .value_kind:     by_value
      - .offset:         120
        .size:           8
        .value_kind:     by_value
      - .offset:         128
        .size:           8
        .value_kind:     by_value
      - .offset:         136
        .size:           4
        .value_kind:     by_value
      - .offset:         144
        .size:           4
        .value_kind:     hidden_block_count_x
      - .offset:         148
        .size:           4
        .value_kind:     hidden_block_count_y
      - .offset:         152
        .size:           4
        .value_kind:     hidden_block_count_z
      - .offset:         156
        .size:           2
        .value_kind:     hidden_group_size_x
      - .offset:         158
        .size:           2
        .value_kind:     hidden_group_size_y
      - .offset:         160
        .size:           2
        .value_kind:     hidden_group_size_z
      - .offset:         162
        .size:           2
        .value_kind:     hidden_remainder_x
      - .offset:         164
        .size:           2
        .value_kind:     hidden_remainder_y
      - .offset:         166
        .size:           2
        .value_kind:     hidden_remainder_z
      - .offset:         184
        .size:           8
        .value_kind:     hidden_global_offset_x
      - .offset:         192
        .size:           8
        .value_kind:     hidden_global_offset_y
      - .offset:         200
        .size:           8
        .value_kind:     hidden_global_offset_z
      - .offset:         208
        .size:           2
        .value_kind:     hidden_grid_dims
    .group_segment_fixed_size: 32768
    .kernarg_segment_align: 8
    .kernarg_segment_size: 400
    .language:       OpenCL C
    .language_version:
      - 2
      - 0
    .max_flat_workgroup_size: 1024
    .name:           _ZL30rocblas_trmm_outofplace_kernelI19rocblas_complex_numIdELi32ELi2ELb1ELb1ELb0ELb0ES1_KS1_S1_Ev17rocblas_diagonal_iiT6_lPT7_lllS6_lllPT8_llli
    .private_segment_fixed_size: 104
    .sgpr_count:     72
    .sgpr_spill_count: 0
    .symbol:         _ZL30rocblas_trmm_outofplace_kernelI19rocblas_complex_numIdELi32ELi2ELb1ELb1ELb0ELb0ES1_KS1_S1_Ev17rocblas_diagonal_iiT6_lPT7_lllS6_lllPT8_llli.kd
    .uniform_work_group_size: 1
    .uses_dynamic_stack: false
    .vgpr_count:     64
    .vgpr_spill_count: 27
    .wavefront_size: 64
  - .args:
      - .offset:         0
        .size:           4
        .value_kind:     by_value
      - .offset:         4
        .size:           4
        .value_kind:     by_value
      - .offset:         8
        .size:           4
        .value_kind:     by_value
      - .address_space:  global
        .offset:         16
        .size:           8
        .value_kind:     global_buffer
      - .offset:         24
        .size:           8
        .value_kind:     by_value
      - .address_space:  global
        .offset:         32
        .size:           8
        .value_kind:     global_buffer
      - .offset:         40
        .size:           8
        .value_kind:     by_value
      - .offset:         48
        .size:           8
        .value_kind:     by_value
      - .offset:         56
        .size:           8
        .value_kind:     by_value
      - .address_space:  global
        .offset:         64
        .size:           8
        .value_kind:     global_buffer
      - .offset:         72
        .size:           8
        .value_kind:     by_value
      - .offset:         80
        .size:           8
        .value_kind:     by_value
      - .offset:         88
        .size:           8
        .value_kind:     by_value
      - .address_space:  global
        .offset:         96
        .size:           8
        .value_kind:     global_buffer
      - .offset:         104
        .size:           8
        .value_kind:     by_value
      - .offset:         112
        .size:           8
        .value_kind:     by_value
      - .offset:         120
        .size:           8
        .value_kind:     by_value
      - .offset:         128
        .size:           4
        .value_kind:     by_value
      - .offset:         136
        .size:           4
        .value_kind:     hidden_block_count_x
      - .offset:         140
        .size:           4
        .value_kind:     hidden_block_count_y
      - .offset:         144
        .size:           4
        .value_kind:     hidden_block_count_z
      - .offset:         148
        .size:           2
        .value_kind:     hidden_group_size_x
      - .offset:         150
        .size:           2
        .value_kind:     hidden_group_size_y
      - .offset:         152
        .size:           2
        .value_kind:     hidden_group_size_z
      - .offset:         154
        .size:           2
        .value_kind:     hidden_remainder_x
      - .offset:         156
        .size:           2
        .value_kind:     hidden_remainder_y
      - .offset:         158
        .size:           2
        .value_kind:     hidden_remainder_z
      - .offset:         176
        .size:           8
        .value_kind:     hidden_global_offset_x
      - .offset:         184
        .size:           8
        .value_kind:     hidden_global_offset_y
      - .offset:         192
        .size:           8
        .value_kind:     hidden_global_offset_z
      - .offset:         200
        .size:           2
        .value_kind:     hidden_grid_dims
    .group_segment_fixed_size: 32768
    .kernarg_segment_align: 8
    .kernarg_segment_size: 392
    .language:       OpenCL C
    .language_version:
      - 2
      - 0
    .max_flat_workgroup_size: 1024
    .name:           _ZL30rocblas_trmm_outofplace_kernelI19rocblas_complex_numIdELi32ELi2ELb1ELb0ELb1ELb0EPKS1_S2_S1_Ev17rocblas_diagonal_iiT6_lPT7_lllS7_lllPT8_llli
    .private_segment_fixed_size: 88
    .sgpr_count:     64
    .sgpr_spill_count: 0
    .symbol:         _ZL30rocblas_trmm_outofplace_kernelI19rocblas_complex_numIdELi32ELi2ELb1ELb0ELb1ELb0EPKS1_S2_S1_Ev17rocblas_diagonal_iiT6_lPT7_lllS7_lllPT8_llli.kd
    .uniform_work_group_size: 1
    .uses_dynamic_stack: false
    .vgpr_count:     64
    .vgpr_spill_count: 23
    .wavefront_size: 64
  - .args:
      - .offset:         0
        .size:           4
        .value_kind:     by_value
      - .offset:         4
        .size:           4
        .value_kind:     by_value
      - .offset:         8
        .size:           4
        .value_kind:     by_value
      - .offset:         16
        .size:           16
        .value_kind:     by_value
      - .offset:         32
        .size:           8
        .value_kind:     by_value
      - .address_space:  global
        .offset:         40
        .size:           8
        .value_kind:     global_buffer
      - .offset:         48
        .size:           8
        .value_kind:     by_value
      - .offset:         56
        .size:           8
        .value_kind:     by_value
      - .offset:         64
        .size:           8
        .value_kind:     by_value
      - .address_space:  global
        .offset:         72
        .size:           8
        .value_kind:     global_buffer
      - .offset:         80
        .size:           8
        .value_kind:     by_value
      - .offset:         88
        .size:           8
        .value_kind:     by_value
      - .offset:         96
        .size:           8
        .value_kind:     by_value
      - .address_space:  global
        .offset:         104
        .size:           8
        .value_kind:     global_buffer
      - .offset:         112
        .size:           8
        .value_kind:     by_value
      - .offset:         120
        .size:           8
        .value_kind:     by_value
      - .offset:         128
        .size:           8
        .value_kind:     by_value
      - .offset:         136
        .size:           4
        .value_kind:     by_value
      - .offset:         144
        .size:           4
        .value_kind:     hidden_block_count_x
      - .offset:         148
        .size:           4
        .value_kind:     hidden_block_count_y
      - .offset:         152
        .size:           4
        .value_kind:     hidden_block_count_z
      - .offset:         156
        .size:           2
        .value_kind:     hidden_group_size_x
      - .offset:         158
        .size:           2
        .value_kind:     hidden_group_size_y
      - .offset:         160
        .size:           2
        .value_kind:     hidden_group_size_z
      - .offset:         162
        .size:           2
        .value_kind:     hidden_remainder_x
      - .offset:         164
        .size:           2
        .value_kind:     hidden_remainder_y
      - .offset:         166
        .size:           2
        .value_kind:     hidden_remainder_z
      - .offset:         184
        .size:           8
        .value_kind:     hidden_global_offset_x
      - .offset:         192
        .size:           8
        .value_kind:     hidden_global_offset_y
      - .offset:         200
        .size:           8
        .value_kind:     hidden_global_offset_z
      - .offset:         208
        .size:           2
        .value_kind:     hidden_grid_dims
    .group_segment_fixed_size: 32768
    .kernarg_segment_align: 8
    .kernarg_segment_size: 400
    .language:       OpenCL C
    .language_version:
      - 2
      - 0
    .max_flat_workgroup_size: 1024
    .name:           _ZL30rocblas_trmm_outofplace_kernelI19rocblas_complex_numIdELi32ELi2ELb1ELb0ELb1ELb0ES1_KS1_S1_Ev17rocblas_diagonal_iiT6_lPT7_lllS6_lllPT8_llli
    .private_segment_fixed_size: 88
    .sgpr_count:     64
    .sgpr_spill_count: 0
    .symbol:         _ZL30rocblas_trmm_outofplace_kernelI19rocblas_complex_numIdELi32ELi2ELb1ELb0ELb1ELb0ES1_KS1_S1_Ev17rocblas_diagonal_iiT6_lPT7_lllS6_lllPT8_llli.kd
    .uniform_work_group_size: 1
    .uses_dynamic_stack: false
    .vgpr_count:     64
    .vgpr_spill_count: 23
    .wavefront_size: 64
  - .args:
      - .offset:         0
        .size:           4
        .value_kind:     by_value
      - .offset:         4
        .size:           4
        .value_kind:     by_value
      - .offset:         8
        .size:           4
        .value_kind:     by_value
      - .address_space:  global
        .offset:         16
        .size:           8
        .value_kind:     global_buffer
      - .offset:         24
        .size:           8
        .value_kind:     by_value
      - .address_space:  global
        .offset:         32
        .size:           8
        .value_kind:     global_buffer
      - .offset:         40
        .size:           8
        .value_kind:     by_value
      - .offset:         48
        .size:           8
        .value_kind:     by_value
      - .offset:         56
        .size:           8
        .value_kind:     by_value
      - .address_space:  global
        .offset:         64
        .size:           8
        .value_kind:     global_buffer
      - .offset:         72
        .size:           8
        .value_kind:     by_value
      - .offset:         80
        .size:           8
        .value_kind:     by_value
      - .offset:         88
        .size:           8
        .value_kind:     by_value
      - .address_space:  global
        .offset:         96
        .size:           8
        .value_kind:     global_buffer
      - .offset:         104
        .size:           8
        .value_kind:     by_value
      - .offset:         112
        .size:           8
        .value_kind:     by_value
      - .offset:         120
        .size:           8
        .value_kind:     by_value
      - .offset:         128
        .size:           4
        .value_kind:     by_value
      - .offset:         136
        .size:           4
        .value_kind:     hidden_block_count_x
      - .offset:         140
        .size:           4
        .value_kind:     hidden_block_count_y
      - .offset:         144
        .size:           4
        .value_kind:     hidden_block_count_z
      - .offset:         148
        .size:           2
        .value_kind:     hidden_group_size_x
      - .offset:         150
        .size:           2
        .value_kind:     hidden_group_size_y
      - .offset:         152
        .size:           2
        .value_kind:     hidden_group_size_z
      - .offset:         154
        .size:           2
        .value_kind:     hidden_remainder_x
      - .offset:         156
        .size:           2
        .value_kind:     hidden_remainder_y
      - .offset:         158
        .size:           2
        .value_kind:     hidden_remainder_z
      - .offset:         176
        .size:           8
        .value_kind:     hidden_global_offset_x
      - .offset:         184
        .size:           8
        .value_kind:     hidden_global_offset_y
      - .offset:         192
        .size:           8
        .value_kind:     hidden_global_offset_z
      - .offset:         200
        .size:           2
        .value_kind:     hidden_grid_dims
    .group_segment_fixed_size: 32768
    .kernarg_segment_align: 8
    .kernarg_segment_size: 392
    .language:       OpenCL C
    .language_version:
      - 2
      - 0
    .max_flat_workgroup_size: 1024
    .name:           _ZL30rocblas_trmm_outofplace_kernelI19rocblas_complex_numIdELi32ELi2ELb1ELb1ELb1ELb0EPKS1_S2_S1_Ev17rocblas_diagonal_iiT6_lPT7_lllS7_lllPT8_llli
    .private_segment_fixed_size: 68
    .sgpr_count:     64
    .sgpr_spill_count: 0
    .symbol:         _ZL30rocblas_trmm_outofplace_kernelI19rocblas_complex_numIdELi32ELi2ELb1ELb1ELb1ELb0EPKS1_S2_S1_Ev17rocblas_diagonal_iiT6_lPT7_lllS7_lllPT8_llli.kd
    .uniform_work_group_size: 1
    .uses_dynamic_stack: false
    .vgpr_count:     64
    .vgpr_spill_count: 18
    .wavefront_size: 64
  - .args:
      - .offset:         0
        .size:           4
        .value_kind:     by_value
      - .offset:         4
        .size:           4
        .value_kind:     by_value
      - .offset:         8
        .size:           4
        .value_kind:     by_value
      - .offset:         16
        .size:           16
        .value_kind:     by_value
      - .offset:         32
        .size:           8
        .value_kind:     by_value
      - .address_space:  global
        .offset:         40
        .size:           8
        .value_kind:     global_buffer
      - .offset:         48
        .size:           8
        .value_kind:     by_value
      - .offset:         56
        .size:           8
        .value_kind:     by_value
      - .offset:         64
        .size:           8
        .value_kind:     by_value
      - .address_space:  global
        .offset:         72
        .size:           8
        .value_kind:     global_buffer
      - .offset:         80
        .size:           8
        .value_kind:     by_value
      - .offset:         88
        .size:           8
        .value_kind:     by_value
      - .offset:         96
        .size:           8
        .value_kind:     by_value
      - .address_space:  global
        .offset:         104
        .size:           8
        .value_kind:     global_buffer
      - .offset:         112
        .size:           8
        .value_kind:     by_value
      - .offset:         120
        .size:           8
        .value_kind:     by_value
      - .offset:         128
        .size:           8
        .value_kind:     by_value
      - .offset:         136
        .size:           4
        .value_kind:     by_value
      - .offset:         144
        .size:           4
        .value_kind:     hidden_block_count_x
      - .offset:         148
        .size:           4
        .value_kind:     hidden_block_count_y
      - .offset:         152
        .size:           4
        .value_kind:     hidden_block_count_z
      - .offset:         156
        .size:           2
        .value_kind:     hidden_group_size_x
      - .offset:         158
        .size:           2
        .value_kind:     hidden_group_size_y
      - .offset:         160
        .size:           2
        .value_kind:     hidden_group_size_z
      - .offset:         162
        .size:           2
        .value_kind:     hidden_remainder_x
      - .offset:         164
        .size:           2
        .value_kind:     hidden_remainder_y
      - .offset:         166
        .size:           2
        .value_kind:     hidden_remainder_z
      - .offset:         184
        .size:           8
        .value_kind:     hidden_global_offset_x
      - .offset:         192
        .size:           8
        .value_kind:     hidden_global_offset_y
      - .offset:         200
        .size:           8
        .value_kind:     hidden_global_offset_z
      - .offset:         208
        .size:           2
        .value_kind:     hidden_grid_dims
    .group_segment_fixed_size: 32768
    .kernarg_segment_align: 8
    .kernarg_segment_size: 400
    .language:       OpenCL C
    .language_version:
      - 2
      - 0
    .max_flat_workgroup_size: 1024
    .name:           _ZL30rocblas_trmm_outofplace_kernelI19rocblas_complex_numIdELi32ELi2ELb1ELb1ELb1ELb0ES1_KS1_S1_Ev17rocblas_diagonal_iiT6_lPT7_lllS6_lllPT8_llli
    .private_segment_fixed_size: 68
    .sgpr_count:     64
    .sgpr_spill_count: 0
    .symbol:         _ZL30rocblas_trmm_outofplace_kernelI19rocblas_complex_numIdELi32ELi2ELb1ELb1ELb1ELb0ES1_KS1_S1_Ev17rocblas_diagonal_iiT6_lPT7_lllS6_lllPT8_llli.kd
    .uniform_work_group_size: 1
    .uses_dynamic_stack: false
    .vgpr_count:     64
    .vgpr_spill_count: 18
    .wavefront_size: 64
  - .args:
      - .offset:         0
        .size:           4
        .value_kind:     by_value
      - .offset:         4
        .size:           4
        .value_kind:     by_value
      - .offset:         8
        .size:           4
        .value_kind:     by_value
      - .address_space:  global
        .offset:         16
        .size:           8
        .value_kind:     global_buffer
      - .offset:         24
        .size:           8
        .value_kind:     by_value
      - .address_space:  global
        .offset:         32
        .size:           8
        .value_kind:     global_buffer
      - .offset:         40
        .size:           8
        .value_kind:     by_value
      - .offset:         48
        .size:           8
        .value_kind:     by_value
      - .offset:         56
        .size:           8
        .value_kind:     by_value
      - .address_space:  global
        .offset:         64
        .size:           8
        .value_kind:     global_buffer
      - .offset:         72
        .size:           8
        .value_kind:     by_value
      - .offset:         80
        .size:           8
        .value_kind:     by_value
      - .offset:         88
        .size:           8
        .value_kind:     by_value
      - .address_space:  global
        .offset:         96
        .size:           8
        .value_kind:     global_buffer
      - .offset:         104
        .size:           8
        .value_kind:     by_value
      - .offset:         112
        .size:           8
        .value_kind:     by_value
      - .offset:         120
        .size:           8
        .value_kind:     by_value
      - .offset:         128
        .size:           4
        .value_kind:     by_value
      - .offset:         136
        .size:           4
        .value_kind:     hidden_block_count_x
      - .offset:         140
        .size:           4
        .value_kind:     hidden_block_count_y
      - .offset:         144
        .size:           4
        .value_kind:     hidden_block_count_z
      - .offset:         148
        .size:           2
        .value_kind:     hidden_group_size_x
      - .offset:         150
        .size:           2
        .value_kind:     hidden_group_size_y
      - .offset:         152
        .size:           2
        .value_kind:     hidden_group_size_z
      - .offset:         154
        .size:           2
        .value_kind:     hidden_remainder_x
      - .offset:         156
        .size:           2
        .value_kind:     hidden_remainder_y
      - .offset:         158
        .size:           2
        .value_kind:     hidden_remainder_z
      - .offset:         176
        .size:           8
        .value_kind:     hidden_global_offset_x
      - .offset:         184
        .size:           8
        .value_kind:     hidden_global_offset_y
      - .offset:         192
        .size:           8
        .value_kind:     hidden_global_offset_z
      - .offset:         200
        .size:           2
        .value_kind:     hidden_grid_dims
    .group_segment_fixed_size: 32768
    .kernarg_segment_align: 8
    .kernarg_segment_size: 392
    .language:       OpenCL C
    .language_version:
      - 2
      - 0
    .max_flat_workgroup_size: 1024
    .name:           _ZL30rocblas_trmm_outofplace_kernelI19rocblas_complex_numIdELi32ELi2ELb1ELb0ELb1ELb1EPKS1_S2_S1_Ev17rocblas_diagonal_iiT6_lPT7_lllS7_lllPT8_llli
    .private_segment_fixed_size: 64
    .sgpr_count:     64
    .sgpr_spill_count: 0
    .symbol:         _ZL30rocblas_trmm_outofplace_kernelI19rocblas_complex_numIdELi32ELi2ELb1ELb0ELb1ELb1EPKS1_S2_S1_Ev17rocblas_diagonal_iiT6_lPT7_lllS7_lllPT8_llli.kd
    .uniform_work_group_size: 1
    .uses_dynamic_stack: false
    .vgpr_count:     64
    .vgpr_spill_count: 17
    .wavefront_size: 64
  - .args:
      - .offset:         0
        .size:           4
        .value_kind:     by_value
      - .offset:         4
        .size:           4
        .value_kind:     by_value
      - .offset:         8
        .size:           4
        .value_kind:     by_value
      - .offset:         16
        .size:           16
        .value_kind:     by_value
      - .offset:         32
        .size:           8
        .value_kind:     by_value
      - .address_space:  global
        .offset:         40
        .size:           8
        .value_kind:     global_buffer
      - .offset:         48
        .size:           8
        .value_kind:     by_value
      - .offset:         56
        .size:           8
        .value_kind:     by_value
      - .offset:         64
        .size:           8
        .value_kind:     by_value
      - .address_space:  global
        .offset:         72
        .size:           8
        .value_kind:     global_buffer
      - .offset:         80
        .size:           8
        .value_kind:     by_value
      - .offset:         88
        .size:           8
        .value_kind:     by_value
      - .offset:         96
        .size:           8
        .value_kind:     by_value
      - .address_space:  global
        .offset:         104
        .size:           8
        .value_kind:     global_buffer
      - .offset:         112
        .size:           8
        .value_kind:     by_value
      - .offset:         120
        .size:           8
        .value_kind:     by_value
      - .offset:         128
        .size:           8
        .value_kind:     by_value
      - .offset:         136
        .size:           4
        .value_kind:     by_value
      - .offset:         144
        .size:           4
        .value_kind:     hidden_block_count_x
      - .offset:         148
        .size:           4
        .value_kind:     hidden_block_count_y
      - .offset:         152
        .size:           4
        .value_kind:     hidden_block_count_z
      - .offset:         156
        .size:           2
        .value_kind:     hidden_group_size_x
      - .offset:         158
        .size:           2
        .value_kind:     hidden_group_size_y
      - .offset:         160
        .size:           2
        .value_kind:     hidden_group_size_z
      - .offset:         162
        .size:           2
        .value_kind:     hidden_remainder_x
      - .offset:         164
        .size:           2
        .value_kind:     hidden_remainder_y
      - .offset:         166
        .size:           2
        .value_kind:     hidden_remainder_z
      - .offset:         184
        .size:           8
        .value_kind:     hidden_global_offset_x
      - .offset:         192
        .size:           8
        .value_kind:     hidden_global_offset_y
      - .offset:         200
        .size:           8
        .value_kind:     hidden_global_offset_z
      - .offset:         208
        .size:           2
        .value_kind:     hidden_grid_dims
    .group_segment_fixed_size: 32768
    .kernarg_segment_align: 8
    .kernarg_segment_size: 400
    .language:       OpenCL C
    .language_version:
      - 2
      - 0
    .max_flat_workgroup_size: 1024
    .name:           _ZL30rocblas_trmm_outofplace_kernelI19rocblas_complex_numIdELi32ELi2ELb1ELb0ELb1ELb1ES1_KS1_S1_Ev17rocblas_diagonal_iiT6_lPT7_lllS6_lllPT8_llli
    .private_segment_fixed_size: 64
    .sgpr_count:     64
    .sgpr_spill_count: 0
    .symbol:         _ZL30rocblas_trmm_outofplace_kernelI19rocblas_complex_numIdELi32ELi2ELb1ELb0ELb1ELb1ES1_KS1_S1_Ev17rocblas_diagonal_iiT6_lPT7_lllS6_lllPT8_llli.kd
    .uniform_work_group_size: 1
    .uses_dynamic_stack: false
    .vgpr_count:     64
    .vgpr_spill_count: 17
    .wavefront_size: 64
  - .args:
      - .offset:         0
        .size:           4
        .value_kind:     by_value
      - .offset:         4
        .size:           4
        .value_kind:     by_value
      - .offset:         8
        .size:           4
        .value_kind:     by_value
      - .address_space:  global
        .offset:         16
        .size:           8
        .value_kind:     global_buffer
      - .offset:         24
        .size:           8
        .value_kind:     by_value
      - .address_space:  global
        .offset:         32
        .size:           8
        .value_kind:     global_buffer
      - .offset:         40
        .size:           8
        .value_kind:     by_value
      - .offset:         48
        .size:           8
        .value_kind:     by_value
      - .offset:         56
        .size:           8
        .value_kind:     by_value
      - .address_space:  global
        .offset:         64
        .size:           8
        .value_kind:     global_buffer
      - .offset:         72
        .size:           8
        .value_kind:     by_value
      - .offset:         80
        .size:           8
        .value_kind:     by_value
      - .offset:         88
        .size:           8
        .value_kind:     by_value
      - .address_space:  global
        .offset:         96
        .size:           8
        .value_kind:     global_buffer
      - .offset:         104
        .size:           8
        .value_kind:     by_value
      - .offset:         112
        .size:           8
        .value_kind:     by_value
      - .offset:         120
        .size:           8
        .value_kind:     by_value
      - .offset:         128
        .size:           4
        .value_kind:     by_value
      - .offset:         136
        .size:           4
        .value_kind:     hidden_block_count_x
      - .offset:         140
        .size:           4
        .value_kind:     hidden_block_count_y
      - .offset:         144
        .size:           4
        .value_kind:     hidden_block_count_z
      - .offset:         148
        .size:           2
        .value_kind:     hidden_group_size_x
      - .offset:         150
        .size:           2
        .value_kind:     hidden_group_size_y
      - .offset:         152
        .size:           2
        .value_kind:     hidden_group_size_z
      - .offset:         154
        .size:           2
        .value_kind:     hidden_remainder_x
      - .offset:         156
        .size:           2
        .value_kind:     hidden_remainder_y
      - .offset:         158
        .size:           2
        .value_kind:     hidden_remainder_z
      - .offset:         176
        .size:           8
        .value_kind:     hidden_global_offset_x
      - .offset:         184
        .size:           8
        .value_kind:     hidden_global_offset_y
      - .offset:         192
        .size:           8
        .value_kind:     hidden_global_offset_z
      - .offset:         200
        .size:           2
        .value_kind:     hidden_grid_dims
    .group_segment_fixed_size: 32768
    .kernarg_segment_align: 8
    .kernarg_segment_size: 392
    .language:       OpenCL C
    .language_version:
      - 2
      - 0
    .max_flat_workgroup_size: 1024
    .name:           _ZL30rocblas_trmm_outofplace_kernelI19rocblas_complex_numIdELi32ELi2ELb1ELb1ELb1ELb1EPKS1_S2_S1_Ev17rocblas_diagonal_iiT6_lPT7_lllS7_lllPT8_llli
    .private_segment_fixed_size: 60
    .sgpr_count:     64
    .sgpr_spill_count: 0
    .symbol:         _ZL30rocblas_trmm_outofplace_kernelI19rocblas_complex_numIdELi32ELi2ELb1ELb1ELb1ELb1EPKS1_S2_S1_Ev17rocblas_diagonal_iiT6_lPT7_lllS7_lllPT8_llli.kd
    .uniform_work_group_size: 1
    .uses_dynamic_stack: false
    .vgpr_count:     64
    .vgpr_spill_count: 16
    .wavefront_size: 64
  - .args:
      - .offset:         0
        .size:           4
        .value_kind:     by_value
      - .offset:         4
        .size:           4
        .value_kind:     by_value
      - .offset:         8
        .size:           4
        .value_kind:     by_value
      - .offset:         16
        .size:           16
        .value_kind:     by_value
      - .offset:         32
        .size:           8
        .value_kind:     by_value
      - .address_space:  global
        .offset:         40
        .size:           8
        .value_kind:     global_buffer
      - .offset:         48
        .size:           8
        .value_kind:     by_value
      - .offset:         56
        .size:           8
        .value_kind:     by_value
      - .offset:         64
        .size:           8
        .value_kind:     by_value
      - .address_space:  global
        .offset:         72
        .size:           8
        .value_kind:     global_buffer
      - .offset:         80
        .size:           8
        .value_kind:     by_value
      - .offset:         88
        .size:           8
        .value_kind:     by_value
      - .offset:         96
        .size:           8
        .value_kind:     by_value
      - .address_space:  global
        .offset:         104
        .size:           8
        .value_kind:     global_buffer
      - .offset:         112
        .size:           8
        .value_kind:     by_value
      - .offset:         120
        .size:           8
        .value_kind:     by_value
      - .offset:         128
        .size:           8
        .value_kind:     by_value
      - .offset:         136
        .size:           4
        .value_kind:     by_value
      - .offset:         144
        .size:           4
        .value_kind:     hidden_block_count_x
      - .offset:         148
        .size:           4
        .value_kind:     hidden_block_count_y
      - .offset:         152
        .size:           4
        .value_kind:     hidden_block_count_z
      - .offset:         156
        .size:           2
        .value_kind:     hidden_group_size_x
      - .offset:         158
        .size:           2
        .value_kind:     hidden_group_size_y
      - .offset:         160
        .size:           2
        .value_kind:     hidden_group_size_z
      - .offset:         162
        .size:           2
        .value_kind:     hidden_remainder_x
      - .offset:         164
        .size:           2
        .value_kind:     hidden_remainder_y
      - .offset:         166
        .size:           2
        .value_kind:     hidden_remainder_z
      - .offset:         184
        .size:           8
        .value_kind:     hidden_global_offset_x
      - .offset:         192
        .size:           8
        .value_kind:     hidden_global_offset_y
      - .offset:         200
        .size:           8
        .value_kind:     hidden_global_offset_z
      - .offset:         208
        .size:           2
        .value_kind:     hidden_grid_dims
    .group_segment_fixed_size: 32768
    .kernarg_segment_align: 8
    .kernarg_segment_size: 400
    .language:       OpenCL C
    .language_version:
      - 2
      - 0
    .max_flat_workgroup_size: 1024
    .name:           _ZL30rocblas_trmm_outofplace_kernelI19rocblas_complex_numIdELi32ELi2ELb1ELb1ELb1ELb1ES1_KS1_S1_Ev17rocblas_diagonal_iiT6_lPT7_lllS6_lllPT8_llli
    .private_segment_fixed_size: 60
    .sgpr_count:     64
    .sgpr_spill_count: 0
    .symbol:         _ZL30rocblas_trmm_outofplace_kernelI19rocblas_complex_numIdELi32ELi2ELb1ELb1ELb1ELb1ES1_KS1_S1_Ev17rocblas_diagonal_iiT6_lPT7_lllS6_lllPT8_llli.kd
    .uniform_work_group_size: 1
    .uses_dynamic_stack: false
    .vgpr_count:     64
    .vgpr_spill_count: 16
    .wavefront_size: 64
  - .args:
      - .offset:         0
        .size:           4
        .value_kind:     by_value
      - .offset:         4
        .size:           4
        .value_kind:     by_value
      - .offset:         8
        .size:           4
        .value_kind:     by_value
      - .address_space:  global
        .offset:         16
        .size:           8
        .value_kind:     global_buffer
      - .offset:         24
        .size:           8
        .value_kind:     by_value
      - .address_space:  global
        .offset:         32
        .size:           8
        .value_kind:     global_buffer
      - .offset:         40
        .size:           8
        .value_kind:     by_value
      - .offset:         48
        .size:           8
        .value_kind:     by_value
      - .offset:         56
        .size:           8
        .value_kind:     by_value
      - .address_space:  global
        .offset:         64
        .size:           8
        .value_kind:     global_buffer
      - .offset:         72
        .size:           8
        .value_kind:     by_value
      - .offset:         80
        .size:           8
        .value_kind:     by_value
      - .offset:         88
        .size:           8
        .value_kind:     by_value
      - .address_space:  global
        .offset:         96
        .size:           8
        .value_kind:     global_buffer
      - .offset:         104
        .size:           8
        .value_kind:     by_value
      - .offset:         112
        .size:           8
        .value_kind:     by_value
      - .offset:         120
        .size:           8
        .value_kind:     by_value
      - .offset:         128
        .size:           4
        .value_kind:     by_value
      - .offset:         136
        .size:           4
        .value_kind:     hidden_block_count_x
      - .offset:         140
        .size:           4
        .value_kind:     hidden_block_count_y
      - .offset:         144
        .size:           4
        .value_kind:     hidden_block_count_z
      - .offset:         148
        .size:           2
        .value_kind:     hidden_group_size_x
      - .offset:         150
        .size:           2
        .value_kind:     hidden_group_size_y
      - .offset:         152
        .size:           2
        .value_kind:     hidden_group_size_z
      - .offset:         154
        .size:           2
        .value_kind:     hidden_remainder_x
      - .offset:         156
        .size:           2
        .value_kind:     hidden_remainder_y
      - .offset:         158
        .size:           2
        .value_kind:     hidden_remainder_z
      - .offset:         176
        .size:           8
        .value_kind:     hidden_global_offset_x
      - .offset:         184
        .size:           8
        .value_kind:     hidden_global_offset_y
      - .offset:         192
        .size:           8
        .value_kind:     hidden_global_offset_z
      - .offset:         200
        .size:           2
        .value_kind:     hidden_grid_dims
    .group_segment_fixed_size: 32768
    .kernarg_segment_align: 8
    .kernarg_segment_size: 392
    .language:       OpenCL C
    .language_version:
      - 2
      - 0
    .max_flat_workgroup_size: 1024
    .name:           _ZL30rocblas_trmm_outofplace_kernelI19rocblas_complex_numIdELi32ELi2ELb0ELb0ELb0ELb0EPKS1_S2_S1_Ev17rocblas_diagonal_iiT6_lPT7_lllS7_lllPT8_llli
    .private_segment_fixed_size: 96
    .sgpr_count:     72
    .sgpr_spill_count: 0
    .symbol:         _ZL30rocblas_trmm_outofplace_kernelI19rocblas_complex_numIdELi32ELi2ELb0ELb0ELb0ELb0EPKS1_S2_S1_Ev17rocblas_diagonal_iiT6_lPT7_lllS7_lllPT8_llli.kd
    .uniform_work_group_size: 1
    .uses_dynamic_stack: false
    .vgpr_count:     64
    .vgpr_spill_count: 23
    .wavefront_size: 64
  - .args:
      - .offset:         0
        .size:           4
        .value_kind:     by_value
      - .offset:         4
        .size:           4
        .value_kind:     by_value
      - .offset:         8
        .size:           4
        .value_kind:     by_value
      - .offset:         16
        .size:           16
        .value_kind:     by_value
      - .offset:         32
        .size:           8
        .value_kind:     by_value
      - .address_space:  global
        .offset:         40
        .size:           8
        .value_kind:     global_buffer
      - .offset:         48
        .size:           8
        .value_kind:     by_value
      - .offset:         56
        .size:           8
        .value_kind:     by_value
      - .offset:         64
        .size:           8
        .value_kind:     by_value
      - .address_space:  global
        .offset:         72
        .size:           8
        .value_kind:     global_buffer
      - .offset:         80
        .size:           8
        .value_kind:     by_value
      - .offset:         88
        .size:           8
        .value_kind:     by_value
      - .offset:         96
        .size:           8
        .value_kind:     by_value
      - .address_space:  global
        .offset:         104
        .size:           8
        .value_kind:     global_buffer
      - .offset:         112
        .size:           8
        .value_kind:     by_value
      - .offset:         120
        .size:           8
        .value_kind:     by_value
      - .offset:         128
        .size:           8
        .value_kind:     by_value
      - .offset:         136
        .size:           4
        .value_kind:     by_value
      - .offset:         144
        .size:           4
        .value_kind:     hidden_block_count_x
      - .offset:         148
        .size:           4
        .value_kind:     hidden_block_count_y
      - .offset:         152
        .size:           4
        .value_kind:     hidden_block_count_z
      - .offset:         156
        .size:           2
        .value_kind:     hidden_group_size_x
      - .offset:         158
        .size:           2
        .value_kind:     hidden_group_size_y
      - .offset:         160
        .size:           2
        .value_kind:     hidden_group_size_z
      - .offset:         162
        .size:           2
        .value_kind:     hidden_remainder_x
      - .offset:         164
        .size:           2
        .value_kind:     hidden_remainder_y
      - .offset:         166
        .size:           2
        .value_kind:     hidden_remainder_z
      - .offset:         184
        .size:           8
        .value_kind:     hidden_global_offset_x
      - .offset:         192
        .size:           8
        .value_kind:     hidden_global_offset_y
      - .offset:         200
        .size:           8
        .value_kind:     hidden_global_offset_z
      - .offset:         208
        .size:           2
        .value_kind:     hidden_grid_dims
    .group_segment_fixed_size: 32768
    .kernarg_segment_align: 8
    .kernarg_segment_size: 400
    .language:       OpenCL C
    .language_version:
      - 2
      - 0
    .max_flat_workgroup_size: 1024
    .name:           _ZL30rocblas_trmm_outofplace_kernelI19rocblas_complex_numIdELi32ELi2ELb0ELb0ELb0ELb0ES1_KS1_S1_Ev17rocblas_diagonal_iiT6_lPT7_lllS6_lllPT8_llli
    .private_segment_fixed_size: 96
    .sgpr_count:     72
    .sgpr_spill_count: 0
    .symbol:         _ZL30rocblas_trmm_outofplace_kernelI19rocblas_complex_numIdELi32ELi2ELb0ELb0ELb0ELb0ES1_KS1_S1_Ev17rocblas_diagonal_iiT6_lPT7_lllS6_lllPT8_llli.kd
    .uniform_work_group_size: 1
    .uses_dynamic_stack: false
    .vgpr_count:     64
    .vgpr_spill_count: 23
    .wavefront_size: 64
  - .args:
      - .offset:         0
        .size:           4
        .value_kind:     by_value
      - .offset:         4
        .size:           4
        .value_kind:     by_value
      - .offset:         8
        .size:           4
        .value_kind:     by_value
      - .address_space:  global
        .offset:         16
        .size:           8
        .value_kind:     global_buffer
      - .offset:         24
        .size:           8
        .value_kind:     by_value
      - .address_space:  global
        .offset:         32
        .size:           8
        .value_kind:     global_buffer
      - .offset:         40
        .size:           8
        .value_kind:     by_value
      - .offset:         48
        .size:           8
        .value_kind:     by_value
      - .offset:         56
        .size:           8
        .value_kind:     by_value
      - .address_space:  global
        .offset:         64
        .size:           8
        .value_kind:     global_buffer
      - .offset:         72
        .size:           8
        .value_kind:     by_value
      - .offset:         80
        .size:           8
        .value_kind:     by_value
      - .offset:         88
        .size:           8
        .value_kind:     by_value
      - .address_space:  global
        .offset:         96
        .size:           8
        .value_kind:     global_buffer
      - .offset:         104
        .size:           8
        .value_kind:     by_value
      - .offset:         112
        .size:           8
        .value_kind:     by_value
      - .offset:         120
        .size:           8
        .value_kind:     by_value
      - .offset:         128
        .size:           4
        .value_kind:     by_value
      - .offset:         136
        .size:           4
        .value_kind:     hidden_block_count_x
      - .offset:         140
        .size:           4
        .value_kind:     hidden_block_count_y
      - .offset:         144
        .size:           4
        .value_kind:     hidden_block_count_z
      - .offset:         148
        .size:           2
        .value_kind:     hidden_group_size_x
      - .offset:         150
        .size:           2
        .value_kind:     hidden_group_size_y
      - .offset:         152
        .size:           2
        .value_kind:     hidden_group_size_z
      - .offset:         154
        .size:           2
        .value_kind:     hidden_remainder_x
      - .offset:         156
        .size:           2
        .value_kind:     hidden_remainder_y
      - .offset:         158
        .size:           2
        .value_kind:     hidden_remainder_z
      - .offset:         176
        .size:           8
        .value_kind:     hidden_global_offset_x
      - .offset:         184
        .size:           8
        .value_kind:     hidden_global_offset_y
      - .offset:         192
        .size:           8
        .value_kind:     hidden_global_offset_z
      - .offset:         200
        .size:           2
        .value_kind:     hidden_grid_dims
    .group_segment_fixed_size: 32768
    .kernarg_segment_align: 8
    .kernarg_segment_size: 392
    .language:       OpenCL C
    .language_version:
      - 2
      - 0
    .max_flat_workgroup_size: 1024
    .name:           _ZL30rocblas_trmm_outofplace_kernelI19rocblas_complex_numIdELi32ELi2ELb0ELb1ELb0ELb0EPKS1_S2_S1_Ev17rocblas_diagonal_iiT6_lPT7_lllS7_lllPT8_llli
    .private_segment_fixed_size: 92
    .sgpr_count:     64
    .sgpr_spill_count: 0
    .symbol:         _ZL30rocblas_trmm_outofplace_kernelI19rocblas_complex_numIdELi32ELi2ELb0ELb1ELb0ELb0EPKS1_S2_S1_Ev17rocblas_diagonal_iiT6_lPT7_lllS7_lllPT8_llli.kd
    .uniform_work_group_size: 1
    .uses_dynamic_stack: false
    .vgpr_count:     64
    .vgpr_spill_count: 24
    .wavefront_size: 64
  - .args:
      - .offset:         0
        .size:           4
        .value_kind:     by_value
      - .offset:         4
        .size:           4
        .value_kind:     by_value
      - .offset:         8
        .size:           4
        .value_kind:     by_value
      - .offset:         16
        .size:           16
        .value_kind:     by_value
      - .offset:         32
        .size:           8
        .value_kind:     by_value
      - .address_space:  global
        .offset:         40
        .size:           8
        .value_kind:     global_buffer
      - .offset:         48
        .size:           8
        .value_kind:     by_value
      - .offset:         56
        .size:           8
        .value_kind:     by_value
      - .offset:         64
        .size:           8
        .value_kind:     by_value
      - .address_space:  global
        .offset:         72
        .size:           8
        .value_kind:     global_buffer
      - .offset:         80
        .size:           8
        .value_kind:     by_value
      - .offset:         88
        .size:           8
        .value_kind:     by_value
      - .offset:         96
        .size:           8
        .value_kind:     by_value
      - .address_space:  global
        .offset:         104
        .size:           8
        .value_kind:     global_buffer
      - .offset:         112
        .size:           8
        .value_kind:     by_value
      - .offset:         120
        .size:           8
        .value_kind:     by_value
      - .offset:         128
        .size:           8
        .value_kind:     by_value
      - .offset:         136
        .size:           4
        .value_kind:     by_value
      - .offset:         144
        .size:           4
        .value_kind:     hidden_block_count_x
      - .offset:         148
        .size:           4
        .value_kind:     hidden_block_count_y
      - .offset:         152
        .size:           4
        .value_kind:     hidden_block_count_z
      - .offset:         156
        .size:           2
        .value_kind:     hidden_group_size_x
      - .offset:         158
        .size:           2
        .value_kind:     hidden_group_size_y
      - .offset:         160
        .size:           2
        .value_kind:     hidden_group_size_z
      - .offset:         162
        .size:           2
        .value_kind:     hidden_remainder_x
      - .offset:         164
        .size:           2
        .value_kind:     hidden_remainder_y
      - .offset:         166
        .size:           2
        .value_kind:     hidden_remainder_z
      - .offset:         184
        .size:           8
        .value_kind:     hidden_global_offset_x
      - .offset:         192
        .size:           8
        .value_kind:     hidden_global_offset_y
      - .offset:         200
        .size:           8
        .value_kind:     hidden_global_offset_z
      - .offset:         208
        .size:           2
        .value_kind:     hidden_grid_dims
    .group_segment_fixed_size: 32768
    .kernarg_segment_align: 8
    .kernarg_segment_size: 400
    .language:       OpenCL C
    .language_version:
      - 2
      - 0
    .max_flat_workgroup_size: 1024
    .name:           _ZL30rocblas_trmm_outofplace_kernelI19rocblas_complex_numIdELi32ELi2ELb0ELb1ELb0ELb0ES1_KS1_S1_Ev17rocblas_diagonal_iiT6_lPT7_lllS6_lllPT8_llli
    .private_segment_fixed_size: 88
    .sgpr_count:     64
    .sgpr_spill_count: 0
    .symbol:         _ZL30rocblas_trmm_outofplace_kernelI19rocblas_complex_numIdELi32ELi2ELb0ELb1ELb0ELb0ES1_KS1_S1_Ev17rocblas_diagonal_iiT6_lPT7_lllS6_lllPT8_llli.kd
    .uniform_work_group_size: 1
    .uses_dynamic_stack: false
    .vgpr_count:     64
    .vgpr_spill_count: 23
    .wavefront_size: 64
  - .args:
      - .offset:         0
        .size:           4
        .value_kind:     by_value
      - .offset:         4
        .size:           4
        .value_kind:     by_value
      - .offset:         8
        .size:           4
        .value_kind:     by_value
      - .address_space:  global
        .offset:         16
        .size:           8
        .value_kind:     global_buffer
      - .offset:         24
        .size:           8
        .value_kind:     by_value
      - .address_space:  global
        .offset:         32
        .size:           8
        .value_kind:     global_buffer
      - .offset:         40
        .size:           8
        .value_kind:     by_value
      - .offset:         48
        .size:           8
        .value_kind:     by_value
      - .offset:         56
        .size:           8
        .value_kind:     by_value
      - .address_space:  global
        .offset:         64
        .size:           8
        .value_kind:     global_buffer
      - .offset:         72
        .size:           8
        .value_kind:     by_value
      - .offset:         80
        .size:           8
        .value_kind:     by_value
      - .offset:         88
        .size:           8
        .value_kind:     by_value
      - .address_space:  global
        .offset:         96
        .size:           8
        .value_kind:     global_buffer
      - .offset:         104
        .size:           8
        .value_kind:     by_value
      - .offset:         112
        .size:           8
        .value_kind:     by_value
      - .offset:         120
        .size:           8
        .value_kind:     by_value
      - .offset:         128
        .size:           4
        .value_kind:     by_value
      - .offset:         136
        .size:           4
        .value_kind:     hidden_block_count_x
      - .offset:         140
        .size:           4
        .value_kind:     hidden_block_count_y
      - .offset:         144
        .size:           4
        .value_kind:     hidden_block_count_z
      - .offset:         148
        .size:           2
        .value_kind:     hidden_group_size_x
      - .offset:         150
        .size:           2
        .value_kind:     hidden_group_size_y
      - .offset:         152
        .size:           2
        .value_kind:     hidden_group_size_z
      - .offset:         154
        .size:           2
        .value_kind:     hidden_remainder_x
      - .offset:         156
        .size:           2
        .value_kind:     hidden_remainder_y
      - .offset:         158
        .size:           2
        .value_kind:     hidden_remainder_z
      - .offset:         176
        .size:           8
        .value_kind:     hidden_global_offset_x
      - .offset:         184
        .size:           8
        .value_kind:     hidden_global_offset_y
      - .offset:         192
        .size:           8
        .value_kind:     hidden_global_offset_z
      - .offset:         200
        .size:           2
        .value_kind:     hidden_grid_dims
    .group_segment_fixed_size: 32768
    .kernarg_segment_align: 8
    .kernarg_segment_size: 392
    .language:       OpenCL C
    .language_version:
      - 2
      - 0
    .max_flat_workgroup_size: 1024
    .name:           _ZL30rocblas_trmm_outofplace_kernelI19rocblas_complex_numIdELi32ELi2ELb0ELb0ELb1ELb0EPKS1_S2_S1_Ev17rocblas_diagonal_iiT6_lPT7_lllS7_lllPT8_llli
    .private_segment_fixed_size: 100
    .sgpr_count:     64
    .sgpr_spill_count: 0
    .symbol:         _ZL30rocblas_trmm_outofplace_kernelI19rocblas_complex_numIdELi32ELi2ELb0ELb0ELb1ELb0EPKS1_S2_S1_Ev17rocblas_diagonal_iiT6_lPT7_lllS7_lllPT8_llli.kd
    .uniform_work_group_size: 1
    .uses_dynamic_stack: false
    .vgpr_count:     64
    .vgpr_spill_count: 26
    .wavefront_size: 64
  - .args:
      - .offset:         0
        .size:           4
        .value_kind:     by_value
      - .offset:         4
        .size:           4
        .value_kind:     by_value
      - .offset:         8
        .size:           4
        .value_kind:     by_value
      - .offset:         16
        .size:           16
        .value_kind:     by_value
      - .offset:         32
        .size:           8
        .value_kind:     by_value
      - .address_space:  global
        .offset:         40
        .size:           8
        .value_kind:     global_buffer
      - .offset:         48
        .size:           8
        .value_kind:     by_value
      - .offset:         56
        .size:           8
        .value_kind:     by_value
      - .offset:         64
        .size:           8
        .value_kind:     by_value
      - .address_space:  global
        .offset:         72
        .size:           8
        .value_kind:     global_buffer
      - .offset:         80
        .size:           8
        .value_kind:     by_value
      - .offset:         88
        .size:           8
        .value_kind:     by_value
      - .offset:         96
        .size:           8
        .value_kind:     by_value
      - .address_space:  global
        .offset:         104
        .size:           8
        .value_kind:     global_buffer
      - .offset:         112
        .size:           8
        .value_kind:     by_value
      - .offset:         120
        .size:           8
        .value_kind:     by_value
      - .offset:         128
        .size:           8
        .value_kind:     by_value
      - .offset:         136
        .size:           4
        .value_kind:     by_value
      - .offset:         144
        .size:           4
        .value_kind:     hidden_block_count_x
      - .offset:         148
        .size:           4
        .value_kind:     hidden_block_count_y
      - .offset:         152
        .size:           4
        .value_kind:     hidden_block_count_z
      - .offset:         156
        .size:           2
        .value_kind:     hidden_group_size_x
      - .offset:         158
        .size:           2
        .value_kind:     hidden_group_size_y
      - .offset:         160
        .size:           2
        .value_kind:     hidden_group_size_z
      - .offset:         162
        .size:           2
        .value_kind:     hidden_remainder_x
      - .offset:         164
        .size:           2
        .value_kind:     hidden_remainder_y
      - .offset:         166
        .size:           2
        .value_kind:     hidden_remainder_z
      - .offset:         184
        .size:           8
        .value_kind:     hidden_global_offset_x
      - .offset:         192
        .size:           8
        .value_kind:     hidden_global_offset_y
      - .offset:         200
        .size:           8
        .value_kind:     hidden_global_offset_z
      - .offset:         208
        .size:           2
        .value_kind:     hidden_grid_dims
    .group_segment_fixed_size: 32768
    .kernarg_segment_align: 8
    .kernarg_segment_size: 400
    .language:       OpenCL C
    .language_version:
      - 2
      - 0
    .max_flat_workgroup_size: 1024
    .name:           _ZL30rocblas_trmm_outofplace_kernelI19rocblas_complex_numIdELi32ELi2ELb0ELb0ELb1ELb0ES1_KS1_S1_Ev17rocblas_diagonal_iiT6_lPT7_lllS6_lllPT8_llli
    .private_segment_fixed_size: 104
    .sgpr_count:     60
    .sgpr_spill_count: 0
    .symbol:         _ZL30rocblas_trmm_outofplace_kernelI19rocblas_complex_numIdELi32ELi2ELb0ELb0ELb1ELb0ES1_KS1_S1_Ev17rocblas_diagonal_iiT6_lPT7_lllS6_lllPT8_llli.kd
    .uniform_work_group_size: 1
    .uses_dynamic_stack: false
    .vgpr_count:     64
    .vgpr_spill_count: 27
    .wavefront_size: 64
  - .args:
      - .offset:         0
        .size:           4
        .value_kind:     by_value
      - .offset:         4
        .size:           4
        .value_kind:     by_value
      - .offset:         8
        .size:           4
        .value_kind:     by_value
      - .address_space:  global
        .offset:         16
        .size:           8
        .value_kind:     global_buffer
      - .offset:         24
        .size:           8
        .value_kind:     by_value
      - .address_space:  global
        .offset:         32
        .size:           8
        .value_kind:     global_buffer
      - .offset:         40
        .size:           8
        .value_kind:     by_value
      - .offset:         48
        .size:           8
        .value_kind:     by_value
      - .offset:         56
        .size:           8
        .value_kind:     by_value
      - .address_space:  global
        .offset:         64
        .size:           8
        .value_kind:     global_buffer
      - .offset:         72
        .size:           8
        .value_kind:     by_value
      - .offset:         80
        .size:           8
        .value_kind:     by_value
      - .offset:         88
        .size:           8
        .value_kind:     by_value
      - .address_space:  global
        .offset:         96
        .size:           8
        .value_kind:     global_buffer
      - .offset:         104
        .size:           8
        .value_kind:     by_value
      - .offset:         112
        .size:           8
        .value_kind:     by_value
      - .offset:         120
        .size:           8
        .value_kind:     by_value
      - .offset:         128
        .size:           4
        .value_kind:     by_value
      - .offset:         136
        .size:           4
        .value_kind:     hidden_block_count_x
      - .offset:         140
        .size:           4
        .value_kind:     hidden_block_count_y
      - .offset:         144
        .size:           4
        .value_kind:     hidden_block_count_z
      - .offset:         148
        .size:           2
        .value_kind:     hidden_group_size_x
      - .offset:         150
        .size:           2
        .value_kind:     hidden_group_size_y
      - .offset:         152
        .size:           2
        .value_kind:     hidden_group_size_z
      - .offset:         154
        .size:           2
        .value_kind:     hidden_remainder_x
      - .offset:         156
        .size:           2
        .value_kind:     hidden_remainder_y
      - .offset:         158
        .size:           2
        .value_kind:     hidden_remainder_z
      - .offset:         176
        .size:           8
        .value_kind:     hidden_global_offset_x
      - .offset:         184
        .size:           8
        .value_kind:     hidden_global_offset_y
      - .offset:         192
        .size:           8
        .value_kind:     hidden_global_offset_z
      - .offset:         200
        .size:           2
        .value_kind:     hidden_grid_dims
    .group_segment_fixed_size: 32768
    .kernarg_segment_align: 8
    .kernarg_segment_size: 392
    .language:       OpenCL C
    .language_version:
      - 2
      - 0
    .max_flat_workgroup_size: 1024
    .name:           _ZL30rocblas_trmm_outofplace_kernelI19rocblas_complex_numIdELi32ELi2ELb0ELb1ELb1ELb0EPKS1_S2_S1_Ev17rocblas_diagonal_iiT6_lPT7_lllS7_lllPT8_llli
    .private_segment_fixed_size: 88
    .sgpr_count:     80
    .sgpr_spill_count: 0
    .symbol:         _ZL30rocblas_trmm_outofplace_kernelI19rocblas_complex_numIdELi32ELi2ELb0ELb1ELb1ELb0EPKS1_S2_S1_Ev17rocblas_diagonal_iiT6_lPT7_lllS7_lllPT8_llli.kd
    .uniform_work_group_size: 1
    .uses_dynamic_stack: false
    .vgpr_count:     64
    .vgpr_spill_count: 21
    .wavefront_size: 64
  - .args:
      - .offset:         0
        .size:           4
        .value_kind:     by_value
      - .offset:         4
        .size:           4
        .value_kind:     by_value
      - .offset:         8
        .size:           4
        .value_kind:     by_value
      - .offset:         16
        .size:           16
        .value_kind:     by_value
      - .offset:         32
        .size:           8
        .value_kind:     by_value
      - .address_space:  global
        .offset:         40
        .size:           8
        .value_kind:     global_buffer
      - .offset:         48
        .size:           8
        .value_kind:     by_value
      - .offset:         56
        .size:           8
        .value_kind:     by_value
      - .offset:         64
        .size:           8
        .value_kind:     by_value
      - .address_space:  global
        .offset:         72
        .size:           8
        .value_kind:     global_buffer
      - .offset:         80
        .size:           8
        .value_kind:     by_value
      - .offset:         88
        .size:           8
        .value_kind:     by_value
      - .offset:         96
        .size:           8
        .value_kind:     by_value
      - .address_space:  global
        .offset:         104
        .size:           8
        .value_kind:     global_buffer
      - .offset:         112
        .size:           8
        .value_kind:     by_value
      - .offset:         120
        .size:           8
        .value_kind:     by_value
      - .offset:         128
        .size:           8
        .value_kind:     by_value
      - .offset:         136
        .size:           4
        .value_kind:     by_value
      - .offset:         144
        .size:           4
        .value_kind:     hidden_block_count_x
      - .offset:         148
        .size:           4
        .value_kind:     hidden_block_count_y
      - .offset:         152
        .size:           4
        .value_kind:     hidden_block_count_z
      - .offset:         156
        .size:           2
        .value_kind:     hidden_group_size_x
      - .offset:         158
        .size:           2
        .value_kind:     hidden_group_size_y
      - .offset:         160
        .size:           2
        .value_kind:     hidden_group_size_z
      - .offset:         162
        .size:           2
        .value_kind:     hidden_remainder_x
      - .offset:         164
        .size:           2
        .value_kind:     hidden_remainder_y
      - .offset:         166
        .size:           2
        .value_kind:     hidden_remainder_z
      - .offset:         184
        .size:           8
        .value_kind:     hidden_global_offset_x
      - .offset:         192
        .size:           8
        .value_kind:     hidden_global_offset_y
      - .offset:         200
        .size:           8
        .value_kind:     hidden_global_offset_z
      - .offset:         208
        .size:           2
        .value_kind:     hidden_grid_dims
    .group_segment_fixed_size: 32768
    .kernarg_segment_align: 8
    .kernarg_segment_size: 400
    .language:       OpenCL C
    .language_version:
      - 2
      - 0
    .max_flat_workgroup_size: 1024
    .name:           _ZL30rocblas_trmm_outofplace_kernelI19rocblas_complex_numIdELi32ELi2ELb0ELb1ELb1ELb0ES1_KS1_S1_Ev17rocblas_diagonal_iiT6_lPT7_lllS6_lllPT8_llli
    .private_segment_fixed_size: 88
    .sgpr_count:     80
    .sgpr_spill_count: 0
    .symbol:         _ZL30rocblas_trmm_outofplace_kernelI19rocblas_complex_numIdELi32ELi2ELb0ELb1ELb1ELb0ES1_KS1_S1_Ev17rocblas_diagonal_iiT6_lPT7_lllS6_lllPT8_llli.kd
    .uniform_work_group_size: 1
    .uses_dynamic_stack: false
    .vgpr_count:     64
    .vgpr_spill_count: 21
    .wavefront_size: 64
  - .args:
      - .offset:         0
        .size:           4
        .value_kind:     by_value
      - .offset:         4
        .size:           4
        .value_kind:     by_value
      - .offset:         8
        .size:           4
        .value_kind:     by_value
      - .address_space:  global
        .offset:         16
        .size:           8
        .value_kind:     global_buffer
      - .offset:         24
        .size:           8
        .value_kind:     by_value
      - .address_space:  global
        .offset:         32
        .size:           8
        .value_kind:     global_buffer
      - .offset:         40
        .size:           8
        .value_kind:     by_value
      - .offset:         48
        .size:           8
        .value_kind:     by_value
      - .offset:         56
        .size:           8
        .value_kind:     by_value
      - .address_space:  global
        .offset:         64
        .size:           8
        .value_kind:     global_buffer
      - .offset:         72
        .size:           8
        .value_kind:     by_value
      - .offset:         80
        .size:           8
        .value_kind:     by_value
      - .offset:         88
        .size:           8
        .value_kind:     by_value
      - .address_space:  global
        .offset:         96
        .size:           8
        .value_kind:     global_buffer
      - .offset:         104
        .size:           8
        .value_kind:     by_value
      - .offset:         112
        .size:           8
        .value_kind:     by_value
      - .offset:         120
        .size:           8
        .value_kind:     by_value
      - .offset:         128
        .size:           4
        .value_kind:     by_value
      - .offset:         136
        .size:           4
        .value_kind:     hidden_block_count_x
      - .offset:         140
        .size:           4
        .value_kind:     hidden_block_count_y
      - .offset:         144
        .size:           4
        .value_kind:     hidden_block_count_z
      - .offset:         148
        .size:           2
        .value_kind:     hidden_group_size_x
      - .offset:         150
        .size:           2
        .value_kind:     hidden_group_size_y
      - .offset:         152
        .size:           2
        .value_kind:     hidden_group_size_z
      - .offset:         154
        .size:           2
        .value_kind:     hidden_remainder_x
      - .offset:         156
        .size:           2
        .value_kind:     hidden_remainder_y
      - .offset:         158
        .size:           2
        .value_kind:     hidden_remainder_z
      - .offset:         176
        .size:           8
        .value_kind:     hidden_global_offset_x
      - .offset:         184
        .size:           8
        .value_kind:     hidden_global_offset_y
      - .offset:         192
        .size:           8
        .value_kind:     hidden_global_offset_z
      - .offset:         200
        .size:           2
        .value_kind:     hidden_grid_dims
    .group_segment_fixed_size: 32768
    .kernarg_segment_align: 8
    .kernarg_segment_size: 392
    .language:       OpenCL C
    .language_version:
      - 2
      - 0
    .max_flat_workgroup_size: 1024
    .name:           _ZL30rocblas_trmm_outofplace_kernelI19rocblas_complex_numIdELi32ELi2ELb0ELb0ELb1ELb1EPKS1_S2_S1_Ev17rocblas_diagonal_iiT6_lPT7_lllS7_lllPT8_llli
    .private_segment_fixed_size: 120
    .sgpr_count:     64
    .sgpr_spill_count: 0
    .symbol:         _ZL30rocblas_trmm_outofplace_kernelI19rocblas_complex_numIdELi32ELi2ELb0ELb0ELb1ELb1EPKS1_S2_S1_Ev17rocblas_diagonal_iiT6_lPT7_lllS7_lllPT8_llli.kd
    .uniform_work_group_size: 1
    .uses_dynamic_stack: false
    .vgpr_count:     64
    .vgpr_spill_count: 31
    .wavefront_size: 64
  - .args:
      - .offset:         0
        .size:           4
        .value_kind:     by_value
      - .offset:         4
        .size:           4
        .value_kind:     by_value
      - .offset:         8
        .size:           4
        .value_kind:     by_value
      - .offset:         16
        .size:           16
        .value_kind:     by_value
      - .offset:         32
        .size:           8
        .value_kind:     by_value
      - .address_space:  global
        .offset:         40
        .size:           8
        .value_kind:     global_buffer
      - .offset:         48
        .size:           8
        .value_kind:     by_value
      - .offset:         56
        .size:           8
        .value_kind:     by_value
      - .offset:         64
        .size:           8
        .value_kind:     by_value
      - .address_space:  global
        .offset:         72
        .size:           8
        .value_kind:     global_buffer
      - .offset:         80
        .size:           8
        .value_kind:     by_value
      - .offset:         88
        .size:           8
        .value_kind:     by_value
      - .offset:         96
        .size:           8
        .value_kind:     by_value
      - .address_space:  global
        .offset:         104
        .size:           8
        .value_kind:     global_buffer
      - .offset:         112
        .size:           8
        .value_kind:     by_value
      - .offset:         120
        .size:           8
        .value_kind:     by_value
      - .offset:         128
        .size:           8
        .value_kind:     by_value
      - .offset:         136
        .size:           4
        .value_kind:     by_value
      - .offset:         144
        .size:           4
        .value_kind:     hidden_block_count_x
      - .offset:         148
        .size:           4
        .value_kind:     hidden_block_count_y
      - .offset:         152
        .size:           4
        .value_kind:     hidden_block_count_z
      - .offset:         156
        .size:           2
        .value_kind:     hidden_group_size_x
      - .offset:         158
        .size:           2
        .value_kind:     hidden_group_size_y
      - .offset:         160
        .size:           2
        .value_kind:     hidden_group_size_z
      - .offset:         162
        .size:           2
        .value_kind:     hidden_remainder_x
      - .offset:         164
        .size:           2
        .value_kind:     hidden_remainder_y
      - .offset:         166
        .size:           2
        .value_kind:     hidden_remainder_z
      - .offset:         184
        .size:           8
        .value_kind:     hidden_global_offset_x
      - .offset:         192
        .size:           8
        .value_kind:     hidden_global_offset_y
      - .offset:         200
        .size:           8
        .value_kind:     hidden_global_offset_z
      - .offset:         208
        .size:           2
        .value_kind:     hidden_grid_dims
    .group_segment_fixed_size: 32768
    .kernarg_segment_align: 8
    .kernarg_segment_size: 400
    .language:       OpenCL C
    .language_version:
      - 2
      - 0
    .max_flat_workgroup_size: 1024
    .name:           _ZL30rocblas_trmm_outofplace_kernelI19rocblas_complex_numIdELi32ELi2ELb0ELb0ELb1ELb1ES1_KS1_S1_Ev17rocblas_diagonal_iiT6_lPT7_lllS6_lllPT8_llli
    .private_segment_fixed_size: 120
    .sgpr_count:     60
    .sgpr_spill_count: 0
    .symbol:         _ZL30rocblas_trmm_outofplace_kernelI19rocblas_complex_numIdELi32ELi2ELb0ELb0ELb1ELb1ES1_KS1_S1_Ev17rocblas_diagonal_iiT6_lPT7_lllS6_lllPT8_llli.kd
    .uniform_work_group_size: 1
    .uses_dynamic_stack: false
    .vgpr_count:     64
    .vgpr_spill_count: 31
    .wavefront_size: 64
  - .args:
      - .offset:         0
        .size:           4
        .value_kind:     by_value
      - .offset:         4
        .size:           4
        .value_kind:     by_value
      - .offset:         8
        .size:           4
        .value_kind:     by_value
      - .address_space:  global
        .offset:         16
        .size:           8
        .value_kind:     global_buffer
      - .offset:         24
        .size:           8
        .value_kind:     by_value
      - .address_space:  global
        .offset:         32
        .size:           8
        .value_kind:     global_buffer
      - .offset:         40
        .size:           8
        .value_kind:     by_value
      - .offset:         48
        .size:           8
        .value_kind:     by_value
      - .offset:         56
        .size:           8
        .value_kind:     by_value
      - .address_space:  global
        .offset:         64
        .size:           8
        .value_kind:     global_buffer
      - .offset:         72
        .size:           8
        .value_kind:     by_value
      - .offset:         80
        .size:           8
        .value_kind:     by_value
      - .offset:         88
        .size:           8
        .value_kind:     by_value
      - .address_space:  global
        .offset:         96
        .size:           8
        .value_kind:     global_buffer
      - .offset:         104
        .size:           8
        .value_kind:     by_value
      - .offset:         112
        .size:           8
        .value_kind:     by_value
      - .offset:         120
        .size:           8
        .value_kind:     by_value
      - .offset:         128
        .size:           4
        .value_kind:     by_value
      - .offset:         136
        .size:           4
        .value_kind:     hidden_block_count_x
      - .offset:         140
        .size:           4
        .value_kind:     hidden_block_count_y
      - .offset:         144
        .size:           4
        .value_kind:     hidden_block_count_z
      - .offset:         148
        .size:           2
        .value_kind:     hidden_group_size_x
      - .offset:         150
        .size:           2
        .value_kind:     hidden_group_size_y
      - .offset:         152
        .size:           2
        .value_kind:     hidden_group_size_z
      - .offset:         154
        .size:           2
        .value_kind:     hidden_remainder_x
      - .offset:         156
        .size:           2
        .value_kind:     hidden_remainder_y
      - .offset:         158
        .size:           2
        .value_kind:     hidden_remainder_z
      - .offset:         176
        .size:           8
        .value_kind:     hidden_global_offset_x
      - .offset:         184
        .size:           8
        .value_kind:     hidden_global_offset_y
      - .offset:         192
        .size:           8
        .value_kind:     hidden_global_offset_z
      - .offset:         200
        .size:           2
        .value_kind:     hidden_grid_dims
    .group_segment_fixed_size: 32768
    .kernarg_segment_align: 8
    .kernarg_segment_size: 392
    .language:       OpenCL C
    .language_version:
      - 2
      - 0
    .max_flat_workgroup_size: 1024
    .name:           _ZL30rocblas_trmm_outofplace_kernelI19rocblas_complex_numIdELi32ELi2ELb0ELb1ELb1ELb1EPKS1_S2_S1_Ev17rocblas_diagonal_iiT6_lPT7_lllS7_lllPT8_llli
    .private_segment_fixed_size: 80
    .sgpr_count:     72
    .sgpr_spill_count: 0
    .symbol:         _ZL30rocblas_trmm_outofplace_kernelI19rocblas_complex_numIdELi32ELi2ELb0ELb1ELb1ELb1EPKS1_S2_S1_Ev17rocblas_diagonal_iiT6_lPT7_lllS7_lllPT8_llli.kd
    .uniform_work_group_size: 1
    .uses_dynamic_stack: false
    .vgpr_count:     64
    .vgpr_spill_count: 19
    .wavefront_size: 64
  - .args:
      - .offset:         0
        .size:           4
        .value_kind:     by_value
      - .offset:         4
        .size:           4
        .value_kind:     by_value
      - .offset:         8
        .size:           4
        .value_kind:     by_value
      - .offset:         16
        .size:           16
        .value_kind:     by_value
      - .offset:         32
        .size:           8
        .value_kind:     by_value
      - .address_space:  global
        .offset:         40
        .size:           8
        .value_kind:     global_buffer
      - .offset:         48
        .size:           8
        .value_kind:     by_value
      - .offset:         56
        .size:           8
        .value_kind:     by_value
      - .offset:         64
        .size:           8
        .value_kind:     by_value
      - .address_space:  global
        .offset:         72
        .size:           8
        .value_kind:     global_buffer
      - .offset:         80
        .size:           8
        .value_kind:     by_value
      - .offset:         88
        .size:           8
        .value_kind:     by_value
      - .offset:         96
        .size:           8
        .value_kind:     by_value
      - .address_space:  global
        .offset:         104
        .size:           8
        .value_kind:     global_buffer
      - .offset:         112
        .size:           8
        .value_kind:     by_value
      - .offset:         120
        .size:           8
        .value_kind:     by_value
      - .offset:         128
        .size:           8
        .value_kind:     by_value
      - .offset:         136
        .size:           4
        .value_kind:     by_value
      - .offset:         144
        .size:           4
        .value_kind:     hidden_block_count_x
      - .offset:         148
        .size:           4
        .value_kind:     hidden_block_count_y
      - .offset:         152
        .size:           4
        .value_kind:     hidden_block_count_z
      - .offset:         156
        .size:           2
        .value_kind:     hidden_group_size_x
      - .offset:         158
        .size:           2
        .value_kind:     hidden_group_size_y
      - .offset:         160
        .size:           2
        .value_kind:     hidden_group_size_z
      - .offset:         162
        .size:           2
        .value_kind:     hidden_remainder_x
      - .offset:         164
        .size:           2
        .value_kind:     hidden_remainder_y
      - .offset:         166
        .size:           2
        .value_kind:     hidden_remainder_z
      - .offset:         184
        .size:           8
        .value_kind:     hidden_global_offset_x
      - .offset:         192
        .size:           8
        .value_kind:     hidden_global_offset_y
      - .offset:         200
        .size:           8
        .value_kind:     hidden_global_offset_z
      - .offset:         208
        .size:           2
        .value_kind:     hidden_grid_dims
    .group_segment_fixed_size: 32768
    .kernarg_segment_align: 8
    .kernarg_segment_size: 400
    .language:       OpenCL C
    .language_version:
      - 2
      - 0
    .max_flat_workgroup_size: 1024
    .name:           _ZL30rocblas_trmm_outofplace_kernelI19rocblas_complex_numIdELi32ELi2ELb0ELb1ELb1ELb1ES1_KS1_S1_Ev17rocblas_diagonal_iiT6_lPT7_lllS6_lllPT8_llli
    .private_segment_fixed_size: 80
    .sgpr_count:     72
    .sgpr_spill_count: 0
    .symbol:         _ZL30rocblas_trmm_outofplace_kernelI19rocblas_complex_numIdELi32ELi2ELb0ELb1ELb1ELb1ES1_KS1_S1_Ev17rocblas_diagonal_iiT6_lPT7_lllS6_lllPT8_llli.kd
    .uniform_work_group_size: 1
    .uses_dynamic_stack: false
    .vgpr_count:     64
    .vgpr_spill_count: 19
    .wavefront_size: 64
  - .args:
      - .offset:         0
        .size:           4
        .value_kind:     by_value
      - .offset:         4
        .size:           4
        .value_kind:     by_value
      - .offset:         8
        .size:           4
        .value_kind:     by_value
      - .offset:         12
        .size:           4
        .value_kind:     by_value
      - .address_space:  global
        .offset:         16
        .size:           8
        .value_kind:     global_buffer
      - .offset:         24
        .size:           8
        .value_kind:     by_value
      - .address_space:  global
        .offset:         32
        .size:           8
        .value_kind:     global_buffer
      - .offset:         40
        .size:           8
        .value_kind:     by_value
      - .offset:         48
        .size:           8
        .value_kind:     by_value
      - .address_space:  global
        .offset:         56
        .size:           8
        .value_kind:     global_buffer
      - .offset:         64
        .size:           8
        .value_kind:     by_value
      - .offset:         72
        .size:           8
        .value_kind:     by_value
      - .address_space:  global
        .offset:         80
        .size:           8
        .value_kind:     global_buffer
      - .offset:         88
        .size:           8
        .value_kind:     by_value
      - .offset:         96
        .size:           8
        .value_kind:     by_value
      - .offset:         104
        .size:           4
        .value_kind:     by_value
    .group_segment_fixed_size: 8192
    .kernarg_segment_align: 8
    .kernarg_segment_size: 108
    .language:       OpenCL C
    .language_version:
      - 2
      - 0
    .max_flat_workgroup_size: 256
    .name:           _ZL23rocblas_trmm_lNx_kernelILi16E19rocblas_complex_numIdEPKS1_S2_S1_Ev13rocblas_fill_17rocblas_diagonal_iiT1_lPT2_llS8_llPT3_lli
    .private_segment_fixed_size: 0
    .sgpr_count:     32
    .sgpr_spill_count: 0
    .symbol:         _ZL23rocblas_trmm_lNx_kernelILi16E19rocblas_complex_numIdEPKS1_S2_S1_Ev13rocblas_fill_17rocblas_diagonal_iiT1_lPT2_llS8_llPT3_lli.kd
    .uniform_work_group_size: 1
    .uses_dynamic_stack: false
    .vgpr_count:     57
    .vgpr_spill_count: 0
    .wavefront_size: 64
  - .args:
      - .offset:         0
        .size:           4
        .value_kind:     by_value
      - .offset:         4
        .size:           4
        .value_kind:     by_value
      - .offset:         8
        .size:           4
        .value_kind:     by_value
      - .offset:         12
        .size:           4
        .value_kind:     by_value
      - .offset:         16
        .size:           16
        .value_kind:     by_value
      - .offset:         32
        .size:           8
        .value_kind:     by_value
      - .address_space:  global
        .offset:         40
        .size:           8
        .value_kind:     global_buffer
      - .offset:         48
        .size:           8
        .value_kind:     by_value
      - .offset:         56
        .size:           8
        .value_kind:     by_value
      - .address_space:  global
        .offset:         64
        .size:           8
        .value_kind:     global_buffer
      - .offset:         72
        .size:           8
        .value_kind:     by_value
      - .offset:         80
        .size:           8
        .value_kind:     by_value
      - .address_space:  global
        .offset:         88
        .size:           8
        .value_kind:     global_buffer
      - .offset:         96
        .size:           8
        .value_kind:     by_value
      - .offset:         104
        .size:           8
        .value_kind:     by_value
      - .offset:         112
        .size:           4
        .value_kind:     by_value
    .group_segment_fixed_size: 8192
    .kernarg_segment_align: 8
    .kernarg_segment_size: 116
    .language:       OpenCL C
    .language_version:
      - 2
      - 0
    .max_flat_workgroup_size: 256
    .name:           _ZL23rocblas_trmm_lNx_kernelILi16E19rocblas_complex_numIdES1_KS1_S1_Ev13rocblas_fill_17rocblas_diagonal_iiT1_lPT2_llS7_llPT3_lli
    .private_segment_fixed_size: 0
    .sgpr_count:     36
    .sgpr_spill_count: 0
    .symbol:         _ZL23rocblas_trmm_lNx_kernelILi16E19rocblas_complex_numIdES1_KS1_S1_Ev13rocblas_fill_17rocblas_diagonal_iiT1_lPT2_llS7_llPT3_lli.kd
    .uniform_work_group_size: 1
    .uses_dynamic_stack: false
    .vgpr_count:     53
    .vgpr_spill_count: 0
    .wavefront_size: 64
  - .args:
      - .offset:         0
        .size:           4
        .value_kind:     by_value
      - .offset:         4
        .size:           4
        .value_kind:     by_value
      - .offset:         8
        .size:           4
        .value_kind:     by_value
      - .offset:         12
        .size:           4
        .value_kind:     by_value
      - .address_space:  global
        .offset:         16
        .size:           8
        .value_kind:     global_buffer
      - .offset:         24
        .size:           8
        .value_kind:     by_value
      - .address_space:  global
        .offset:         32
        .size:           8
        .value_kind:     global_buffer
      - .offset:         40
        .size:           8
        .value_kind:     by_value
      - .offset:         48
        .size:           8
        .value_kind:     by_value
      - .address_space:  global
        .offset:         56
        .size:           8
        .value_kind:     global_buffer
      - .offset:         64
        .size:           8
        .value_kind:     by_value
      - .offset:         72
        .size:           8
        .value_kind:     by_value
      - .address_space:  global
        .offset:         80
        .size:           8
        .value_kind:     global_buffer
      - .offset:         88
        .size:           8
        .value_kind:     by_value
      - .offset:         96
        .size:           8
        .value_kind:     by_value
      - .offset:         104
        .size:           4
        .value_kind:     by_value
    .group_segment_fixed_size: 8192
    .kernarg_segment_align: 8
    .kernarg_segment_size: 108
    .language:       OpenCL C
    .language_version:
      - 2
      - 0
    .max_flat_workgroup_size: 256
    .name:           _ZL23rocblas_trmm_lTx_kernelILi16ELb0E19rocblas_complex_numIdEPKS1_S2_S1_Ev13rocblas_fill_17rocblas_diagonal_iiT2_lPT3_llS8_llPT4_lli
    .private_segment_fixed_size: 0
    .sgpr_count:     32
    .sgpr_spill_count: 0
    .symbol:         _ZL23rocblas_trmm_lTx_kernelILi16ELb0E19rocblas_complex_numIdEPKS1_S2_S1_Ev13rocblas_fill_17rocblas_diagonal_iiT2_lPT3_llS8_llPT4_lli.kd
    .uniform_work_group_size: 1
    .uses_dynamic_stack: false
    .vgpr_count:     57
    .vgpr_spill_count: 0
    .wavefront_size: 64
  - .args:
      - .offset:         0
        .size:           4
        .value_kind:     by_value
      - .offset:         4
        .size:           4
        .value_kind:     by_value
      - .offset:         8
        .size:           4
        .value_kind:     by_value
      - .offset:         12
        .size:           4
        .value_kind:     by_value
      - .offset:         16
        .size:           16
        .value_kind:     by_value
      - .offset:         32
        .size:           8
        .value_kind:     by_value
      - .address_space:  global
        .offset:         40
        .size:           8
        .value_kind:     global_buffer
      - .offset:         48
        .size:           8
        .value_kind:     by_value
      - .offset:         56
        .size:           8
        .value_kind:     by_value
      - .address_space:  global
        .offset:         64
        .size:           8
        .value_kind:     global_buffer
      - .offset:         72
        .size:           8
        .value_kind:     by_value
      - .offset:         80
        .size:           8
        .value_kind:     by_value
      - .address_space:  global
        .offset:         88
        .size:           8
        .value_kind:     global_buffer
      - .offset:         96
        .size:           8
        .value_kind:     by_value
      - .offset:         104
        .size:           8
        .value_kind:     by_value
      - .offset:         112
        .size:           4
        .value_kind:     by_value
    .group_segment_fixed_size: 8192
    .kernarg_segment_align: 8
    .kernarg_segment_size: 116
    .language:       OpenCL C
    .language_version:
      - 2
      - 0
    .max_flat_workgroup_size: 256
    .name:           _ZL23rocblas_trmm_lTx_kernelILi16ELb0E19rocblas_complex_numIdES1_KS1_S1_Ev13rocblas_fill_17rocblas_diagonal_iiT2_lPT3_llS7_llPT4_lli
    .private_segment_fixed_size: 0
    .sgpr_count:     36
    .sgpr_spill_count: 0
    .symbol:         _ZL23rocblas_trmm_lTx_kernelILi16ELb0E19rocblas_complex_numIdES1_KS1_S1_Ev13rocblas_fill_17rocblas_diagonal_iiT2_lPT3_llS7_llPT4_lli.kd
    .uniform_work_group_size: 1
    .uses_dynamic_stack: false
    .vgpr_count:     53
    .vgpr_spill_count: 0
    .wavefront_size: 64
  - .args:
      - .offset:         0
        .size:           4
        .value_kind:     by_value
      - .offset:         4
        .size:           4
        .value_kind:     by_value
      - .offset:         8
        .size:           4
        .value_kind:     by_value
      - .offset:         12
        .size:           4
        .value_kind:     by_value
      - .address_space:  global
        .offset:         16
        .size:           8
        .value_kind:     global_buffer
      - .offset:         24
        .size:           8
        .value_kind:     by_value
      - .address_space:  global
        .offset:         32
        .size:           8
        .value_kind:     global_buffer
      - .offset:         40
        .size:           8
        .value_kind:     by_value
      - .offset:         48
        .size:           8
        .value_kind:     by_value
      - .address_space:  global
        .offset:         56
        .size:           8
        .value_kind:     global_buffer
      - .offset:         64
        .size:           8
        .value_kind:     by_value
      - .offset:         72
        .size:           8
        .value_kind:     by_value
      - .address_space:  global
        .offset:         80
        .size:           8
        .value_kind:     global_buffer
      - .offset:         88
        .size:           8
        .value_kind:     by_value
      - .offset:         96
        .size:           8
        .value_kind:     by_value
      - .offset:         104
        .size:           4
        .value_kind:     by_value
    .group_segment_fixed_size: 8192
    .kernarg_segment_align: 8
    .kernarg_segment_size: 108
    .language:       OpenCL C
    .language_version:
      - 2
      - 0
    .max_flat_workgroup_size: 256
    .name:           _ZL23rocblas_trmm_lTx_kernelILi16ELb1E19rocblas_complex_numIdEPKS1_S2_S1_Ev13rocblas_fill_17rocblas_diagonal_iiT2_lPT3_llS8_llPT4_lli
    .private_segment_fixed_size: 0
    .sgpr_count:     32
    .sgpr_spill_count: 0
    .symbol:         _ZL23rocblas_trmm_lTx_kernelILi16ELb1E19rocblas_complex_numIdEPKS1_S2_S1_Ev13rocblas_fill_17rocblas_diagonal_iiT2_lPT3_llS8_llPT4_lli.kd
    .uniform_work_group_size: 1
    .uses_dynamic_stack: false
    .vgpr_count:     57
    .vgpr_spill_count: 0
    .wavefront_size: 64
  - .args:
      - .offset:         0
        .size:           4
        .value_kind:     by_value
      - .offset:         4
        .size:           4
        .value_kind:     by_value
      - .offset:         8
        .size:           4
        .value_kind:     by_value
      - .offset:         12
        .size:           4
        .value_kind:     by_value
      - .offset:         16
        .size:           16
        .value_kind:     by_value
      - .offset:         32
        .size:           8
        .value_kind:     by_value
      - .address_space:  global
        .offset:         40
        .size:           8
        .value_kind:     global_buffer
      - .offset:         48
        .size:           8
        .value_kind:     by_value
      - .offset:         56
        .size:           8
        .value_kind:     by_value
      - .address_space:  global
        .offset:         64
        .size:           8
        .value_kind:     global_buffer
      - .offset:         72
        .size:           8
        .value_kind:     by_value
      - .offset:         80
        .size:           8
        .value_kind:     by_value
      - .address_space:  global
        .offset:         88
        .size:           8
        .value_kind:     global_buffer
      - .offset:         96
        .size:           8
        .value_kind:     by_value
      - .offset:         104
        .size:           8
        .value_kind:     by_value
      - .offset:         112
        .size:           4
        .value_kind:     by_value
    .group_segment_fixed_size: 8192
    .kernarg_segment_align: 8
    .kernarg_segment_size: 116
    .language:       OpenCL C
    .language_version:
      - 2
      - 0
    .max_flat_workgroup_size: 256
    .name:           _ZL23rocblas_trmm_lTx_kernelILi16ELb1E19rocblas_complex_numIdES1_KS1_S1_Ev13rocblas_fill_17rocblas_diagonal_iiT2_lPT3_llS7_llPT4_lli
    .private_segment_fixed_size: 0
    .sgpr_count:     36
    .sgpr_spill_count: 0
    .symbol:         _ZL23rocblas_trmm_lTx_kernelILi16ELb1E19rocblas_complex_numIdES1_KS1_S1_Ev13rocblas_fill_17rocblas_diagonal_iiT2_lPT3_llS7_llPT4_lli.kd
    .uniform_work_group_size: 1
    .uses_dynamic_stack: false
    .vgpr_count:     53
    .vgpr_spill_count: 0
    .wavefront_size: 64
  - .args:
      - .offset:         0
        .size:           4
        .value_kind:     by_value
      - .offset:         4
        .size:           4
        .value_kind:     by_value
      - .offset:         8
        .size:           4
        .value_kind:     by_value
      - .offset:         12
        .size:           4
        .value_kind:     by_value
      - .address_space:  global
        .offset:         16
        .size:           8
        .value_kind:     global_buffer
      - .offset:         24
        .size:           8
        .value_kind:     by_value
      - .address_space:  global
        .offset:         32
        .size:           8
        .value_kind:     global_buffer
      - .offset:         40
        .size:           8
        .value_kind:     by_value
      - .offset:         48
        .size:           8
        .value_kind:     by_value
      - .address_space:  global
        .offset:         56
        .size:           8
        .value_kind:     global_buffer
      - .offset:         64
        .size:           8
        .value_kind:     by_value
      - .offset:         72
        .size:           8
        .value_kind:     by_value
      - .address_space:  global
        .offset:         80
        .size:           8
        .value_kind:     global_buffer
      - .offset:         88
        .size:           8
        .value_kind:     by_value
      - .offset:         96
        .size:           8
        .value_kind:     by_value
      - .offset:         104
        .size:           4
        .value_kind:     by_value
    .group_segment_fixed_size: 8192
    .kernarg_segment_align: 8
    .kernarg_segment_size: 108
    .language:       OpenCL C
    .language_version:
      - 2
      - 0
    .max_flat_workgroup_size: 256
    .name:           _ZL23rocblas_trmm_rNx_kernelILi16E19rocblas_complex_numIdEPKS1_S2_S1_Ev13rocblas_fill_17rocblas_diagonal_iiT1_lPT2_llS8_llPT3_lli
    .private_segment_fixed_size: 0
    .sgpr_count:     32
    .sgpr_spill_count: 0
    .symbol:         _ZL23rocblas_trmm_rNx_kernelILi16E19rocblas_complex_numIdEPKS1_S2_S1_Ev13rocblas_fill_17rocblas_diagonal_iiT1_lPT2_llS8_llPT3_lli.kd
    .uniform_work_group_size: 1
    .uses_dynamic_stack: false
    .vgpr_count:     47
    .vgpr_spill_count: 0
    .wavefront_size: 64
  - .args:
      - .offset:         0
        .size:           4
        .value_kind:     by_value
      - .offset:         4
        .size:           4
        .value_kind:     by_value
      - .offset:         8
        .size:           4
        .value_kind:     by_value
      - .offset:         12
        .size:           4
        .value_kind:     by_value
      - .offset:         16
        .size:           16
        .value_kind:     by_value
      - .offset:         32
        .size:           8
        .value_kind:     by_value
      - .address_space:  global
        .offset:         40
        .size:           8
        .value_kind:     global_buffer
      - .offset:         48
        .size:           8
        .value_kind:     by_value
      - .offset:         56
        .size:           8
        .value_kind:     by_value
      - .address_space:  global
        .offset:         64
        .size:           8
        .value_kind:     global_buffer
      - .offset:         72
        .size:           8
        .value_kind:     by_value
      - .offset:         80
        .size:           8
        .value_kind:     by_value
      - .address_space:  global
        .offset:         88
        .size:           8
        .value_kind:     global_buffer
      - .offset:         96
        .size:           8
        .value_kind:     by_value
      - .offset:         104
        .size:           8
        .value_kind:     by_value
      - .offset:         112
        .size:           4
        .value_kind:     by_value
    .group_segment_fixed_size: 8192
    .kernarg_segment_align: 8
    .kernarg_segment_size: 116
    .language:       OpenCL C
    .language_version:
      - 2
      - 0
    .max_flat_workgroup_size: 256
    .name:           _ZL23rocblas_trmm_rNx_kernelILi16E19rocblas_complex_numIdES1_KS1_S1_Ev13rocblas_fill_17rocblas_diagonal_iiT1_lPT2_llS7_llPT3_lli
    .private_segment_fixed_size: 0
    .sgpr_count:     36
    .sgpr_spill_count: 0
    .symbol:         _ZL23rocblas_trmm_rNx_kernelILi16E19rocblas_complex_numIdES1_KS1_S1_Ev13rocblas_fill_17rocblas_diagonal_iiT1_lPT2_llS7_llPT3_lli.kd
    .uniform_work_group_size: 1
    .uses_dynamic_stack: false
    .vgpr_count:     47
    .vgpr_spill_count: 0
    .wavefront_size: 64
  - .args:
      - .offset:         0
        .size:           4
        .value_kind:     by_value
      - .offset:         4
        .size:           4
        .value_kind:     by_value
      - .offset:         8
        .size:           4
        .value_kind:     by_value
      - .offset:         12
        .size:           4
        .value_kind:     by_value
      - .address_space:  global
        .offset:         16
        .size:           8
        .value_kind:     global_buffer
      - .offset:         24
        .size:           8
        .value_kind:     by_value
      - .address_space:  global
        .offset:         32
        .size:           8
        .value_kind:     global_buffer
      - .offset:         40
        .size:           8
        .value_kind:     by_value
      - .offset:         48
        .size:           8
        .value_kind:     by_value
      - .address_space:  global
        .offset:         56
        .size:           8
        .value_kind:     global_buffer
      - .offset:         64
        .size:           8
        .value_kind:     by_value
      - .offset:         72
        .size:           8
        .value_kind:     by_value
      - .address_space:  global
        .offset:         80
        .size:           8
        .value_kind:     global_buffer
      - .offset:         88
        .size:           8
        .value_kind:     by_value
      - .offset:         96
        .size:           8
        .value_kind:     by_value
      - .offset:         104
        .size:           4
        .value_kind:     by_value
    .group_segment_fixed_size: 8192
    .kernarg_segment_align: 8
    .kernarg_segment_size: 108
    .language:       OpenCL C
    .language_version:
      - 2
      - 0
    .max_flat_workgroup_size: 256
    .name:           _ZL23rocblas_trmm_rTx_kernelILi16ELb0E19rocblas_complex_numIdEPKS1_S2_S1_Ev13rocblas_fill_17rocblas_diagonal_iiT2_lPT3_llS8_llPT4_lli
    .private_segment_fixed_size: 0
    .sgpr_count:     32
    .sgpr_spill_count: 0
    .symbol:         _ZL23rocblas_trmm_rTx_kernelILi16ELb0E19rocblas_complex_numIdEPKS1_S2_S1_Ev13rocblas_fill_17rocblas_diagonal_iiT2_lPT3_llS8_llPT4_lli.kd
    .uniform_work_group_size: 1
    .uses_dynamic_stack: false
    .vgpr_count:     48
    .vgpr_spill_count: 0
    .wavefront_size: 64
  - .args:
      - .offset:         0
        .size:           4
        .value_kind:     by_value
      - .offset:         4
        .size:           4
        .value_kind:     by_value
      - .offset:         8
        .size:           4
        .value_kind:     by_value
      - .offset:         12
        .size:           4
        .value_kind:     by_value
      - .offset:         16
        .size:           16
        .value_kind:     by_value
      - .offset:         32
        .size:           8
        .value_kind:     by_value
      - .address_space:  global
        .offset:         40
        .size:           8
        .value_kind:     global_buffer
      - .offset:         48
        .size:           8
        .value_kind:     by_value
      - .offset:         56
        .size:           8
        .value_kind:     by_value
      - .address_space:  global
        .offset:         64
        .size:           8
        .value_kind:     global_buffer
      - .offset:         72
        .size:           8
        .value_kind:     by_value
      - .offset:         80
        .size:           8
        .value_kind:     by_value
      - .address_space:  global
        .offset:         88
        .size:           8
        .value_kind:     global_buffer
      - .offset:         96
        .size:           8
        .value_kind:     by_value
      - .offset:         104
        .size:           8
        .value_kind:     by_value
      - .offset:         112
        .size:           4
        .value_kind:     by_value
    .group_segment_fixed_size: 8192
    .kernarg_segment_align: 8
    .kernarg_segment_size: 116
    .language:       OpenCL C
    .language_version:
      - 2
      - 0
    .max_flat_workgroup_size: 256
    .name:           _ZL23rocblas_trmm_rTx_kernelILi16ELb0E19rocblas_complex_numIdES1_KS1_S1_Ev13rocblas_fill_17rocblas_diagonal_iiT2_lPT3_llS7_llPT4_lli
    .private_segment_fixed_size: 0
    .sgpr_count:     36
    .sgpr_spill_count: 0
    .symbol:         _ZL23rocblas_trmm_rTx_kernelILi16ELb0E19rocblas_complex_numIdES1_KS1_S1_Ev13rocblas_fill_17rocblas_diagonal_iiT2_lPT3_llS7_llPT4_lli.kd
    .uniform_work_group_size: 1
    .uses_dynamic_stack: false
    .vgpr_count:     48
    .vgpr_spill_count: 0
    .wavefront_size: 64
  - .args:
      - .offset:         0
        .size:           4
        .value_kind:     by_value
      - .offset:         4
        .size:           4
        .value_kind:     by_value
      - .offset:         8
        .size:           4
        .value_kind:     by_value
      - .offset:         12
        .size:           4
        .value_kind:     by_value
      - .address_space:  global
        .offset:         16
        .size:           8
        .value_kind:     global_buffer
      - .offset:         24
        .size:           8
        .value_kind:     by_value
      - .address_space:  global
        .offset:         32
        .size:           8
        .value_kind:     global_buffer
      - .offset:         40
        .size:           8
        .value_kind:     by_value
      - .offset:         48
        .size:           8
        .value_kind:     by_value
      - .address_space:  global
        .offset:         56
        .size:           8
        .value_kind:     global_buffer
      - .offset:         64
        .size:           8
        .value_kind:     by_value
      - .offset:         72
        .size:           8
        .value_kind:     by_value
      - .address_space:  global
        .offset:         80
        .size:           8
        .value_kind:     global_buffer
      - .offset:         88
        .size:           8
        .value_kind:     by_value
      - .offset:         96
        .size:           8
        .value_kind:     by_value
      - .offset:         104
        .size:           4
        .value_kind:     by_value
    .group_segment_fixed_size: 8192
    .kernarg_segment_align: 8
    .kernarg_segment_size: 108
    .language:       OpenCL C
    .language_version:
      - 2
      - 0
    .max_flat_workgroup_size: 256
    .name:           _ZL23rocblas_trmm_rTx_kernelILi16ELb1E19rocblas_complex_numIdEPKS1_S2_S1_Ev13rocblas_fill_17rocblas_diagonal_iiT2_lPT3_llS8_llPT4_lli
    .private_segment_fixed_size: 0
    .sgpr_count:     32
    .sgpr_spill_count: 0
    .symbol:         _ZL23rocblas_trmm_rTx_kernelILi16ELb1E19rocblas_complex_numIdEPKS1_S2_S1_Ev13rocblas_fill_17rocblas_diagonal_iiT2_lPT3_llS8_llPT4_lli.kd
    .uniform_work_group_size: 1
    .uses_dynamic_stack: false
    .vgpr_count:     48
    .vgpr_spill_count: 0
    .wavefront_size: 64
  - .args:
      - .offset:         0
        .size:           4
        .value_kind:     by_value
      - .offset:         4
        .size:           4
        .value_kind:     by_value
      - .offset:         8
        .size:           4
        .value_kind:     by_value
      - .offset:         12
        .size:           4
        .value_kind:     by_value
      - .offset:         16
        .size:           16
        .value_kind:     by_value
      - .offset:         32
        .size:           8
        .value_kind:     by_value
      - .address_space:  global
        .offset:         40
        .size:           8
        .value_kind:     global_buffer
      - .offset:         48
        .size:           8
        .value_kind:     by_value
      - .offset:         56
        .size:           8
        .value_kind:     by_value
      - .address_space:  global
        .offset:         64
        .size:           8
        .value_kind:     global_buffer
      - .offset:         72
        .size:           8
        .value_kind:     by_value
      - .offset:         80
        .size:           8
        .value_kind:     by_value
      - .address_space:  global
        .offset:         88
        .size:           8
        .value_kind:     global_buffer
      - .offset:         96
        .size:           8
        .value_kind:     by_value
      - .offset:         104
        .size:           8
        .value_kind:     by_value
      - .offset:         112
        .size:           4
        .value_kind:     by_value
    .group_segment_fixed_size: 8192
    .kernarg_segment_align: 8
    .kernarg_segment_size: 116
    .language:       OpenCL C
    .language_version:
      - 2
      - 0
    .max_flat_workgroup_size: 256
    .name:           _ZL23rocblas_trmm_rTx_kernelILi16ELb1E19rocblas_complex_numIdES1_KS1_S1_Ev13rocblas_fill_17rocblas_diagonal_iiT2_lPT3_llS7_llPT4_lli
    .private_segment_fixed_size: 0
    .sgpr_count:     36
    .sgpr_spill_count: 0
    .symbol:         _ZL23rocblas_trmm_rTx_kernelILi16ELb1E19rocblas_complex_numIdES1_KS1_S1_Ev13rocblas_fill_17rocblas_diagonal_iiT2_lPT3_llS7_llPT4_lli.kd
    .uniform_work_group_size: 1
    .uses_dynamic_stack: false
    .vgpr_count:     48
    .vgpr_spill_count: 0
    .wavefront_size: 64
  - .args:
      - .offset:         0
        .size:           4
        .value_kind:     by_value
      - .offset:         4
        .size:           4
        .value_kind:     by_value
      - .offset:         8
        .size:           4
        .value_kind:     by_value
      - .offset:         12
        .size:           4
        .value_kind:     by_value
      - .address_space:  global
        .offset:         16
        .size:           8
        .value_kind:     global_buffer
      - .offset:         24
        .size:           8
        .value_kind:     by_value
      - .address_space:  global
        .offset:         32
        .size:           8
        .value_kind:     global_buffer
      - .offset:         40
        .size:           8
        .value_kind:     by_value
      - .offset:         48
        .size:           8
        .value_kind:     by_value
      - .address_space:  global
        .offset:         56
        .size:           8
        .value_kind:     global_buffer
      - .offset:         64
        .size:           8
        .value_kind:     by_value
      - .offset:         72
        .size:           8
        .value_kind:     by_value
      - .address_space:  global
        .offset:         80
        .size:           8
        .value_kind:     global_buffer
      - .offset:         88
        .size:           8
        .value_kind:     by_value
      - .offset:         96
        .size:           8
        .value_kind:     by_value
      - .offset:         104
        .size:           4
        .value_kind:     by_value
    .group_segment_fixed_size: 8192
    .kernarg_segment_align: 8
    .kernarg_segment_size: 108
    .language:       OpenCL C
    .language_version:
      - 2
      - 0
    .max_flat_workgroup_size: 1024
    .name:           _ZL23rocblas_trmm_lNx_kernelILi32EfPKfKS1_KPfEv13rocblas_fill_17rocblas_diagonal_iiT1_lPT2_llS9_llPT3_lli
    .private_segment_fixed_size: 0
    .sgpr_count:     35
    .sgpr_spill_count: 0
    .symbol:         _ZL23rocblas_trmm_lNx_kernelILi32EfPKfKS1_KPfEv13rocblas_fill_17rocblas_diagonal_iiT1_lPT2_llS9_llPT3_lli.kd
    .uniform_work_group_size: 1
    .uses_dynamic_stack: false
    .vgpr_count:     25
    .vgpr_spill_count: 0
    .wavefront_size: 64
  - .args:
      - .offset:         0
        .size:           4
        .value_kind:     by_value
      - .offset:         4
        .size:           4
        .value_kind:     by_value
      - .offset:         8
        .size:           4
        .value_kind:     by_value
      - .offset:         12
        .size:           4
        .value_kind:     by_value
      - .offset:         16
        .size:           4
        .value_kind:     by_value
      - .offset:         24
        .size:           8
        .value_kind:     by_value
      - .address_space:  global
        .offset:         32
        .size:           8
        .value_kind:     global_buffer
      - .offset:         40
        .size:           8
        .value_kind:     by_value
      - .offset:         48
        .size:           8
        .value_kind:     by_value
      - .address_space:  global
        .offset:         56
        .size:           8
        .value_kind:     global_buffer
      - .offset:         64
        .size:           8
        .value_kind:     by_value
      - .offset:         72
        .size:           8
        .value_kind:     by_value
      - .address_space:  global
        .offset:         80
        .size:           8
        .value_kind:     global_buffer
      - .offset:         88
        .size:           8
        .value_kind:     by_value
      - .offset:         96
        .size:           8
        .value_kind:     by_value
      - .offset:         104
        .size:           4
        .value_kind:     by_value
    .group_segment_fixed_size: 8192
    .kernarg_segment_align: 8
    .kernarg_segment_size: 108
    .language:       OpenCL C
    .language_version:
      - 2
      - 0
    .max_flat_workgroup_size: 1024
    .name:           _ZL23rocblas_trmm_lNx_kernelILi32EffKPKfKPfEv13rocblas_fill_17rocblas_diagonal_iiT1_lPT2_llS9_llPT3_lli
    .private_segment_fixed_size: 0
    .sgpr_count:     35
    .sgpr_spill_count: 0
    .symbol:         _ZL23rocblas_trmm_lNx_kernelILi32EffKPKfKPfEv13rocblas_fill_17rocblas_diagonal_iiT1_lPT2_llS9_llPT3_lli.kd
    .uniform_work_group_size: 1
    .uses_dynamic_stack: false
    .vgpr_count:     25
    .vgpr_spill_count: 0
    .wavefront_size: 64
  - .args:
      - .offset:         0
        .size:           4
        .value_kind:     by_value
      - .offset:         4
        .size:           4
        .value_kind:     by_value
      - .offset:         8
        .size:           4
        .value_kind:     by_value
      - .offset:         12
        .size:           4
        .value_kind:     by_value
      - .address_space:  global
        .offset:         16
        .size:           8
        .value_kind:     global_buffer
      - .offset:         24
        .size:           8
        .value_kind:     by_value
      - .address_space:  global
        .offset:         32
        .size:           8
        .value_kind:     global_buffer
      - .offset:         40
        .size:           8
        .value_kind:     by_value
      - .offset:         48
        .size:           8
        .value_kind:     by_value
      - .address_space:  global
        .offset:         56
        .size:           8
        .value_kind:     global_buffer
      - .offset:         64
        .size:           8
        .value_kind:     by_value
      - .offset:         72
        .size:           8
        .value_kind:     by_value
      - .address_space:  global
        .offset:         80
        .size:           8
        .value_kind:     global_buffer
      - .offset:         88
        .size:           8
        .value_kind:     by_value
      - .offset:         96
        .size:           8
        .value_kind:     by_value
      - .offset:         104
        .size:           4
        .value_kind:     by_value
    .group_segment_fixed_size: 8192
    .kernarg_segment_align: 8
    .kernarg_segment_size: 108
    .language:       OpenCL C
    .language_version:
      - 2
      - 0
    .max_flat_workgroup_size: 1024
    .name:           _ZL23rocblas_trmm_lTx_kernelILi32ELb0EfPKfKS1_KPfEv13rocblas_fill_17rocblas_diagonal_iiT2_lPT3_llS9_llPT4_lli
    .private_segment_fixed_size: 0
    .sgpr_count:     33
    .sgpr_spill_count: 0
    .symbol:         _ZL23rocblas_trmm_lTx_kernelILi32ELb0EfPKfKS1_KPfEv13rocblas_fill_17rocblas_diagonal_iiT2_lPT3_llS9_llPT4_lli.kd
    .uniform_work_group_size: 1
    .uses_dynamic_stack: false
    .vgpr_count:     25
    .vgpr_spill_count: 0
    .wavefront_size: 64
  - .args:
      - .offset:         0
        .size:           4
        .value_kind:     by_value
      - .offset:         4
        .size:           4
        .value_kind:     by_value
      - .offset:         8
        .size:           4
        .value_kind:     by_value
      - .offset:         12
        .size:           4
        .value_kind:     by_value
      - .offset:         16
        .size:           4
        .value_kind:     by_value
      - .offset:         24
        .size:           8
        .value_kind:     by_value
      - .address_space:  global
        .offset:         32
        .size:           8
        .value_kind:     global_buffer
      - .offset:         40
        .size:           8
        .value_kind:     by_value
      - .offset:         48
        .size:           8
        .value_kind:     by_value
      - .address_space:  global
        .offset:         56
        .size:           8
        .value_kind:     global_buffer
      - .offset:         64
        .size:           8
        .value_kind:     by_value
      - .offset:         72
        .size:           8
        .value_kind:     by_value
      - .address_space:  global
        .offset:         80
        .size:           8
        .value_kind:     global_buffer
      - .offset:         88
        .size:           8
        .value_kind:     by_value
      - .offset:         96
        .size:           8
        .value_kind:     by_value
      - .offset:         104
        .size:           4
        .value_kind:     by_value
    .group_segment_fixed_size: 8192
    .kernarg_segment_align: 8
    .kernarg_segment_size: 108
    .language:       OpenCL C
    .language_version:
      - 2
      - 0
    .max_flat_workgroup_size: 1024
    .name:           _ZL23rocblas_trmm_lTx_kernelILi32ELb0EffKPKfKPfEv13rocblas_fill_17rocblas_diagonal_iiT2_lPT3_llS9_llPT4_lli
    .private_segment_fixed_size: 0
    .sgpr_count:     35
    .sgpr_spill_count: 0
    .symbol:         _ZL23rocblas_trmm_lTx_kernelILi32ELb0EffKPKfKPfEv13rocblas_fill_17rocblas_diagonal_iiT2_lPT3_llS9_llPT4_lli.kd
    .uniform_work_group_size: 1
    .uses_dynamic_stack: false
    .vgpr_count:     25
    .vgpr_spill_count: 0
    .wavefront_size: 64
  - .args:
      - .offset:         0
        .size:           4
        .value_kind:     by_value
      - .offset:         4
        .size:           4
        .value_kind:     by_value
      - .offset:         8
        .size:           4
        .value_kind:     by_value
      - .offset:         12
        .size:           4
        .value_kind:     by_value
      - .address_space:  global
        .offset:         16
        .size:           8
        .value_kind:     global_buffer
      - .offset:         24
        .size:           8
        .value_kind:     by_value
      - .address_space:  global
        .offset:         32
        .size:           8
        .value_kind:     global_buffer
      - .offset:         40
        .size:           8
        .value_kind:     by_value
      - .offset:         48
        .size:           8
        .value_kind:     by_value
      - .address_space:  global
        .offset:         56
        .size:           8
        .value_kind:     global_buffer
      - .offset:         64
        .size:           8
        .value_kind:     by_value
      - .offset:         72
        .size:           8
        .value_kind:     by_value
      - .address_space:  global
        .offset:         80
        .size:           8
        .value_kind:     global_buffer
      - .offset:         88
        .size:           8
        .value_kind:     by_value
      - .offset:         96
        .size:           8
        .value_kind:     by_value
      - .offset:         104
        .size:           4
        .value_kind:     by_value
    .group_segment_fixed_size: 8192
    .kernarg_segment_align: 8
    .kernarg_segment_size: 108
    .language:       OpenCL C
    .language_version:
      - 2
      - 0
    .max_flat_workgroup_size: 1024
    .name:           _ZL23rocblas_trmm_lTx_kernelILi32ELb1EfPKfKS1_KPfEv13rocblas_fill_17rocblas_diagonal_iiT2_lPT3_llS9_llPT4_lli
    .private_segment_fixed_size: 0
    .sgpr_count:     33
    .sgpr_spill_count: 0
    .symbol:         _ZL23rocblas_trmm_lTx_kernelILi32ELb1EfPKfKS1_KPfEv13rocblas_fill_17rocblas_diagonal_iiT2_lPT3_llS9_llPT4_lli.kd
    .uniform_work_group_size: 1
    .uses_dynamic_stack: false
    .vgpr_count:     25
    .vgpr_spill_count: 0
    .wavefront_size: 64
  - .args:
      - .offset:         0
        .size:           4
        .value_kind:     by_value
      - .offset:         4
        .size:           4
        .value_kind:     by_value
      - .offset:         8
        .size:           4
        .value_kind:     by_value
      - .offset:         12
        .size:           4
        .value_kind:     by_value
      - .offset:         16
        .size:           4
        .value_kind:     by_value
      - .offset:         24
        .size:           8
        .value_kind:     by_value
      - .address_space:  global
        .offset:         32
        .size:           8
        .value_kind:     global_buffer
      - .offset:         40
        .size:           8
        .value_kind:     by_value
      - .offset:         48
        .size:           8
        .value_kind:     by_value
      - .address_space:  global
        .offset:         56
        .size:           8
        .value_kind:     global_buffer
      - .offset:         64
        .size:           8
        .value_kind:     by_value
      - .offset:         72
        .size:           8
        .value_kind:     by_value
      - .address_space:  global
        .offset:         80
        .size:           8
        .value_kind:     global_buffer
      - .offset:         88
        .size:           8
        .value_kind:     by_value
      - .offset:         96
        .size:           8
        .value_kind:     by_value
      - .offset:         104
        .size:           4
        .value_kind:     by_value
    .group_segment_fixed_size: 8192
    .kernarg_segment_align: 8
    .kernarg_segment_size: 108
    .language:       OpenCL C
    .language_version:
      - 2
      - 0
    .max_flat_workgroup_size: 1024
    .name:           _ZL23rocblas_trmm_lTx_kernelILi32ELb1EffKPKfKPfEv13rocblas_fill_17rocblas_diagonal_iiT2_lPT3_llS9_llPT4_lli
    .private_segment_fixed_size: 0
    .sgpr_count:     35
    .sgpr_spill_count: 0
    .symbol:         _ZL23rocblas_trmm_lTx_kernelILi32ELb1EffKPKfKPfEv13rocblas_fill_17rocblas_diagonal_iiT2_lPT3_llS9_llPT4_lli.kd
    .uniform_work_group_size: 1
    .uses_dynamic_stack: false
    .vgpr_count:     25
    .vgpr_spill_count: 0
    .wavefront_size: 64
  - .args:
      - .offset:         0
        .size:           4
        .value_kind:     by_value
      - .offset:         4
        .size:           4
        .value_kind:     by_value
      - .offset:         8
        .size:           4
        .value_kind:     by_value
      - .offset:         12
        .size:           4
        .value_kind:     by_value
      - .address_space:  global
        .offset:         16
        .size:           8
        .value_kind:     global_buffer
      - .offset:         24
        .size:           8
        .value_kind:     by_value
      - .address_space:  global
        .offset:         32
        .size:           8
        .value_kind:     global_buffer
      - .offset:         40
        .size:           8
        .value_kind:     by_value
      - .offset:         48
        .size:           8
        .value_kind:     by_value
      - .address_space:  global
        .offset:         56
        .size:           8
        .value_kind:     global_buffer
      - .offset:         64
        .size:           8
        .value_kind:     by_value
      - .offset:         72
        .size:           8
        .value_kind:     by_value
      - .address_space:  global
        .offset:         80
        .size:           8
        .value_kind:     global_buffer
      - .offset:         88
        .size:           8
        .value_kind:     by_value
      - .offset:         96
        .size:           8
        .value_kind:     by_value
      - .offset:         104
        .size:           4
        .value_kind:     by_value
    .group_segment_fixed_size: 8192
    .kernarg_segment_align: 8
    .kernarg_segment_size: 108
    .language:       OpenCL C
    .language_version:
      - 2
      - 0
    .max_flat_workgroup_size: 1024
    .name:           _ZL23rocblas_trmm_rNx_kernelILi32EfPKfKS1_KPfEv13rocblas_fill_17rocblas_diagonal_iiT1_lPT2_llS9_llPT3_lli
    .private_segment_fixed_size: 0
    .sgpr_count:     35
    .sgpr_spill_count: 0
    .symbol:         _ZL23rocblas_trmm_rNx_kernelILi32EfPKfKS1_KPfEv13rocblas_fill_17rocblas_diagonal_iiT1_lPT2_llS9_llPT3_lli.kd
    .uniform_work_group_size: 1
    .uses_dynamic_stack: false
    .vgpr_count:     26
    .vgpr_spill_count: 0
    .wavefront_size: 64
  - .args:
      - .offset:         0
        .size:           4
        .value_kind:     by_value
      - .offset:         4
        .size:           4
        .value_kind:     by_value
      - .offset:         8
        .size:           4
        .value_kind:     by_value
      - .offset:         12
        .size:           4
        .value_kind:     by_value
      - .offset:         16
        .size:           4
        .value_kind:     by_value
      - .offset:         24
        .size:           8
        .value_kind:     by_value
      - .address_space:  global
        .offset:         32
        .size:           8
        .value_kind:     global_buffer
      - .offset:         40
        .size:           8
        .value_kind:     by_value
      - .offset:         48
        .size:           8
        .value_kind:     by_value
      - .address_space:  global
        .offset:         56
        .size:           8
        .value_kind:     global_buffer
      - .offset:         64
        .size:           8
        .value_kind:     by_value
      - .offset:         72
        .size:           8
        .value_kind:     by_value
      - .address_space:  global
        .offset:         80
        .size:           8
        .value_kind:     global_buffer
      - .offset:         88
        .size:           8
        .value_kind:     by_value
      - .offset:         96
        .size:           8
        .value_kind:     by_value
      - .offset:         104
        .size:           4
        .value_kind:     by_value
    .group_segment_fixed_size: 8192
    .kernarg_segment_align: 8
    .kernarg_segment_size: 108
    .language:       OpenCL C
    .language_version:
      - 2
      - 0
    .max_flat_workgroup_size: 1024
    .name:           _ZL23rocblas_trmm_rNx_kernelILi32EffKPKfKPfEv13rocblas_fill_17rocblas_diagonal_iiT1_lPT2_llS9_llPT3_lli
    .private_segment_fixed_size: 0
    .sgpr_count:     35
    .sgpr_spill_count: 0
    .symbol:         _ZL23rocblas_trmm_rNx_kernelILi32EffKPKfKPfEv13rocblas_fill_17rocblas_diagonal_iiT1_lPT2_llS9_llPT3_lli.kd
    .uniform_work_group_size: 1
    .uses_dynamic_stack: false
    .vgpr_count:     26
    .vgpr_spill_count: 0
    .wavefront_size: 64
  - .args:
      - .offset:         0
        .size:           4
        .value_kind:     by_value
      - .offset:         4
        .size:           4
        .value_kind:     by_value
      - .offset:         8
        .size:           4
        .value_kind:     by_value
      - .offset:         12
        .size:           4
        .value_kind:     by_value
      - .address_space:  global
        .offset:         16
        .size:           8
        .value_kind:     global_buffer
      - .offset:         24
        .size:           8
        .value_kind:     by_value
      - .address_space:  global
        .offset:         32
        .size:           8
        .value_kind:     global_buffer
      - .offset:         40
        .size:           8
        .value_kind:     by_value
      - .offset:         48
        .size:           8
        .value_kind:     by_value
      - .address_space:  global
        .offset:         56
        .size:           8
        .value_kind:     global_buffer
      - .offset:         64
        .size:           8
        .value_kind:     by_value
      - .offset:         72
        .size:           8
        .value_kind:     by_value
      - .address_space:  global
        .offset:         80
        .size:           8
        .value_kind:     global_buffer
      - .offset:         88
        .size:           8
        .value_kind:     by_value
      - .offset:         96
        .size:           8
        .value_kind:     by_value
      - .offset:         104
        .size:           4
        .value_kind:     by_value
    .group_segment_fixed_size: 8192
    .kernarg_segment_align: 8
    .kernarg_segment_size: 108
    .language:       OpenCL C
    .language_version:
      - 2
      - 0
    .max_flat_workgroup_size: 1024
    .name:           _ZL23rocblas_trmm_rTx_kernelILi32ELb0EfPKfKS1_KPfEv13rocblas_fill_17rocblas_diagonal_iiT2_lPT3_llS9_llPT4_lli
    .private_segment_fixed_size: 0
    .sgpr_count:     35
    .sgpr_spill_count: 0
    .symbol:         _ZL23rocblas_trmm_rTx_kernelILi32ELb0EfPKfKS1_KPfEv13rocblas_fill_17rocblas_diagonal_iiT2_lPT3_llS9_llPT4_lli.kd
    .uniform_work_group_size: 1
    .uses_dynamic_stack: false
    .vgpr_count:     18
    .vgpr_spill_count: 0
    .wavefront_size: 64
  - .args:
      - .offset:         0
        .size:           4
        .value_kind:     by_value
      - .offset:         4
        .size:           4
        .value_kind:     by_value
      - .offset:         8
        .size:           4
        .value_kind:     by_value
      - .offset:         12
        .size:           4
        .value_kind:     by_value
      - .offset:         16
        .size:           4
        .value_kind:     by_value
      - .offset:         24
        .size:           8
        .value_kind:     by_value
      - .address_space:  global
        .offset:         32
        .size:           8
        .value_kind:     global_buffer
      - .offset:         40
        .size:           8
        .value_kind:     by_value
      - .offset:         48
        .size:           8
        .value_kind:     by_value
      - .address_space:  global
        .offset:         56
        .size:           8
        .value_kind:     global_buffer
      - .offset:         64
        .size:           8
        .value_kind:     by_value
      - .offset:         72
        .size:           8
        .value_kind:     by_value
      - .address_space:  global
        .offset:         80
        .size:           8
        .value_kind:     global_buffer
      - .offset:         88
        .size:           8
        .value_kind:     by_value
      - .offset:         96
        .size:           8
        .value_kind:     by_value
      - .offset:         104
        .size:           4
        .value_kind:     by_value
    .group_segment_fixed_size: 8192
    .kernarg_segment_align: 8
    .kernarg_segment_size: 108
    .language:       OpenCL C
    .language_version:
      - 2
      - 0
    .max_flat_workgroup_size: 1024
    .name:           _ZL23rocblas_trmm_rTx_kernelILi32ELb0EffKPKfKPfEv13rocblas_fill_17rocblas_diagonal_iiT2_lPT3_llS9_llPT4_lli
    .private_segment_fixed_size: 0
    .sgpr_count:     35
    .sgpr_spill_count: 0
    .symbol:         _ZL23rocblas_trmm_rTx_kernelILi32ELb0EffKPKfKPfEv13rocblas_fill_17rocblas_diagonal_iiT2_lPT3_llS9_llPT4_lli.kd
    .uniform_work_group_size: 1
    .uses_dynamic_stack: false
    .vgpr_count:     18
    .vgpr_spill_count: 0
    .wavefront_size: 64
  - .args:
      - .offset:         0
        .size:           4
        .value_kind:     by_value
      - .offset:         4
        .size:           4
        .value_kind:     by_value
      - .offset:         8
        .size:           4
        .value_kind:     by_value
      - .offset:         12
        .size:           4
        .value_kind:     by_value
      - .address_space:  global
        .offset:         16
        .size:           8
        .value_kind:     global_buffer
      - .offset:         24
        .size:           8
        .value_kind:     by_value
      - .address_space:  global
        .offset:         32
        .size:           8
        .value_kind:     global_buffer
      - .offset:         40
        .size:           8
        .value_kind:     by_value
      - .offset:         48
        .size:           8
        .value_kind:     by_value
      - .address_space:  global
        .offset:         56
        .size:           8
        .value_kind:     global_buffer
      - .offset:         64
        .size:           8
        .value_kind:     by_value
      - .offset:         72
        .size:           8
        .value_kind:     by_value
      - .address_space:  global
        .offset:         80
        .size:           8
        .value_kind:     global_buffer
      - .offset:         88
        .size:           8
        .value_kind:     by_value
      - .offset:         96
        .size:           8
        .value_kind:     by_value
      - .offset:         104
        .size:           4
        .value_kind:     by_value
    .group_segment_fixed_size: 8192
    .kernarg_segment_align: 8
    .kernarg_segment_size: 108
    .language:       OpenCL C
    .language_version:
      - 2
      - 0
    .max_flat_workgroup_size: 1024
    .name:           _ZL23rocblas_trmm_rTx_kernelILi32ELb1EfPKfKS1_KPfEv13rocblas_fill_17rocblas_diagonal_iiT2_lPT3_llS9_llPT4_lli
    .private_segment_fixed_size: 0
    .sgpr_count:     35
    .sgpr_spill_count: 0
    .symbol:         _ZL23rocblas_trmm_rTx_kernelILi32ELb1EfPKfKS1_KPfEv13rocblas_fill_17rocblas_diagonal_iiT2_lPT3_llS9_llPT4_lli.kd
    .uniform_work_group_size: 1
    .uses_dynamic_stack: false
    .vgpr_count:     18
    .vgpr_spill_count: 0
    .wavefront_size: 64
  - .args:
      - .offset:         0
        .size:           4
        .value_kind:     by_value
      - .offset:         4
        .size:           4
        .value_kind:     by_value
      - .offset:         8
        .size:           4
        .value_kind:     by_value
      - .offset:         12
        .size:           4
        .value_kind:     by_value
      - .offset:         16
        .size:           4
        .value_kind:     by_value
      - .offset:         24
        .size:           8
        .value_kind:     by_value
      - .address_space:  global
        .offset:         32
        .size:           8
        .value_kind:     global_buffer
      - .offset:         40
        .size:           8
        .value_kind:     by_value
      - .offset:         48
        .size:           8
        .value_kind:     by_value
      - .address_space:  global
        .offset:         56
        .size:           8
        .value_kind:     global_buffer
      - .offset:         64
        .size:           8
        .value_kind:     by_value
      - .offset:         72
        .size:           8
        .value_kind:     by_value
      - .address_space:  global
        .offset:         80
        .size:           8
        .value_kind:     global_buffer
      - .offset:         88
        .size:           8
        .value_kind:     by_value
      - .offset:         96
        .size:           8
        .value_kind:     by_value
      - .offset:         104
        .size:           4
        .value_kind:     by_value
    .group_segment_fixed_size: 8192
    .kernarg_segment_align: 8
    .kernarg_segment_size: 108
    .language:       OpenCL C
    .language_version:
      - 2
      - 0
    .max_flat_workgroup_size: 1024
    .name:           _ZL23rocblas_trmm_rTx_kernelILi32ELb1EffKPKfKPfEv13rocblas_fill_17rocblas_diagonal_iiT2_lPT3_llS9_llPT4_lli
    .private_segment_fixed_size: 0
    .sgpr_count:     35
    .sgpr_spill_count: 0
    .symbol:         _ZL23rocblas_trmm_rTx_kernelILi32ELb1EffKPKfKPfEv13rocblas_fill_17rocblas_diagonal_iiT2_lPT3_llS9_llPT4_lli.kd
    .uniform_work_group_size: 1
    .uses_dynamic_stack: false
    .vgpr_count:     18
    .vgpr_spill_count: 0
    .wavefront_size: 64
  - .args:
      - .offset:         0
        .size:           4
        .value_kind:     by_value
      - .offset:         4
        .size:           4
        .value_kind:     by_value
      - .offset:         8
        .size:           4
        .value_kind:     by_value
      - .offset:         12
        .size:           4
        .value_kind:     by_value
      - .address_space:  global
        .offset:         16
        .size:           8
        .value_kind:     global_buffer
      - .offset:         24
        .size:           8
        .value_kind:     by_value
      - .address_space:  global
        .offset:         32
        .size:           8
        .value_kind:     global_buffer
      - .offset:         40
        .size:           8
        .value_kind:     by_value
      - .offset:         48
        .size:           8
        .value_kind:     by_value
      - .address_space:  global
        .offset:         56
        .size:           8
        .value_kind:     global_buffer
      - .offset:         64
        .size:           8
        .value_kind:     by_value
      - .offset:         72
        .size:           8
        .value_kind:     by_value
      - .address_space:  global
        .offset:         80
        .size:           8
        .value_kind:     global_buffer
      - .offset:         88
        .size:           8
        .value_kind:     by_value
      - .offset:         96
        .size:           8
        .value_kind:     by_value
      - .offset:         104
        .size:           4
        .value_kind:     by_value
    .group_segment_fixed_size: 16384
    .kernarg_segment_align: 8
    .kernarg_segment_size: 108
    .language:       OpenCL C
    .language_version:
      - 2
      - 0
    .max_flat_workgroup_size: 1024
    .name:           _ZL23rocblas_trmm_lNx_kernelILi32EdPKdKS1_KPdEv13rocblas_fill_17rocblas_diagonal_iiT1_lPT2_llS9_llPT3_lli
    .private_segment_fixed_size: 0
    .sgpr_count:     36
    .sgpr_spill_count: 0
    .symbol:         _ZL23rocblas_trmm_lNx_kernelILi32EdPKdKS1_KPdEv13rocblas_fill_17rocblas_diagonal_iiT1_lPT2_llS9_llPT3_lli.kd
    .uniform_work_group_size: 1
    .uses_dynamic_stack: false
    .vgpr_count:     18
    .vgpr_spill_count: 0
    .wavefront_size: 64
  - .args:
      - .offset:         0
        .size:           4
        .value_kind:     by_value
      - .offset:         4
        .size:           4
        .value_kind:     by_value
      - .offset:         8
        .size:           4
        .value_kind:     by_value
      - .offset:         12
        .size:           4
        .value_kind:     by_value
      - .offset:         16
        .size:           8
        .value_kind:     by_value
      - .offset:         24
        .size:           8
        .value_kind:     by_value
      - .address_space:  global
        .offset:         32
        .size:           8
        .value_kind:     global_buffer
      - .offset:         40
        .size:           8
        .value_kind:     by_value
      - .offset:         48
        .size:           8
        .value_kind:     by_value
      - .address_space:  global
        .offset:         56
        .size:           8
        .value_kind:     global_buffer
      - .offset:         64
        .size:           8
        .value_kind:     by_value
      - .offset:         72
        .size:           8
        .value_kind:     by_value
      - .address_space:  global
        .offset:         80
        .size:           8
        .value_kind:     global_buffer
      - .offset:         88
        .size:           8
        .value_kind:     by_value
      - .offset:         96
        .size:           8
        .value_kind:     by_value
      - .offset:         104
        .size:           4
        .value_kind:     by_value
    .group_segment_fixed_size: 16384
    .kernarg_segment_align: 8
    .kernarg_segment_size: 108
    .language:       OpenCL C
    .language_version:
      - 2
      - 0
    .max_flat_workgroup_size: 1024
    .name:           _ZL23rocblas_trmm_lNx_kernelILi32EddKPKdKPdEv13rocblas_fill_17rocblas_diagonal_iiT1_lPT2_llS9_llPT3_lli
    .private_segment_fixed_size: 0
    .sgpr_count:     36
    .sgpr_spill_count: 0
    .symbol:         _ZL23rocblas_trmm_lNx_kernelILi32EddKPKdKPdEv13rocblas_fill_17rocblas_diagonal_iiT1_lPT2_llS9_llPT3_lli.kd
    .uniform_work_group_size: 1
    .uses_dynamic_stack: false
    .vgpr_count:     18
    .vgpr_spill_count: 0
    .wavefront_size: 64
  - .args:
      - .offset:         0
        .size:           4
        .value_kind:     by_value
      - .offset:         4
        .size:           4
        .value_kind:     by_value
      - .offset:         8
        .size:           4
        .value_kind:     by_value
      - .offset:         12
        .size:           4
        .value_kind:     by_value
      - .address_space:  global
        .offset:         16
        .size:           8
        .value_kind:     global_buffer
      - .offset:         24
        .size:           8
        .value_kind:     by_value
      - .address_space:  global
        .offset:         32
        .size:           8
        .value_kind:     global_buffer
      - .offset:         40
        .size:           8
        .value_kind:     by_value
      - .offset:         48
        .size:           8
        .value_kind:     by_value
      - .address_space:  global
        .offset:         56
        .size:           8
        .value_kind:     global_buffer
      - .offset:         64
        .size:           8
        .value_kind:     by_value
      - .offset:         72
        .size:           8
        .value_kind:     by_value
      - .address_space:  global
        .offset:         80
        .size:           8
        .value_kind:     global_buffer
      - .offset:         88
        .size:           8
        .value_kind:     by_value
      - .offset:         96
        .size:           8
        .value_kind:     by_value
      - .offset:         104
        .size:           4
        .value_kind:     by_value
    .group_segment_fixed_size: 16384
    .kernarg_segment_align: 8
    .kernarg_segment_size: 108
    .language:       OpenCL C
    .language_version:
      - 2
      - 0
    .max_flat_workgroup_size: 1024
    .name:           _ZL23rocblas_trmm_lTx_kernelILi32ELb0EdPKdKS1_KPdEv13rocblas_fill_17rocblas_diagonal_iiT2_lPT3_llS9_llPT4_lli
    .private_segment_fixed_size: 0
    .sgpr_count:     36
    .sgpr_spill_count: 0
    .symbol:         _ZL23rocblas_trmm_lTx_kernelILi32ELb0EdPKdKS1_KPdEv13rocblas_fill_17rocblas_diagonal_iiT2_lPT3_llS9_llPT4_lli.kd
    .uniform_work_group_size: 1
    .uses_dynamic_stack: false
    .vgpr_count:     18
    .vgpr_spill_count: 0
    .wavefront_size: 64
  - .args:
      - .offset:         0
        .size:           4
        .value_kind:     by_value
      - .offset:         4
        .size:           4
        .value_kind:     by_value
      - .offset:         8
        .size:           4
        .value_kind:     by_value
      - .offset:         12
        .size:           4
        .value_kind:     by_value
      - .offset:         16
        .size:           8
        .value_kind:     by_value
      - .offset:         24
        .size:           8
        .value_kind:     by_value
      - .address_space:  global
        .offset:         32
        .size:           8
        .value_kind:     global_buffer
      - .offset:         40
        .size:           8
        .value_kind:     by_value
      - .offset:         48
        .size:           8
        .value_kind:     by_value
      - .address_space:  global
        .offset:         56
        .size:           8
        .value_kind:     global_buffer
      - .offset:         64
        .size:           8
        .value_kind:     by_value
      - .offset:         72
        .size:           8
        .value_kind:     by_value
      - .address_space:  global
        .offset:         80
        .size:           8
        .value_kind:     global_buffer
      - .offset:         88
        .size:           8
        .value_kind:     by_value
      - .offset:         96
        .size:           8
        .value_kind:     by_value
      - .offset:         104
        .size:           4
        .value_kind:     by_value
    .group_segment_fixed_size: 16384
    .kernarg_segment_align: 8
    .kernarg_segment_size: 108
    .language:       OpenCL C
    .language_version:
      - 2
      - 0
    .max_flat_workgroup_size: 1024
    .name:           _ZL23rocblas_trmm_lTx_kernelILi32ELb0EddKPKdKPdEv13rocblas_fill_17rocblas_diagonal_iiT2_lPT3_llS9_llPT4_lli
    .private_segment_fixed_size: 0
    .sgpr_count:     36
    .sgpr_spill_count: 0
    .symbol:         _ZL23rocblas_trmm_lTx_kernelILi32ELb0EddKPKdKPdEv13rocblas_fill_17rocblas_diagonal_iiT2_lPT3_llS9_llPT4_lli.kd
    .uniform_work_group_size: 1
    .uses_dynamic_stack: false
    .vgpr_count:     18
    .vgpr_spill_count: 0
    .wavefront_size: 64
  - .args:
      - .offset:         0
        .size:           4
        .value_kind:     by_value
      - .offset:         4
        .size:           4
        .value_kind:     by_value
      - .offset:         8
        .size:           4
        .value_kind:     by_value
      - .offset:         12
        .size:           4
        .value_kind:     by_value
      - .address_space:  global
        .offset:         16
        .size:           8
        .value_kind:     global_buffer
      - .offset:         24
        .size:           8
        .value_kind:     by_value
      - .address_space:  global
        .offset:         32
        .size:           8
        .value_kind:     global_buffer
      - .offset:         40
        .size:           8
        .value_kind:     by_value
      - .offset:         48
        .size:           8
        .value_kind:     by_value
      - .address_space:  global
        .offset:         56
        .size:           8
        .value_kind:     global_buffer
      - .offset:         64
        .size:           8
        .value_kind:     by_value
      - .offset:         72
        .size:           8
        .value_kind:     by_value
      - .address_space:  global
        .offset:         80
        .size:           8
        .value_kind:     global_buffer
      - .offset:         88
        .size:           8
        .value_kind:     by_value
      - .offset:         96
        .size:           8
        .value_kind:     by_value
      - .offset:         104
        .size:           4
        .value_kind:     by_value
    .group_segment_fixed_size: 16384
    .kernarg_segment_align: 8
    .kernarg_segment_size: 108
    .language:       OpenCL C
    .language_version:
      - 2
      - 0
    .max_flat_workgroup_size: 1024
    .name:           _ZL23rocblas_trmm_lTx_kernelILi32ELb1EdPKdKS1_KPdEv13rocblas_fill_17rocblas_diagonal_iiT2_lPT3_llS9_llPT4_lli
    .private_segment_fixed_size: 0
    .sgpr_count:     36
    .sgpr_spill_count: 0
    .symbol:         _ZL23rocblas_trmm_lTx_kernelILi32ELb1EdPKdKS1_KPdEv13rocblas_fill_17rocblas_diagonal_iiT2_lPT3_llS9_llPT4_lli.kd
    .uniform_work_group_size: 1
    .uses_dynamic_stack: false
    .vgpr_count:     18
    .vgpr_spill_count: 0
    .wavefront_size: 64
  - .args:
      - .offset:         0
        .size:           4
        .value_kind:     by_value
      - .offset:         4
        .size:           4
        .value_kind:     by_value
      - .offset:         8
        .size:           4
        .value_kind:     by_value
      - .offset:         12
        .size:           4
        .value_kind:     by_value
      - .offset:         16
        .size:           8
        .value_kind:     by_value
      - .offset:         24
        .size:           8
        .value_kind:     by_value
      - .address_space:  global
        .offset:         32
        .size:           8
        .value_kind:     global_buffer
      - .offset:         40
        .size:           8
        .value_kind:     by_value
      - .offset:         48
        .size:           8
        .value_kind:     by_value
      - .address_space:  global
        .offset:         56
        .size:           8
        .value_kind:     global_buffer
      - .offset:         64
        .size:           8
        .value_kind:     by_value
      - .offset:         72
        .size:           8
        .value_kind:     by_value
      - .address_space:  global
        .offset:         80
        .size:           8
        .value_kind:     global_buffer
      - .offset:         88
        .size:           8
        .value_kind:     by_value
      - .offset:         96
        .size:           8
        .value_kind:     by_value
      - .offset:         104
        .size:           4
        .value_kind:     by_value
    .group_segment_fixed_size: 16384
    .kernarg_segment_align: 8
    .kernarg_segment_size: 108
    .language:       OpenCL C
    .language_version:
      - 2
      - 0
    .max_flat_workgroup_size: 1024
    .name:           _ZL23rocblas_trmm_lTx_kernelILi32ELb1EddKPKdKPdEv13rocblas_fill_17rocblas_diagonal_iiT2_lPT3_llS9_llPT4_lli
    .private_segment_fixed_size: 0
    .sgpr_count:     36
    .sgpr_spill_count: 0
    .symbol:         _ZL23rocblas_trmm_lTx_kernelILi32ELb1EddKPKdKPdEv13rocblas_fill_17rocblas_diagonal_iiT2_lPT3_llS9_llPT4_lli.kd
    .uniform_work_group_size: 1
    .uses_dynamic_stack: false
    .vgpr_count:     18
    .vgpr_spill_count: 0
    .wavefront_size: 64
  - .args:
      - .offset:         0
        .size:           4
        .value_kind:     by_value
      - .offset:         4
        .size:           4
        .value_kind:     by_value
      - .offset:         8
        .size:           4
        .value_kind:     by_value
      - .offset:         12
        .size:           4
        .value_kind:     by_value
      - .address_space:  global
        .offset:         16
        .size:           8
        .value_kind:     global_buffer
      - .offset:         24
        .size:           8
        .value_kind:     by_value
      - .address_space:  global
        .offset:         32
        .size:           8
        .value_kind:     global_buffer
      - .offset:         40
        .size:           8
        .value_kind:     by_value
      - .offset:         48
        .size:           8
        .value_kind:     by_value
      - .address_space:  global
        .offset:         56
        .size:           8
        .value_kind:     global_buffer
      - .offset:         64
        .size:           8
        .value_kind:     by_value
      - .offset:         72
        .size:           8
        .value_kind:     by_value
      - .address_space:  global
        .offset:         80
        .size:           8
        .value_kind:     global_buffer
      - .offset:         88
        .size:           8
        .value_kind:     by_value
      - .offset:         96
        .size:           8
        .value_kind:     by_value
      - .offset:         104
        .size:           4
        .value_kind:     by_value
    .group_segment_fixed_size: 16384
    .kernarg_segment_align: 8
    .kernarg_segment_size: 108
    .language:       OpenCL C
    .language_version:
      - 2
      - 0
    .max_flat_workgroup_size: 1024
    .name:           _ZL23rocblas_trmm_rNx_kernelILi32EdPKdKS1_KPdEv13rocblas_fill_17rocblas_diagonal_iiT1_lPT2_llS9_llPT3_lli
    .private_segment_fixed_size: 0
    .sgpr_count:     36
    .sgpr_spill_count: 0
    .symbol:         _ZL23rocblas_trmm_rNx_kernelILi32EdPKdKS1_KPdEv13rocblas_fill_17rocblas_diagonal_iiT1_lPT2_llS9_llPT3_lli.kd
    .uniform_work_group_size: 1
    .uses_dynamic_stack: false
    .vgpr_count:     18
    .vgpr_spill_count: 0
    .wavefront_size: 64
  - .args:
      - .offset:         0
        .size:           4
        .value_kind:     by_value
      - .offset:         4
        .size:           4
        .value_kind:     by_value
      - .offset:         8
        .size:           4
        .value_kind:     by_value
      - .offset:         12
        .size:           4
        .value_kind:     by_value
      - .offset:         16
        .size:           8
        .value_kind:     by_value
      - .offset:         24
        .size:           8
        .value_kind:     by_value
      - .address_space:  global
        .offset:         32
        .size:           8
        .value_kind:     global_buffer
      - .offset:         40
        .size:           8
        .value_kind:     by_value
      - .offset:         48
        .size:           8
        .value_kind:     by_value
      - .address_space:  global
        .offset:         56
        .size:           8
        .value_kind:     global_buffer
      - .offset:         64
        .size:           8
        .value_kind:     by_value
      - .offset:         72
        .size:           8
        .value_kind:     by_value
      - .address_space:  global
        .offset:         80
        .size:           8
        .value_kind:     global_buffer
      - .offset:         88
        .size:           8
        .value_kind:     by_value
      - .offset:         96
        .size:           8
        .value_kind:     by_value
      - .offset:         104
        .size:           4
        .value_kind:     by_value
    .group_segment_fixed_size: 16384
    .kernarg_segment_align: 8
    .kernarg_segment_size: 108
    .language:       OpenCL C
    .language_version:
      - 2
      - 0
    .max_flat_workgroup_size: 1024
    .name:           _ZL23rocblas_trmm_rNx_kernelILi32EddKPKdKPdEv13rocblas_fill_17rocblas_diagonal_iiT1_lPT2_llS9_llPT3_lli
    .private_segment_fixed_size: 0
    .sgpr_count:     36
    .sgpr_spill_count: 0
    .symbol:         _ZL23rocblas_trmm_rNx_kernelILi32EddKPKdKPdEv13rocblas_fill_17rocblas_diagonal_iiT1_lPT2_llS9_llPT3_lli.kd
    .uniform_work_group_size: 1
    .uses_dynamic_stack: false
    .vgpr_count:     18
    .vgpr_spill_count: 0
    .wavefront_size: 64
  - .args:
      - .offset:         0
        .size:           4
        .value_kind:     by_value
      - .offset:         4
        .size:           4
        .value_kind:     by_value
      - .offset:         8
        .size:           4
        .value_kind:     by_value
      - .offset:         12
        .size:           4
        .value_kind:     by_value
      - .address_space:  global
        .offset:         16
        .size:           8
        .value_kind:     global_buffer
      - .offset:         24
        .size:           8
        .value_kind:     by_value
      - .address_space:  global
        .offset:         32
        .size:           8
        .value_kind:     global_buffer
      - .offset:         40
        .size:           8
        .value_kind:     by_value
      - .offset:         48
        .size:           8
        .value_kind:     by_value
      - .address_space:  global
        .offset:         56
        .size:           8
        .value_kind:     global_buffer
      - .offset:         64
        .size:           8
        .value_kind:     by_value
      - .offset:         72
        .size:           8
        .value_kind:     by_value
      - .address_space:  global
        .offset:         80
        .size:           8
        .value_kind:     global_buffer
      - .offset:         88
        .size:           8
        .value_kind:     by_value
      - .offset:         96
        .size:           8
        .value_kind:     by_value
      - .offset:         104
        .size:           4
        .value_kind:     by_value
    .group_segment_fixed_size: 16384
    .kernarg_segment_align: 8
    .kernarg_segment_size: 108
    .language:       OpenCL C
    .language_version:
      - 2
      - 0
    .max_flat_workgroup_size: 1024
    .name:           _ZL23rocblas_trmm_rTx_kernelILi32ELb0EdPKdKS1_KPdEv13rocblas_fill_17rocblas_diagonal_iiT2_lPT3_llS9_llPT4_lli
    .private_segment_fixed_size: 0
    .sgpr_count:     36
    .sgpr_spill_count: 0
    .symbol:         _ZL23rocblas_trmm_rTx_kernelILi32ELb0EdPKdKS1_KPdEv13rocblas_fill_17rocblas_diagonal_iiT2_lPT3_llS9_llPT4_lli.kd
    .uniform_work_group_size: 1
    .uses_dynamic_stack: false
    .vgpr_count:     15
    .vgpr_spill_count: 0
    .wavefront_size: 64
  - .args:
      - .offset:         0
        .size:           4
        .value_kind:     by_value
      - .offset:         4
        .size:           4
        .value_kind:     by_value
      - .offset:         8
        .size:           4
        .value_kind:     by_value
      - .offset:         12
        .size:           4
        .value_kind:     by_value
      - .offset:         16
        .size:           8
        .value_kind:     by_value
      - .offset:         24
        .size:           8
        .value_kind:     by_value
      - .address_space:  global
        .offset:         32
        .size:           8
        .value_kind:     global_buffer
      - .offset:         40
        .size:           8
        .value_kind:     by_value
      - .offset:         48
        .size:           8
        .value_kind:     by_value
      - .address_space:  global
        .offset:         56
        .size:           8
        .value_kind:     global_buffer
      - .offset:         64
        .size:           8
        .value_kind:     by_value
      - .offset:         72
        .size:           8
        .value_kind:     by_value
      - .address_space:  global
        .offset:         80
        .size:           8
        .value_kind:     global_buffer
      - .offset:         88
        .size:           8
        .value_kind:     by_value
      - .offset:         96
        .size:           8
        .value_kind:     by_value
      - .offset:         104
        .size:           4
        .value_kind:     by_value
    .group_segment_fixed_size: 16384
    .kernarg_segment_align: 8
    .kernarg_segment_size: 108
    .language:       OpenCL C
    .language_version:
      - 2
      - 0
    .max_flat_workgroup_size: 1024
    .name:           _ZL23rocblas_trmm_rTx_kernelILi32ELb0EddKPKdKPdEv13rocblas_fill_17rocblas_diagonal_iiT2_lPT3_llS9_llPT4_lli
    .private_segment_fixed_size: 0
    .sgpr_count:     36
    .sgpr_spill_count: 0
    .symbol:         _ZL23rocblas_trmm_rTx_kernelILi32ELb0EddKPKdKPdEv13rocblas_fill_17rocblas_diagonal_iiT2_lPT3_llS9_llPT4_lli.kd
    .uniform_work_group_size: 1
    .uses_dynamic_stack: false
    .vgpr_count:     15
    .vgpr_spill_count: 0
    .wavefront_size: 64
  - .args:
      - .offset:         0
        .size:           4
        .value_kind:     by_value
      - .offset:         4
        .size:           4
        .value_kind:     by_value
      - .offset:         8
        .size:           4
        .value_kind:     by_value
      - .offset:         12
        .size:           4
        .value_kind:     by_value
      - .address_space:  global
        .offset:         16
        .size:           8
        .value_kind:     global_buffer
      - .offset:         24
        .size:           8
        .value_kind:     by_value
      - .address_space:  global
        .offset:         32
        .size:           8
        .value_kind:     global_buffer
      - .offset:         40
        .size:           8
        .value_kind:     by_value
      - .offset:         48
        .size:           8
        .value_kind:     by_value
      - .address_space:  global
        .offset:         56
        .size:           8
        .value_kind:     global_buffer
      - .offset:         64
        .size:           8
        .value_kind:     by_value
      - .offset:         72
        .size:           8
        .value_kind:     by_value
      - .address_space:  global
        .offset:         80
        .size:           8
        .value_kind:     global_buffer
      - .offset:         88
        .size:           8
        .value_kind:     by_value
      - .offset:         96
        .size:           8
        .value_kind:     by_value
      - .offset:         104
        .size:           4
        .value_kind:     by_value
    .group_segment_fixed_size: 16384
    .kernarg_segment_align: 8
    .kernarg_segment_size: 108
    .language:       OpenCL C
    .language_version:
      - 2
      - 0
    .max_flat_workgroup_size: 1024
    .name:           _ZL23rocblas_trmm_rTx_kernelILi32ELb1EdPKdKS1_KPdEv13rocblas_fill_17rocblas_diagonal_iiT2_lPT3_llS9_llPT4_lli
    .private_segment_fixed_size: 0
    .sgpr_count:     36
    .sgpr_spill_count: 0
    .symbol:         _ZL23rocblas_trmm_rTx_kernelILi32ELb1EdPKdKS1_KPdEv13rocblas_fill_17rocblas_diagonal_iiT2_lPT3_llS9_llPT4_lli.kd
    .uniform_work_group_size: 1
    .uses_dynamic_stack: false
    .vgpr_count:     15
    .vgpr_spill_count: 0
    .wavefront_size: 64
  - .args:
      - .offset:         0
        .size:           4
        .value_kind:     by_value
      - .offset:         4
        .size:           4
        .value_kind:     by_value
      - .offset:         8
        .size:           4
        .value_kind:     by_value
      - .offset:         12
        .size:           4
        .value_kind:     by_value
      - .offset:         16
        .size:           8
        .value_kind:     by_value
      - .offset:         24
        .size:           8
        .value_kind:     by_value
      - .address_space:  global
        .offset:         32
        .size:           8
        .value_kind:     global_buffer
      - .offset:         40
        .size:           8
        .value_kind:     by_value
      - .offset:         48
        .size:           8
        .value_kind:     by_value
      - .address_space:  global
        .offset:         56
        .size:           8
        .value_kind:     global_buffer
      - .offset:         64
        .size:           8
        .value_kind:     by_value
      - .offset:         72
        .size:           8
        .value_kind:     by_value
      - .address_space:  global
        .offset:         80
        .size:           8
        .value_kind:     global_buffer
      - .offset:         88
        .size:           8
        .value_kind:     by_value
      - .offset:         96
        .size:           8
        .value_kind:     by_value
      - .offset:         104
        .size:           4
        .value_kind:     by_value
    .group_segment_fixed_size: 16384
    .kernarg_segment_align: 8
    .kernarg_segment_size: 108
    .language:       OpenCL C
    .language_version:
      - 2
      - 0
    .max_flat_workgroup_size: 1024
    .name:           _ZL23rocblas_trmm_rTx_kernelILi32ELb1EddKPKdKPdEv13rocblas_fill_17rocblas_diagonal_iiT2_lPT3_llS9_llPT4_lli
    .private_segment_fixed_size: 0
    .sgpr_count:     36
    .sgpr_spill_count: 0
    .symbol:         _ZL23rocblas_trmm_rTx_kernelILi32ELb1EddKPKdKPdEv13rocblas_fill_17rocblas_diagonal_iiT2_lPT3_llS9_llPT4_lli.kd
    .uniform_work_group_size: 1
    .uses_dynamic_stack: false
    .vgpr_count:     15
    .vgpr_spill_count: 0
    .wavefront_size: 64
  - .args:
      - .offset:         0
        .size:           4
        .value_kind:     by_value
      - .offset:         4
        .size:           4
        .value_kind:     by_value
      - .offset:         8
        .size:           4
        .value_kind:     by_value
      - .offset:         12
        .size:           4
        .value_kind:     by_value
      - .address_space:  global
        .offset:         16
        .size:           8
        .value_kind:     global_buffer
      - .offset:         24
        .size:           8
        .value_kind:     by_value
      - .address_space:  global
        .offset:         32
        .size:           8
        .value_kind:     global_buffer
      - .offset:         40
        .size:           8
        .value_kind:     by_value
      - .offset:         48
        .size:           8
        .value_kind:     by_value
      - .address_space:  global
        .offset:         56
        .size:           8
        .value_kind:     global_buffer
      - .offset:         64
        .size:           8
        .value_kind:     by_value
      - .offset:         72
        .size:           8
        .value_kind:     by_value
      - .address_space:  global
        .offset:         80
        .size:           8
        .value_kind:     global_buffer
      - .offset:         88
        .size:           8
        .value_kind:     by_value
      - .offset:         96
        .size:           8
        .value_kind:     by_value
      - .offset:         104
        .size:           4
        .value_kind:     by_value
    .group_segment_fixed_size: 4096
    .kernarg_segment_align: 8
    .kernarg_segment_size: 108
    .language:       OpenCL C
    .language_version:
      - 2
      - 0
    .max_flat_workgroup_size: 256
    .name:           _ZL23rocblas_trmm_lNx_kernelILi16E19rocblas_complex_numIfEPKS1_KS3_KPS1_Ev13rocblas_fill_17rocblas_diagonal_iiT1_lPT2_llSB_llPT3_lli
    .private_segment_fixed_size: 0
    .sgpr_count:     36
    .sgpr_spill_count: 0
    .symbol:         _ZL23rocblas_trmm_lNx_kernelILi16E19rocblas_complex_numIfEPKS1_KS3_KPS1_Ev13rocblas_fill_17rocblas_diagonal_iiT1_lPT2_llSB_llPT3_lli.kd
    .uniform_work_group_size: 1
    .uses_dynamic_stack: false
    .vgpr_count:     40
    .vgpr_spill_count: 0
    .wavefront_size: 64
  - .args:
      - .offset:         0
        .size:           4
        .value_kind:     by_value
      - .offset:         4
        .size:           4
        .value_kind:     by_value
      - .offset:         8
        .size:           4
        .value_kind:     by_value
      - .offset:         12
        .size:           4
        .value_kind:     by_value
      - .offset:         16
        .size:           8
        .value_kind:     by_value
      - .offset:         24
        .size:           8
        .value_kind:     by_value
      - .address_space:  global
        .offset:         32
        .size:           8
        .value_kind:     global_buffer
      - .offset:         40
        .size:           8
        .value_kind:     by_value
      - .offset:         48
        .size:           8
        .value_kind:     by_value
      - .address_space:  global
        .offset:         56
        .size:           8
        .value_kind:     global_buffer
      - .offset:         64
        .size:           8
        .value_kind:     by_value
      - .offset:         72
        .size:           8
        .value_kind:     by_value
      - .address_space:  global
        .offset:         80
        .size:           8
        .value_kind:     global_buffer
      - .offset:         88
        .size:           8
        .value_kind:     by_value
      - .offset:         96
        .size:           8
        .value_kind:     by_value
      - .offset:         104
        .size:           4
        .value_kind:     by_value
    .group_segment_fixed_size: 4096
    .kernarg_segment_align: 8
    .kernarg_segment_size: 108
    .language:       OpenCL C
    .language_version:
      - 2
      - 0
    .max_flat_workgroup_size: 256
    .name:           _ZL23rocblas_trmm_lNx_kernelILi16E19rocblas_complex_numIfES1_KPKS1_KPS1_Ev13rocblas_fill_17rocblas_diagonal_iiT1_lPT2_llSB_llPT3_lli
    .private_segment_fixed_size: 0
    .sgpr_count:     36
    .sgpr_spill_count: 0
    .symbol:         _ZL23rocblas_trmm_lNx_kernelILi16E19rocblas_complex_numIfES1_KPKS1_KPS1_Ev13rocblas_fill_17rocblas_diagonal_iiT1_lPT2_llSB_llPT3_lli.kd
    .uniform_work_group_size: 1
    .uses_dynamic_stack: false
    .vgpr_count:     40
    .vgpr_spill_count: 0
    .wavefront_size: 64
  - .args:
      - .offset:         0
        .size:           4
        .value_kind:     by_value
      - .offset:         4
        .size:           4
        .value_kind:     by_value
      - .offset:         8
        .size:           4
        .value_kind:     by_value
      - .offset:         12
        .size:           4
        .value_kind:     by_value
      - .address_space:  global
        .offset:         16
        .size:           8
        .value_kind:     global_buffer
      - .offset:         24
        .size:           8
        .value_kind:     by_value
      - .address_space:  global
        .offset:         32
        .size:           8
        .value_kind:     global_buffer
      - .offset:         40
        .size:           8
        .value_kind:     by_value
      - .offset:         48
        .size:           8
        .value_kind:     by_value
      - .address_space:  global
        .offset:         56
        .size:           8
        .value_kind:     global_buffer
      - .offset:         64
        .size:           8
        .value_kind:     by_value
      - .offset:         72
        .size:           8
        .value_kind:     by_value
      - .address_space:  global
        .offset:         80
        .size:           8
        .value_kind:     global_buffer
      - .offset:         88
        .size:           8
        .value_kind:     by_value
      - .offset:         96
        .size:           8
        .value_kind:     by_value
      - .offset:         104
        .size:           4
        .value_kind:     by_value
    .group_segment_fixed_size: 4096
    .kernarg_segment_align: 8
    .kernarg_segment_size: 108
    .language:       OpenCL C
    .language_version:
      - 2
      - 0
    .max_flat_workgroup_size: 256
    .name:           _ZL23rocblas_trmm_lTx_kernelILi16ELb0E19rocblas_complex_numIfEPKS1_KS3_KPS1_Ev13rocblas_fill_17rocblas_diagonal_iiT2_lPT3_llSB_llPT4_lli
    .private_segment_fixed_size: 0
    .sgpr_count:     36
    .sgpr_spill_count: 0
    .symbol:         _ZL23rocblas_trmm_lTx_kernelILi16ELb0E19rocblas_complex_numIfEPKS1_KS3_KPS1_Ev13rocblas_fill_17rocblas_diagonal_iiT2_lPT3_llSB_llPT4_lli.kd
    .uniform_work_group_size: 1
    .uses_dynamic_stack: false
    .vgpr_count:     40
    .vgpr_spill_count: 0
    .wavefront_size: 64
  - .args:
      - .offset:         0
        .size:           4
        .value_kind:     by_value
      - .offset:         4
        .size:           4
        .value_kind:     by_value
      - .offset:         8
        .size:           4
        .value_kind:     by_value
      - .offset:         12
        .size:           4
        .value_kind:     by_value
      - .offset:         16
        .size:           8
        .value_kind:     by_value
      - .offset:         24
        .size:           8
        .value_kind:     by_value
      - .address_space:  global
        .offset:         32
        .size:           8
        .value_kind:     global_buffer
      - .offset:         40
        .size:           8
        .value_kind:     by_value
      - .offset:         48
        .size:           8
        .value_kind:     by_value
      - .address_space:  global
        .offset:         56
        .size:           8
        .value_kind:     global_buffer
      - .offset:         64
        .size:           8
        .value_kind:     by_value
      - .offset:         72
        .size:           8
        .value_kind:     by_value
      - .address_space:  global
        .offset:         80
        .size:           8
        .value_kind:     global_buffer
      - .offset:         88
        .size:           8
        .value_kind:     by_value
      - .offset:         96
        .size:           8
        .value_kind:     by_value
      - .offset:         104
        .size:           4
        .value_kind:     by_value
    .group_segment_fixed_size: 4096
    .kernarg_segment_align: 8
    .kernarg_segment_size: 108
    .language:       OpenCL C
    .language_version:
      - 2
      - 0
    .max_flat_workgroup_size: 256
    .name:           _ZL23rocblas_trmm_lTx_kernelILi16ELb0E19rocblas_complex_numIfES1_KPKS1_KPS1_Ev13rocblas_fill_17rocblas_diagonal_iiT2_lPT3_llSB_llPT4_lli
    .private_segment_fixed_size: 0
    .sgpr_count:     36
    .sgpr_spill_count: 0
    .symbol:         _ZL23rocblas_trmm_lTx_kernelILi16ELb0E19rocblas_complex_numIfES1_KPKS1_KPS1_Ev13rocblas_fill_17rocblas_diagonal_iiT2_lPT3_llSB_llPT4_lli.kd
    .uniform_work_group_size: 1
    .uses_dynamic_stack: false
    .vgpr_count:     40
    .vgpr_spill_count: 0
    .wavefront_size: 64
  - .args:
      - .offset:         0
        .size:           4
        .value_kind:     by_value
      - .offset:         4
        .size:           4
        .value_kind:     by_value
      - .offset:         8
        .size:           4
        .value_kind:     by_value
      - .offset:         12
        .size:           4
        .value_kind:     by_value
      - .address_space:  global
        .offset:         16
        .size:           8
        .value_kind:     global_buffer
      - .offset:         24
        .size:           8
        .value_kind:     by_value
      - .address_space:  global
        .offset:         32
        .size:           8
        .value_kind:     global_buffer
      - .offset:         40
        .size:           8
        .value_kind:     by_value
      - .offset:         48
        .size:           8
        .value_kind:     by_value
      - .address_space:  global
        .offset:         56
        .size:           8
        .value_kind:     global_buffer
      - .offset:         64
        .size:           8
        .value_kind:     by_value
      - .offset:         72
        .size:           8
        .value_kind:     by_value
      - .address_space:  global
        .offset:         80
        .size:           8
        .value_kind:     global_buffer
      - .offset:         88
        .size:           8
        .value_kind:     by_value
      - .offset:         96
        .size:           8
        .value_kind:     by_value
      - .offset:         104
        .size:           4
        .value_kind:     by_value
    .group_segment_fixed_size: 4096
    .kernarg_segment_align: 8
    .kernarg_segment_size: 108
    .language:       OpenCL C
    .language_version:
      - 2
      - 0
    .max_flat_workgroup_size: 256
    .name:           _ZL23rocblas_trmm_lTx_kernelILi16ELb1E19rocblas_complex_numIfEPKS1_KS3_KPS1_Ev13rocblas_fill_17rocblas_diagonal_iiT2_lPT3_llSB_llPT4_lli
    .private_segment_fixed_size: 0
    .sgpr_count:     36
    .sgpr_spill_count: 0
    .symbol:         _ZL23rocblas_trmm_lTx_kernelILi16ELb1E19rocblas_complex_numIfEPKS1_KS3_KPS1_Ev13rocblas_fill_17rocblas_diagonal_iiT2_lPT3_llSB_llPT4_lli.kd
    .uniform_work_group_size: 1
    .uses_dynamic_stack: false
    .vgpr_count:     40
    .vgpr_spill_count: 0
    .wavefront_size: 64
  - .args:
      - .offset:         0
        .size:           4
        .value_kind:     by_value
      - .offset:         4
        .size:           4
        .value_kind:     by_value
      - .offset:         8
        .size:           4
        .value_kind:     by_value
      - .offset:         12
        .size:           4
        .value_kind:     by_value
      - .offset:         16
        .size:           8
        .value_kind:     by_value
      - .offset:         24
        .size:           8
        .value_kind:     by_value
      - .address_space:  global
        .offset:         32
        .size:           8
        .value_kind:     global_buffer
      - .offset:         40
        .size:           8
        .value_kind:     by_value
      - .offset:         48
        .size:           8
        .value_kind:     by_value
      - .address_space:  global
        .offset:         56
        .size:           8
        .value_kind:     global_buffer
      - .offset:         64
        .size:           8
        .value_kind:     by_value
      - .offset:         72
        .size:           8
        .value_kind:     by_value
      - .address_space:  global
        .offset:         80
        .size:           8
        .value_kind:     global_buffer
      - .offset:         88
        .size:           8
        .value_kind:     by_value
      - .offset:         96
        .size:           8
        .value_kind:     by_value
      - .offset:         104
        .size:           4
        .value_kind:     by_value
    .group_segment_fixed_size: 4096
    .kernarg_segment_align: 8
    .kernarg_segment_size: 108
    .language:       OpenCL C
    .language_version:
      - 2
      - 0
    .max_flat_workgroup_size: 256
    .name:           _ZL23rocblas_trmm_lTx_kernelILi16ELb1E19rocblas_complex_numIfES1_KPKS1_KPS1_Ev13rocblas_fill_17rocblas_diagonal_iiT2_lPT3_llSB_llPT4_lli
    .private_segment_fixed_size: 0
    .sgpr_count:     36
    .sgpr_spill_count: 0
    .symbol:         _ZL23rocblas_trmm_lTx_kernelILi16ELb1E19rocblas_complex_numIfES1_KPKS1_KPS1_Ev13rocblas_fill_17rocblas_diagonal_iiT2_lPT3_llSB_llPT4_lli.kd
    .uniform_work_group_size: 1
    .uses_dynamic_stack: false
    .vgpr_count:     40
    .vgpr_spill_count: 0
    .wavefront_size: 64
  - .args:
      - .offset:         0
        .size:           4
        .value_kind:     by_value
      - .offset:         4
        .size:           4
        .value_kind:     by_value
      - .offset:         8
        .size:           4
        .value_kind:     by_value
      - .offset:         12
        .size:           4
        .value_kind:     by_value
      - .address_space:  global
        .offset:         16
        .size:           8
        .value_kind:     global_buffer
      - .offset:         24
        .size:           8
        .value_kind:     by_value
      - .address_space:  global
        .offset:         32
        .size:           8
        .value_kind:     global_buffer
      - .offset:         40
        .size:           8
        .value_kind:     by_value
      - .offset:         48
        .size:           8
        .value_kind:     by_value
      - .address_space:  global
        .offset:         56
        .size:           8
        .value_kind:     global_buffer
      - .offset:         64
        .size:           8
        .value_kind:     by_value
      - .offset:         72
        .size:           8
        .value_kind:     by_value
      - .address_space:  global
        .offset:         80
        .size:           8
        .value_kind:     global_buffer
      - .offset:         88
        .size:           8
        .value_kind:     by_value
      - .offset:         96
        .size:           8
        .value_kind:     by_value
      - .offset:         104
        .size:           4
        .value_kind:     by_value
    .group_segment_fixed_size: 4096
    .kernarg_segment_align: 8
    .kernarg_segment_size: 108
    .language:       OpenCL C
    .language_version:
      - 2
      - 0
    .max_flat_workgroup_size: 256
    .name:           _ZL23rocblas_trmm_rNx_kernelILi16E19rocblas_complex_numIfEPKS1_KS3_KPS1_Ev13rocblas_fill_17rocblas_diagonal_iiT1_lPT2_llSB_llPT3_lli
    .private_segment_fixed_size: 0
    .sgpr_count:     36
    .sgpr_spill_count: 0
    .symbol:         _ZL23rocblas_trmm_rNx_kernelILi16E19rocblas_complex_numIfEPKS1_KS3_KPS1_Ev13rocblas_fill_17rocblas_diagonal_iiT1_lPT2_llSB_llPT3_lli.kd
    .uniform_work_group_size: 1
    .uses_dynamic_stack: false
    .vgpr_count:     41
    .vgpr_spill_count: 0
    .wavefront_size: 64
  - .args:
      - .offset:         0
        .size:           4
        .value_kind:     by_value
      - .offset:         4
        .size:           4
        .value_kind:     by_value
      - .offset:         8
        .size:           4
        .value_kind:     by_value
      - .offset:         12
        .size:           4
        .value_kind:     by_value
      - .offset:         16
        .size:           8
        .value_kind:     by_value
      - .offset:         24
        .size:           8
        .value_kind:     by_value
      - .address_space:  global
        .offset:         32
        .size:           8
        .value_kind:     global_buffer
      - .offset:         40
        .size:           8
        .value_kind:     by_value
      - .offset:         48
        .size:           8
        .value_kind:     by_value
      - .address_space:  global
        .offset:         56
        .size:           8
        .value_kind:     global_buffer
      - .offset:         64
        .size:           8
        .value_kind:     by_value
      - .offset:         72
        .size:           8
        .value_kind:     by_value
      - .address_space:  global
        .offset:         80
        .size:           8
        .value_kind:     global_buffer
      - .offset:         88
        .size:           8
        .value_kind:     by_value
      - .offset:         96
        .size:           8
        .value_kind:     by_value
      - .offset:         104
        .size:           4
        .value_kind:     by_value
    .group_segment_fixed_size: 4096
    .kernarg_segment_align: 8
    .kernarg_segment_size: 108
    .language:       OpenCL C
    .language_version:
      - 2
      - 0
    .max_flat_workgroup_size: 256
    .name:           _ZL23rocblas_trmm_rNx_kernelILi16E19rocblas_complex_numIfES1_KPKS1_KPS1_Ev13rocblas_fill_17rocblas_diagonal_iiT1_lPT2_llSB_llPT3_lli
    .private_segment_fixed_size: 0
    .sgpr_count:     36
    .sgpr_spill_count: 0
    .symbol:         _ZL23rocblas_trmm_rNx_kernelILi16E19rocblas_complex_numIfES1_KPKS1_KPS1_Ev13rocblas_fill_17rocblas_diagonal_iiT1_lPT2_llSB_llPT3_lli.kd
    .uniform_work_group_size: 1
    .uses_dynamic_stack: false
    .vgpr_count:     41
    .vgpr_spill_count: 0
    .wavefront_size: 64
  - .args:
      - .offset:         0
        .size:           4
        .value_kind:     by_value
      - .offset:         4
        .size:           4
        .value_kind:     by_value
      - .offset:         8
        .size:           4
        .value_kind:     by_value
      - .offset:         12
        .size:           4
        .value_kind:     by_value
      - .address_space:  global
        .offset:         16
        .size:           8
        .value_kind:     global_buffer
      - .offset:         24
        .size:           8
        .value_kind:     by_value
      - .address_space:  global
        .offset:         32
        .size:           8
        .value_kind:     global_buffer
      - .offset:         40
        .size:           8
        .value_kind:     by_value
      - .offset:         48
        .size:           8
        .value_kind:     by_value
      - .address_space:  global
        .offset:         56
        .size:           8
        .value_kind:     global_buffer
      - .offset:         64
        .size:           8
        .value_kind:     by_value
      - .offset:         72
        .size:           8
        .value_kind:     by_value
      - .address_space:  global
        .offset:         80
        .size:           8
        .value_kind:     global_buffer
      - .offset:         88
        .size:           8
        .value_kind:     by_value
      - .offset:         96
        .size:           8
        .value_kind:     by_value
      - .offset:         104
        .size:           4
        .value_kind:     by_value
    .group_segment_fixed_size: 4096
    .kernarg_segment_align: 8
    .kernarg_segment_size: 108
    .language:       OpenCL C
    .language_version:
      - 2
      - 0
    .max_flat_workgroup_size: 256
    .name:           _ZL23rocblas_trmm_rTx_kernelILi16ELb0E19rocblas_complex_numIfEPKS1_KS3_KPS1_Ev13rocblas_fill_17rocblas_diagonal_iiT2_lPT3_llSB_llPT4_lli
    .private_segment_fixed_size: 0
    .sgpr_count:     36
    .sgpr_spill_count: 0
    .symbol:         _ZL23rocblas_trmm_rTx_kernelILi16ELb0E19rocblas_complex_numIfEPKS1_KS3_KPS1_Ev13rocblas_fill_17rocblas_diagonal_iiT2_lPT3_llSB_llPT4_lli.kd
    .uniform_work_group_size: 1
    .uses_dynamic_stack: false
    .vgpr_count:     40
    .vgpr_spill_count: 0
    .wavefront_size: 64
  - .args:
      - .offset:         0
        .size:           4
        .value_kind:     by_value
      - .offset:         4
        .size:           4
        .value_kind:     by_value
      - .offset:         8
        .size:           4
        .value_kind:     by_value
      - .offset:         12
        .size:           4
        .value_kind:     by_value
      - .offset:         16
        .size:           8
        .value_kind:     by_value
      - .offset:         24
        .size:           8
        .value_kind:     by_value
      - .address_space:  global
        .offset:         32
        .size:           8
        .value_kind:     global_buffer
      - .offset:         40
        .size:           8
        .value_kind:     by_value
      - .offset:         48
        .size:           8
        .value_kind:     by_value
      - .address_space:  global
        .offset:         56
        .size:           8
        .value_kind:     global_buffer
      - .offset:         64
        .size:           8
        .value_kind:     by_value
      - .offset:         72
        .size:           8
        .value_kind:     by_value
      - .address_space:  global
        .offset:         80
        .size:           8
        .value_kind:     global_buffer
      - .offset:         88
        .size:           8
        .value_kind:     by_value
      - .offset:         96
        .size:           8
        .value_kind:     by_value
      - .offset:         104
        .size:           4
        .value_kind:     by_value
    .group_segment_fixed_size: 4096
    .kernarg_segment_align: 8
    .kernarg_segment_size: 108
    .language:       OpenCL C
    .language_version:
      - 2
      - 0
    .max_flat_workgroup_size: 256
    .name:           _ZL23rocblas_trmm_rTx_kernelILi16ELb0E19rocblas_complex_numIfES1_KPKS1_KPS1_Ev13rocblas_fill_17rocblas_diagonal_iiT2_lPT3_llSB_llPT4_lli
    .private_segment_fixed_size: 0
    .sgpr_count:     36
    .sgpr_spill_count: 0
    .symbol:         _ZL23rocblas_trmm_rTx_kernelILi16ELb0E19rocblas_complex_numIfES1_KPKS1_KPS1_Ev13rocblas_fill_17rocblas_diagonal_iiT2_lPT3_llSB_llPT4_lli.kd
    .uniform_work_group_size: 1
    .uses_dynamic_stack: false
    .vgpr_count:     40
    .vgpr_spill_count: 0
    .wavefront_size: 64
  - .args:
      - .offset:         0
        .size:           4
        .value_kind:     by_value
      - .offset:         4
        .size:           4
        .value_kind:     by_value
      - .offset:         8
        .size:           4
        .value_kind:     by_value
      - .offset:         12
        .size:           4
        .value_kind:     by_value
      - .address_space:  global
        .offset:         16
        .size:           8
        .value_kind:     global_buffer
      - .offset:         24
        .size:           8
        .value_kind:     by_value
      - .address_space:  global
        .offset:         32
        .size:           8
        .value_kind:     global_buffer
      - .offset:         40
        .size:           8
        .value_kind:     by_value
      - .offset:         48
        .size:           8
        .value_kind:     by_value
      - .address_space:  global
        .offset:         56
        .size:           8
        .value_kind:     global_buffer
      - .offset:         64
        .size:           8
        .value_kind:     by_value
      - .offset:         72
        .size:           8
        .value_kind:     by_value
      - .address_space:  global
        .offset:         80
        .size:           8
        .value_kind:     global_buffer
      - .offset:         88
        .size:           8
        .value_kind:     by_value
      - .offset:         96
        .size:           8
        .value_kind:     by_value
      - .offset:         104
        .size:           4
        .value_kind:     by_value
    .group_segment_fixed_size: 4096
    .kernarg_segment_align: 8
    .kernarg_segment_size: 108
    .language:       OpenCL C
    .language_version:
      - 2
      - 0
    .max_flat_workgroup_size: 256
    .name:           _ZL23rocblas_trmm_rTx_kernelILi16ELb1E19rocblas_complex_numIfEPKS1_KS3_KPS1_Ev13rocblas_fill_17rocblas_diagonal_iiT2_lPT3_llSB_llPT4_lli
    .private_segment_fixed_size: 0
    .sgpr_count:     36
    .sgpr_spill_count: 0
    .symbol:         _ZL23rocblas_trmm_rTx_kernelILi16ELb1E19rocblas_complex_numIfEPKS1_KS3_KPS1_Ev13rocblas_fill_17rocblas_diagonal_iiT2_lPT3_llSB_llPT4_lli.kd
    .uniform_work_group_size: 1
    .uses_dynamic_stack: false
    .vgpr_count:     40
    .vgpr_spill_count: 0
    .wavefront_size: 64
  - .args:
      - .offset:         0
        .size:           4
        .value_kind:     by_value
      - .offset:         4
        .size:           4
        .value_kind:     by_value
      - .offset:         8
        .size:           4
        .value_kind:     by_value
      - .offset:         12
        .size:           4
        .value_kind:     by_value
      - .offset:         16
        .size:           8
        .value_kind:     by_value
      - .offset:         24
        .size:           8
        .value_kind:     by_value
      - .address_space:  global
        .offset:         32
        .size:           8
        .value_kind:     global_buffer
      - .offset:         40
        .size:           8
        .value_kind:     by_value
      - .offset:         48
        .size:           8
        .value_kind:     by_value
      - .address_space:  global
        .offset:         56
        .size:           8
        .value_kind:     global_buffer
      - .offset:         64
        .size:           8
        .value_kind:     by_value
      - .offset:         72
        .size:           8
        .value_kind:     by_value
      - .address_space:  global
        .offset:         80
        .size:           8
        .value_kind:     global_buffer
      - .offset:         88
        .size:           8
        .value_kind:     by_value
      - .offset:         96
        .size:           8
        .value_kind:     by_value
      - .offset:         104
        .size:           4
        .value_kind:     by_value
    .group_segment_fixed_size: 4096
    .kernarg_segment_align: 8
    .kernarg_segment_size: 108
    .language:       OpenCL C
    .language_version:
      - 2
      - 0
    .max_flat_workgroup_size: 256
    .name:           _ZL23rocblas_trmm_rTx_kernelILi16ELb1E19rocblas_complex_numIfES1_KPKS1_KPS1_Ev13rocblas_fill_17rocblas_diagonal_iiT2_lPT3_llSB_llPT4_lli
    .private_segment_fixed_size: 0
    .sgpr_count:     36
    .sgpr_spill_count: 0
    .symbol:         _ZL23rocblas_trmm_rTx_kernelILi16ELb1E19rocblas_complex_numIfES1_KPKS1_KPS1_Ev13rocblas_fill_17rocblas_diagonal_iiT2_lPT3_llSB_llPT4_lli.kd
    .uniform_work_group_size: 1
    .uses_dynamic_stack: false
    .vgpr_count:     40
    .vgpr_spill_count: 0
    .wavefront_size: 64
  - .args:
      - .offset:         0
        .size:           4
        .value_kind:     by_value
      - .offset:         4
        .size:           4
        .value_kind:     by_value
      - .offset:         8
        .size:           4
        .value_kind:     by_value
      - .offset:         12
        .size:           4
        .value_kind:     by_value
      - .address_space:  global
        .offset:         16
        .size:           8
        .value_kind:     global_buffer
      - .offset:         24
        .size:           8
        .value_kind:     by_value
      - .address_space:  global
        .offset:         32
        .size:           8
        .value_kind:     global_buffer
      - .offset:         40
        .size:           8
        .value_kind:     by_value
      - .offset:         48
        .size:           8
        .value_kind:     by_value
      - .address_space:  global
        .offset:         56
        .size:           8
        .value_kind:     global_buffer
      - .offset:         64
        .size:           8
        .value_kind:     by_value
      - .offset:         72
        .size:           8
        .value_kind:     by_value
      - .address_space:  global
        .offset:         80
        .size:           8
        .value_kind:     global_buffer
      - .offset:         88
        .size:           8
        .value_kind:     by_value
      - .offset:         96
        .size:           8
        .value_kind:     by_value
      - .offset:         104
        .size:           4
        .value_kind:     by_value
    .group_segment_fixed_size: 8192
    .kernarg_segment_align: 8
    .kernarg_segment_size: 108
    .language:       OpenCL C
    .language_version:
      - 2
      - 0
    .max_flat_workgroup_size: 256
    .name:           _ZL23rocblas_trmm_lNx_kernelILi16E19rocblas_complex_numIdEPKS1_KS3_KPS1_Ev13rocblas_fill_17rocblas_diagonal_iiT1_lPT2_llSB_llPT3_lli
    .private_segment_fixed_size: 0
    .sgpr_count:     42
    .sgpr_spill_count: 0
    .symbol:         _ZL23rocblas_trmm_lNx_kernelILi16E19rocblas_complex_numIdEPKS1_KS3_KPS1_Ev13rocblas_fill_17rocblas_diagonal_iiT1_lPT2_llSB_llPT3_lli.kd
    .uniform_work_group_size: 1
    .uses_dynamic_stack: false
    .vgpr_count:     47
    .vgpr_spill_count: 0
    .wavefront_size: 64
  - .args:
      - .offset:         0
        .size:           4
        .value_kind:     by_value
      - .offset:         4
        .size:           4
        .value_kind:     by_value
      - .offset:         8
        .size:           4
        .value_kind:     by_value
      - .offset:         12
        .size:           4
        .value_kind:     by_value
      - .offset:         16
        .size:           16
        .value_kind:     by_value
      - .offset:         32
        .size:           8
        .value_kind:     by_value
      - .address_space:  global
        .offset:         40
        .size:           8
        .value_kind:     global_buffer
      - .offset:         48
        .size:           8
        .value_kind:     by_value
      - .offset:         56
        .size:           8
        .value_kind:     by_value
      - .address_space:  global
        .offset:         64
        .size:           8
        .value_kind:     global_buffer
      - .offset:         72
        .size:           8
        .value_kind:     by_value
      - .offset:         80
        .size:           8
        .value_kind:     by_value
      - .address_space:  global
        .offset:         88
        .size:           8
        .value_kind:     global_buffer
      - .offset:         96
        .size:           8
        .value_kind:     by_value
      - .offset:         104
        .size:           8
        .value_kind:     by_value
      - .offset:         112
        .size:           4
        .value_kind:     by_value
    .group_segment_fixed_size: 8192
    .kernarg_segment_align: 8
    .kernarg_segment_size: 116
    .language:       OpenCL C
    .language_version:
      - 2
      - 0
    .max_flat_workgroup_size: 256
    .name:           _ZL23rocblas_trmm_lNx_kernelILi16E19rocblas_complex_numIdES1_KPKS1_KPS1_Ev13rocblas_fill_17rocblas_diagonal_iiT1_lPT2_llSB_llPT3_lli
    .private_segment_fixed_size: 0
    .sgpr_count:     42
    .sgpr_spill_count: 0
    .symbol:         _ZL23rocblas_trmm_lNx_kernelILi16E19rocblas_complex_numIdES1_KPKS1_KPS1_Ev13rocblas_fill_17rocblas_diagonal_iiT1_lPT2_llSB_llPT3_lli.kd
    .uniform_work_group_size: 1
    .uses_dynamic_stack: false
    .vgpr_count:     47
    .vgpr_spill_count: 0
    .wavefront_size: 64
  - .args:
      - .offset:         0
        .size:           4
        .value_kind:     by_value
      - .offset:         4
        .size:           4
        .value_kind:     by_value
      - .offset:         8
        .size:           4
        .value_kind:     by_value
      - .offset:         12
        .size:           4
        .value_kind:     by_value
      - .address_space:  global
        .offset:         16
        .size:           8
        .value_kind:     global_buffer
      - .offset:         24
        .size:           8
        .value_kind:     by_value
      - .address_space:  global
        .offset:         32
        .size:           8
        .value_kind:     global_buffer
      - .offset:         40
        .size:           8
        .value_kind:     by_value
      - .offset:         48
        .size:           8
        .value_kind:     by_value
      - .address_space:  global
        .offset:         56
        .size:           8
        .value_kind:     global_buffer
      - .offset:         64
        .size:           8
        .value_kind:     by_value
      - .offset:         72
        .size:           8
        .value_kind:     by_value
      - .address_space:  global
        .offset:         80
        .size:           8
        .value_kind:     global_buffer
      - .offset:         88
        .size:           8
        .value_kind:     by_value
      - .offset:         96
        .size:           8
        .value_kind:     by_value
      - .offset:         104
        .size:           4
        .value_kind:     by_value
    .group_segment_fixed_size: 8192
    .kernarg_segment_align: 8
    .kernarg_segment_size: 108
    .language:       OpenCL C
    .language_version:
      - 2
      - 0
    .max_flat_workgroup_size: 256
    .name:           _ZL23rocblas_trmm_lTx_kernelILi16ELb0E19rocblas_complex_numIdEPKS1_KS3_KPS1_Ev13rocblas_fill_17rocblas_diagonal_iiT2_lPT3_llSB_llPT4_lli
    .private_segment_fixed_size: 0
    .sgpr_count:     40
    .sgpr_spill_count: 0
    .symbol:         _ZL23rocblas_trmm_lTx_kernelILi16ELb0E19rocblas_complex_numIdEPKS1_KS3_KPS1_Ev13rocblas_fill_17rocblas_diagonal_iiT2_lPT3_llSB_llPT4_lli.kd
    .uniform_work_group_size: 1
    .uses_dynamic_stack: false
    .vgpr_count:     47
    .vgpr_spill_count: 0
    .wavefront_size: 64
  - .args:
      - .offset:         0
        .size:           4
        .value_kind:     by_value
      - .offset:         4
        .size:           4
        .value_kind:     by_value
      - .offset:         8
        .size:           4
        .value_kind:     by_value
      - .offset:         12
        .size:           4
        .value_kind:     by_value
      - .offset:         16
        .size:           16
        .value_kind:     by_value
      - .offset:         32
        .size:           8
        .value_kind:     by_value
      - .address_space:  global
        .offset:         40
        .size:           8
        .value_kind:     global_buffer
      - .offset:         48
        .size:           8
        .value_kind:     by_value
      - .offset:         56
        .size:           8
        .value_kind:     by_value
      - .address_space:  global
        .offset:         64
        .size:           8
        .value_kind:     global_buffer
      - .offset:         72
        .size:           8
        .value_kind:     by_value
      - .offset:         80
        .size:           8
        .value_kind:     by_value
      - .address_space:  global
        .offset:         88
        .size:           8
        .value_kind:     global_buffer
      - .offset:         96
        .size:           8
        .value_kind:     by_value
      - .offset:         104
        .size:           8
        .value_kind:     by_value
      - .offset:         112
        .size:           4
        .value_kind:     by_value
    .group_segment_fixed_size: 8192
    .kernarg_segment_align: 8
    .kernarg_segment_size: 116
    .language:       OpenCL C
    .language_version:
      - 2
      - 0
    .max_flat_workgroup_size: 256
    .name:           _ZL23rocblas_trmm_lTx_kernelILi16ELb0E19rocblas_complex_numIdES1_KPKS1_KPS1_Ev13rocblas_fill_17rocblas_diagonal_iiT2_lPT3_llSB_llPT4_lli
    .private_segment_fixed_size: 0
    .sgpr_count:     40
    .sgpr_spill_count: 0
    .symbol:         _ZL23rocblas_trmm_lTx_kernelILi16ELb0E19rocblas_complex_numIdES1_KPKS1_KPS1_Ev13rocblas_fill_17rocblas_diagonal_iiT2_lPT3_llSB_llPT4_lli.kd
    .uniform_work_group_size: 1
    .uses_dynamic_stack: false
    .vgpr_count:     47
    .vgpr_spill_count: 0
    .wavefront_size: 64
  - .args:
      - .offset:         0
        .size:           4
        .value_kind:     by_value
      - .offset:         4
        .size:           4
        .value_kind:     by_value
      - .offset:         8
        .size:           4
        .value_kind:     by_value
      - .offset:         12
        .size:           4
        .value_kind:     by_value
      - .address_space:  global
        .offset:         16
        .size:           8
        .value_kind:     global_buffer
      - .offset:         24
        .size:           8
        .value_kind:     by_value
      - .address_space:  global
        .offset:         32
        .size:           8
        .value_kind:     global_buffer
      - .offset:         40
        .size:           8
        .value_kind:     by_value
      - .offset:         48
        .size:           8
        .value_kind:     by_value
      - .address_space:  global
        .offset:         56
        .size:           8
        .value_kind:     global_buffer
      - .offset:         64
        .size:           8
        .value_kind:     by_value
      - .offset:         72
        .size:           8
        .value_kind:     by_value
      - .address_space:  global
        .offset:         80
        .size:           8
        .value_kind:     global_buffer
      - .offset:         88
        .size:           8
        .value_kind:     by_value
      - .offset:         96
        .size:           8
        .value_kind:     by_value
      - .offset:         104
        .size:           4
        .value_kind:     by_value
    .group_segment_fixed_size: 8192
    .kernarg_segment_align: 8
    .kernarg_segment_size: 108
    .language:       OpenCL C
    .language_version:
      - 2
      - 0
    .max_flat_workgroup_size: 256
    .name:           _ZL23rocblas_trmm_lTx_kernelILi16ELb1E19rocblas_complex_numIdEPKS1_KS3_KPS1_Ev13rocblas_fill_17rocblas_diagonal_iiT2_lPT3_llSB_llPT4_lli
    .private_segment_fixed_size: 0
    .sgpr_count:     40
    .sgpr_spill_count: 0
    .symbol:         _ZL23rocblas_trmm_lTx_kernelILi16ELb1E19rocblas_complex_numIdEPKS1_KS3_KPS1_Ev13rocblas_fill_17rocblas_diagonal_iiT2_lPT3_llSB_llPT4_lli.kd
    .uniform_work_group_size: 1
    .uses_dynamic_stack: false
    .vgpr_count:     47
    .vgpr_spill_count: 0
    .wavefront_size: 64
  - .args:
      - .offset:         0
        .size:           4
        .value_kind:     by_value
      - .offset:         4
        .size:           4
        .value_kind:     by_value
      - .offset:         8
        .size:           4
        .value_kind:     by_value
      - .offset:         12
        .size:           4
        .value_kind:     by_value
      - .offset:         16
        .size:           16
        .value_kind:     by_value
      - .offset:         32
        .size:           8
        .value_kind:     by_value
      - .address_space:  global
        .offset:         40
        .size:           8
        .value_kind:     global_buffer
      - .offset:         48
        .size:           8
        .value_kind:     by_value
      - .offset:         56
        .size:           8
        .value_kind:     by_value
      - .address_space:  global
        .offset:         64
        .size:           8
        .value_kind:     global_buffer
      - .offset:         72
        .size:           8
        .value_kind:     by_value
      - .offset:         80
        .size:           8
        .value_kind:     by_value
      - .address_space:  global
        .offset:         88
        .size:           8
        .value_kind:     global_buffer
      - .offset:         96
        .size:           8
        .value_kind:     by_value
      - .offset:         104
        .size:           8
        .value_kind:     by_value
      - .offset:         112
        .size:           4
        .value_kind:     by_value
    .group_segment_fixed_size: 8192
    .kernarg_segment_align: 8
    .kernarg_segment_size: 116
    .language:       OpenCL C
    .language_version:
      - 2
      - 0
    .max_flat_workgroup_size: 256
    .name:           _ZL23rocblas_trmm_lTx_kernelILi16ELb1E19rocblas_complex_numIdES1_KPKS1_KPS1_Ev13rocblas_fill_17rocblas_diagonal_iiT2_lPT3_llSB_llPT4_lli
    .private_segment_fixed_size: 0
    .sgpr_count:     40
    .sgpr_spill_count: 0
    .symbol:         _ZL23rocblas_trmm_lTx_kernelILi16ELb1E19rocblas_complex_numIdES1_KPKS1_KPS1_Ev13rocblas_fill_17rocblas_diagonal_iiT2_lPT3_llSB_llPT4_lli.kd
    .uniform_work_group_size: 1
    .uses_dynamic_stack: false
    .vgpr_count:     47
    .vgpr_spill_count: 0
    .wavefront_size: 64
  - .args:
      - .offset:         0
        .size:           4
        .value_kind:     by_value
      - .offset:         4
        .size:           4
        .value_kind:     by_value
      - .offset:         8
        .size:           4
        .value_kind:     by_value
      - .offset:         12
        .size:           4
        .value_kind:     by_value
      - .address_space:  global
        .offset:         16
        .size:           8
        .value_kind:     global_buffer
      - .offset:         24
        .size:           8
        .value_kind:     by_value
      - .address_space:  global
        .offset:         32
        .size:           8
        .value_kind:     global_buffer
      - .offset:         40
        .size:           8
        .value_kind:     by_value
      - .offset:         48
        .size:           8
        .value_kind:     by_value
      - .address_space:  global
        .offset:         56
        .size:           8
        .value_kind:     global_buffer
      - .offset:         64
        .size:           8
        .value_kind:     by_value
      - .offset:         72
        .size:           8
        .value_kind:     by_value
      - .address_space:  global
        .offset:         80
        .size:           8
        .value_kind:     global_buffer
      - .offset:         88
        .size:           8
        .value_kind:     by_value
      - .offset:         96
        .size:           8
        .value_kind:     by_value
      - .offset:         104
        .size:           4
        .value_kind:     by_value
    .group_segment_fixed_size: 8192
    .kernarg_segment_align: 8
    .kernarg_segment_size: 108
    .language:       OpenCL C
    .language_version:
      - 2
      - 0
    .max_flat_workgroup_size: 256
    .name:           _ZL23rocblas_trmm_rNx_kernelILi16E19rocblas_complex_numIdEPKS1_KS3_KPS1_Ev13rocblas_fill_17rocblas_diagonal_iiT1_lPT2_llSB_llPT3_lli
    .private_segment_fixed_size: 0
    .sgpr_count:     42
    .sgpr_spill_count: 0
    .symbol:         _ZL23rocblas_trmm_rNx_kernelILi16E19rocblas_complex_numIdEPKS1_KS3_KPS1_Ev13rocblas_fill_17rocblas_diagonal_iiT1_lPT2_llSB_llPT3_lli.kd
    .uniform_work_group_size: 1
    .uses_dynamic_stack: false
    .vgpr_count:     47
    .vgpr_spill_count: 0
    .wavefront_size: 64
  - .args:
      - .offset:         0
        .size:           4
        .value_kind:     by_value
      - .offset:         4
        .size:           4
        .value_kind:     by_value
      - .offset:         8
        .size:           4
        .value_kind:     by_value
      - .offset:         12
        .size:           4
        .value_kind:     by_value
      - .offset:         16
        .size:           16
        .value_kind:     by_value
      - .offset:         32
        .size:           8
        .value_kind:     by_value
      - .address_space:  global
        .offset:         40
        .size:           8
        .value_kind:     global_buffer
      - .offset:         48
        .size:           8
        .value_kind:     by_value
      - .offset:         56
        .size:           8
        .value_kind:     by_value
      - .address_space:  global
        .offset:         64
        .size:           8
        .value_kind:     global_buffer
      - .offset:         72
        .size:           8
        .value_kind:     by_value
      - .offset:         80
        .size:           8
        .value_kind:     by_value
      - .address_space:  global
        .offset:         88
        .size:           8
        .value_kind:     global_buffer
      - .offset:         96
        .size:           8
        .value_kind:     by_value
      - .offset:         104
        .size:           8
        .value_kind:     by_value
      - .offset:         112
        .size:           4
        .value_kind:     by_value
    .group_segment_fixed_size: 8192
    .kernarg_segment_align: 8
    .kernarg_segment_size: 116
    .language:       OpenCL C
    .language_version:
      - 2
      - 0
    .max_flat_workgroup_size: 256
    .name:           _ZL23rocblas_trmm_rNx_kernelILi16E19rocblas_complex_numIdES1_KPKS1_KPS1_Ev13rocblas_fill_17rocblas_diagonal_iiT1_lPT2_llSB_llPT3_lli
    .private_segment_fixed_size: 0
    .sgpr_count:     42
    .sgpr_spill_count: 0
    .symbol:         _ZL23rocblas_trmm_rNx_kernelILi16E19rocblas_complex_numIdES1_KPKS1_KPS1_Ev13rocblas_fill_17rocblas_diagonal_iiT1_lPT2_llSB_llPT3_lli.kd
    .uniform_work_group_size: 1
    .uses_dynamic_stack: false
    .vgpr_count:     47
    .vgpr_spill_count: 0
    .wavefront_size: 64
  - .args:
      - .offset:         0
        .size:           4
        .value_kind:     by_value
      - .offset:         4
        .size:           4
        .value_kind:     by_value
      - .offset:         8
        .size:           4
        .value_kind:     by_value
      - .offset:         12
        .size:           4
        .value_kind:     by_value
      - .address_space:  global
        .offset:         16
        .size:           8
        .value_kind:     global_buffer
      - .offset:         24
        .size:           8
        .value_kind:     by_value
      - .address_space:  global
        .offset:         32
        .size:           8
        .value_kind:     global_buffer
      - .offset:         40
        .size:           8
        .value_kind:     by_value
      - .offset:         48
        .size:           8
        .value_kind:     by_value
      - .address_space:  global
        .offset:         56
        .size:           8
        .value_kind:     global_buffer
      - .offset:         64
        .size:           8
        .value_kind:     by_value
      - .offset:         72
        .size:           8
        .value_kind:     by_value
      - .address_space:  global
        .offset:         80
        .size:           8
        .value_kind:     global_buffer
      - .offset:         88
        .size:           8
        .value_kind:     by_value
      - .offset:         96
        .size:           8
        .value_kind:     by_value
      - .offset:         104
        .size:           4
        .value_kind:     by_value
    .group_segment_fixed_size: 8192
    .kernarg_segment_align: 8
    .kernarg_segment_size: 108
    .language:       OpenCL C
    .language_version:
      - 2
      - 0
    .max_flat_workgroup_size: 256
    .name:           _ZL23rocblas_trmm_rTx_kernelILi16ELb0E19rocblas_complex_numIdEPKS1_KS3_KPS1_Ev13rocblas_fill_17rocblas_diagonal_iiT2_lPT3_llSB_llPT4_lli
    .private_segment_fixed_size: 0
    .sgpr_count:     42
    .sgpr_spill_count: 0
    .symbol:         _ZL23rocblas_trmm_rTx_kernelILi16ELb0E19rocblas_complex_numIdEPKS1_KS3_KPS1_Ev13rocblas_fill_17rocblas_diagonal_iiT2_lPT3_llSB_llPT4_lli.kd
    .uniform_work_group_size: 1
    .uses_dynamic_stack: false
    .vgpr_count:     48
    .vgpr_spill_count: 0
    .wavefront_size: 64
  - .args:
      - .offset:         0
        .size:           4
        .value_kind:     by_value
      - .offset:         4
        .size:           4
        .value_kind:     by_value
      - .offset:         8
        .size:           4
        .value_kind:     by_value
      - .offset:         12
        .size:           4
        .value_kind:     by_value
      - .offset:         16
        .size:           16
        .value_kind:     by_value
      - .offset:         32
        .size:           8
        .value_kind:     by_value
      - .address_space:  global
        .offset:         40
        .size:           8
        .value_kind:     global_buffer
      - .offset:         48
        .size:           8
        .value_kind:     by_value
      - .offset:         56
        .size:           8
        .value_kind:     by_value
      - .address_space:  global
        .offset:         64
        .size:           8
        .value_kind:     global_buffer
      - .offset:         72
        .size:           8
        .value_kind:     by_value
      - .offset:         80
        .size:           8
        .value_kind:     by_value
      - .address_space:  global
        .offset:         88
        .size:           8
        .value_kind:     global_buffer
      - .offset:         96
        .size:           8
        .value_kind:     by_value
      - .offset:         104
        .size:           8
        .value_kind:     by_value
      - .offset:         112
        .size:           4
        .value_kind:     by_value
    .group_segment_fixed_size: 8192
    .kernarg_segment_align: 8
    .kernarg_segment_size: 116
    .language:       OpenCL C
    .language_version:
      - 2
      - 0
    .max_flat_workgroup_size: 256
    .name:           _ZL23rocblas_trmm_rTx_kernelILi16ELb0E19rocblas_complex_numIdES1_KPKS1_KPS1_Ev13rocblas_fill_17rocblas_diagonal_iiT2_lPT3_llSB_llPT4_lli
    .private_segment_fixed_size: 0
    .sgpr_count:     42
    .sgpr_spill_count: 0
    .symbol:         _ZL23rocblas_trmm_rTx_kernelILi16ELb0E19rocblas_complex_numIdES1_KPKS1_KPS1_Ev13rocblas_fill_17rocblas_diagonal_iiT2_lPT3_llSB_llPT4_lli.kd
    .uniform_work_group_size: 1
    .uses_dynamic_stack: false
    .vgpr_count:     48
    .vgpr_spill_count: 0
    .wavefront_size: 64
  - .args:
      - .offset:         0
        .size:           4
        .value_kind:     by_value
      - .offset:         4
        .size:           4
        .value_kind:     by_value
      - .offset:         8
        .size:           4
        .value_kind:     by_value
      - .offset:         12
        .size:           4
        .value_kind:     by_value
      - .address_space:  global
        .offset:         16
        .size:           8
        .value_kind:     global_buffer
      - .offset:         24
        .size:           8
        .value_kind:     by_value
      - .address_space:  global
        .offset:         32
        .size:           8
        .value_kind:     global_buffer
      - .offset:         40
        .size:           8
        .value_kind:     by_value
      - .offset:         48
        .size:           8
        .value_kind:     by_value
      - .address_space:  global
        .offset:         56
        .size:           8
        .value_kind:     global_buffer
      - .offset:         64
        .size:           8
        .value_kind:     by_value
      - .offset:         72
        .size:           8
        .value_kind:     by_value
      - .address_space:  global
        .offset:         80
        .size:           8
        .value_kind:     global_buffer
      - .offset:         88
        .size:           8
        .value_kind:     by_value
      - .offset:         96
        .size:           8
        .value_kind:     by_value
      - .offset:         104
        .size:           4
        .value_kind:     by_value
    .group_segment_fixed_size: 8192
    .kernarg_segment_align: 8
    .kernarg_segment_size: 108
    .language:       OpenCL C
    .language_version:
      - 2
      - 0
    .max_flat_workgroup_size: 256
    .name:           _ZL23rocblas_trmm_rTx_kernelILi16ELb1E19rocblas_complex_numIdEPKS1_KS3_KPS1_Ev13rocblas_fill_17rocblas_diagonal_iiT2_lPT3_llSB_llPT4_lli
    .private_segment_fixed_size: 0
    .sgpr_count:     42
    .sgpr_spill_count: 0
    .symbol:         _ZL23rocblas_trmm_rTx_kernelILi16ELb1E19rocblas_complex_numIdEPKS1_KS3_KPS1_Ev13rocblas_fill_17rocblas_diagonal_iiT2_lPT3_llSB_llPT4_lli.kd
    .uniform_work_group_size: 1
    .uses_dynamic_stack: false
    .vgpr_count:     48
    .vgpr_spill_count: 0
    .wavefront_size: 64
  - .args:
      - .offset:         0
        .size:           4
        .value_kind:     by_value
      - .offset:         4
        .size:           4
        .value_kind:     by_value
      - .offset:         8
        .size:           4
        .value_kind:     by_value
      - .offset:         12
        .size:           4
        .value_kind:     by_value
      - .offset:         16
        .size:           16
        .value_kind:     by_value
      - .offset:         32
        .size:           8
        .value_kind:     by_value
      - .address_space:  global
        .offset:         40
        .size:           8
        .value_kind:     global_buffer
      - .offset:         48
        .size:           8
        .value_kind:     by_value
      - .offset:         56
        .size:           8
        .value_kind:     by_value
      - .address_space:  global
        .offset:         64
        .size:           8
        .value_kind:     global_buffer
      - .offset:         72
        .size:           8
        .value_kind:     by_value
      - .offset:         80
        .size:           8
        .value_kind:     by_value
      - .address_space:  global
        .offset:         88
        .size:           8
        .value_kind:     global_buffer
      - .offset:         96
        .size:           8
        .value_kind:     by_value
      - .offset:         104
        .size:           8
        .value_kind:     by_value
      - .offset:         112
        .size:           4
        .value_kind:     by_value
    .group_segment_fixed_size: 8192
    .kernarg_segment_align: 8
    .kernarg_segment_size: 116
    .language:       OpenCL C
    .language_version:
      - 2
      - 0
    .max_flat_workgroup_size: 256
    .name:           _ZL23rocblas_trmm_rTx_kernelILi16ELb1E19rocblas_complex_numIdES1_KPKS1_KPS1_Ev13rocblas_fill_17rocblas_diagonal_iiT2_lPT3_llSB_llPT4_lli
    .private_segment_fixed_size: 0
    .sgpr_count:     42
    .sgpr_spill_count: 0
    .symbol:         _ZL23rocblas_trmm_rTx_kernelILi16ELb1E19rocblas_complex_numIdES1_KPKS1_KPS1_Ev13rocblas_fill_17rocblas_diagonal_iiT2_lPT3_llSB_llPT4_lli.kd
    .uniform_work_group_size: 1
    .uses_dynamic_stack: false
    .vgpr_count:     48
    .vgpr_spill_count: 0
    .wavefront_size: 64
  - .args:
      - .offset:         0
        .size:           4
        .value_kind:     by_value
      - .offset:         4
        .size:           4
        .value_kind:     by_value
      - .address_space:  global
        .offset:         8
        .size:           8
        .value_kind:     global_buffer
      - .offset:         16
        .size:           8
        .value_kind:     by_value
      - .address_space:  global
        .offset:         24
        .size:           8
        .value_kind:     global_buffer
      - .offset:         32
        .size:           8
        .value_kind:     by_value
      - .offset:         40
        .size:           8
        .value_kind:     by_value
      - .offset:         48
        .size:           4
        .value_kind:     by_value
      - .offset:         56
        .size:           4
        .value_kind:     hidden_block_count_x
      - .offset:         60
        .size:           4
        .value_kind:     hidden_block_count_y
      - .offset:         64
        .size:           4
        .value_kind:     hidden_block_count_z
      - .offset:         68
        .size:           2
        .value_kind:     hidden_group_size_x
      - .offset:         70
        .size:           2
        .value_kind:     hidden_group_size_y
      - .offset:         72
        .size:           2
        .value_kind:     hidden_group_size_z
      - .offset:         74
        .size:           2
        .value_kind:     hidden_remainder_x
      - .offset:         76
        .size:           2
        .value_kind:     hidden_remainder_y
      - .offset:         78
        .size:           2
        .value_kind:     hidden_remainder_z
      - .offset:         96
        .size:           8
        .value_kind:     hidden_global_offset_x
      - .offset:         104
        .size:           8
        .value_kind:     hidden_global_offset_y
      - .offset:         112
        .size:           8
        .value_kind:     hidden_global_offset_z
      - .offset:         120
        .size:           2
        .value_kind:     hidden_grid_dims
    .group_segment_fixed_size: 0
    .kernarg_segment_align: 8
    .kernarg_segment_size: 312
    .language:       OpenCL C
    .language_version:
      - 2
      - 0
    .max_flat_workgroup_size: 256
    .name:           _ZL44rocblas_set_matrix_zero_if_alpha_zero_kernelILi16ELi16EPKfPKPfEviiT1_lT2_lli
    .private_segment_fixed_size: 0
    .sgpr_count:     24
    .sgpr_spill_count: 0
    .symbol:         _ZL44rocblas_set_matrix_zero_if_alpha_zero_kernelILi16ELi16EPKfPKPfEviiT1_lT2_lli.kd
    .uniform_work_group_size: 1
    .uses_dynamic_stack: false
    .vgpr_count:     8
    .vgpr_spill_count: 0
    .wavefront_size: 64
  - .args:
      - .offset:         0
        .size:           4
        .value_kind:     by_value
      - .offset:         4
        .size:           4
        .value_kind:     by_value
      - .offset:         8
        .size:           4
        .value_kind:     by_value
      - .offset:         16
        .size:           8
        .value_kind:     by_value
      - .address_space:  global
        .offset:         24
        .size:           8
        .value_kind:     global_buffer
      - .offset:         32
        .size:           8
        .value_kind:     by_value
      - .offset:         40
        .size:           8
        .value_kind:     by_value
      - .offset:         48
        .size:           4
        .value_kind:     by_value
      - .offset:         56
        .size:           4
        .value_kind:     hidden_block_count_x
      - .offset:         60
        .size:           4
        .value_kind:     hidden_block_count_y
      - .offset:         64
        .size:           4
        .value_kind:     hidden_block_count_z
      - .offset:         68
        .size:           2
        .value_kind:     hidden_group_size_x
      - .offset:         70
        .size:           2
        .value_kind:     hidden_group_size_y
      - .offset:         72
        .size:           2
        .value_kind:     hidden_group_size_z
      - .offset:         74
        .size:           2
        .value_kind:     hidden_remainder_x
      - .offset:         76
        .size:           2
        .value_kind:     hidden_remainder_y
      - .offset:         78
        .size:           2
        .value_kind:     hidden_remainder_z
      - .offset:         96
        .size:           8
        .value_kind:     hidden_global_offset_x
      - .offset:         104
        .size:           8
        .value_kind:     hidden_global_offset_y
      - .offset:         112
        .size:           8
        .value_kind:     hidden_global_offset_z
      - .offset:         120
        .size:           2
        .value_kind:     hidden_grid_dims
    .group_segment_fixed_size: 0
    .kernarg_segment_align: 8
    .kernarg_segment_size: 312
    .language:       OpenCL C
    .language_version:
      - 2
      - 0
    .max_flat_workgroup_size: 256
    .name:           _ZL44rocblas_set_matrix_zero_if_alpha_zero_kernelILi16ELi16EfPKPfEviiT1_lT2_lli
    .private_segment_fixed_size: 0
    .sgpr_count:     20
    .sgpr_spill_count: 0
    .symbol:         _ZL44rocblas_set_matrix_zero_if_alpha_zero_kernelILi16ELi16EfPKPfEviiT1_lT2_lli.kd
    .uniform_work_group_size: 1
    .uses_dynamic_stack: false
    .vgpr_count:     8
    .vgpr_spill_count: 0
    .wavefront_size: 64
  - .args:
      - .offset:         0
        .size:           4
        .value_kind:     by_value
      - .offset:         4
        .size:           4
        .value_kind:     by_value
      - .address_space:  global
        .offset:         8
        .size:           8
        .value_kind:     global_buffer
      - .offset:         16
        .size:           8
        .value_kind:     by_value
      - .address_space:  global
        .offset:         24
        .size:           8
        .value_kind:     global_buffer
      - .offset:         32
        .size:           8
        .value_kind:     by_value
      - .offset:         40
        .size:           8
        .value_kind:     by_value
      - .offset:         48
        .size:           4
        .value_kind:     by_value
      - .offset:         56
        .size:           4
        .value_kind:     hidden_block_count_x
      - .offset:         60
        .size:           4
        .value_kind:     hidden_block_count_y
      - .offset:         64
        .size:           4
        .value_kind:     hidden_block_count_z
      - .offset:         68
        .size:           2
        .value_kind:     hidden_group_size_x
      - .offset:         70
        .size:           2
        .value_kind:     hidden_group_size_y
      - .offset:         72
        .size:           2
        .value_kind:     hidden_group_size_z
      - .offset:         74
        .size:           2
        .value_kind:     hidden_remainder_x
      - .offset:         76
        .size:           2
        .value_kind:     hidden_remainder_y
      - .offset:         78
        .size:           2
        .value_kind:     hidden_remainder_z
      - .offset:         96
        .size:           8
        .value_kind:     hidden_global_offset_x
      - .offset:         104
        .size:           8
        .value_kind:     hidden_global_offset_y
      - .offset:         112
        .size:           8
        .value_kind:     hidden_global_offset_z
      - .offset:         120
        .size:           2
        .value_kind:     hidden_grid_dims
    .group_segment_fixed_size: 0
    .kernarg_segment_align: 8
    .kernarg_segment_size: 312
    .language:       OpenCL C
    .language_version:
      - 2
      - 0
    .max_flat_workgroup_size: 256
    .name:           _ZL44rocblas_set_matrix_zero_if_alpha_zero_kernelILi16ELi16EPKfPfEviiT1_lT2_lli
    .private_segment_fixed_size: 0
    .sgpr_count:     24
    .sgpr_spill_count: 0
    .symbol:         _ZL44rocblas_set_matrix_zero_if_alpha_zero_kernelILi16ELi16EPKfPfEviiT1_lT2_lli.kd
    .uniform_work_group_size: 1
    .uses_dynamic_stack: false
    .vgpr_count:     8
    .vgpr_spill_count: 0
    .wavefront_size: 64
  - .args:
      - .offset:         0
        .size:           4
        .value_kind:     by_value
      - .offset:         4
        .size:           4
        .value_kind:     by_value
      - .offset:         8
        .size:           4
        .value_kind:     by_value
      - .offset:         16
        .size:           8
        .value_kind:     by_value
      - .address_space:  global
        .offset:         24
        .size:           8
        .value_kind:     global_buffer
      - .offset:         32
        .size:           8
        .value_kind:     by_value
      - .offset:         40
        .size:           8
        .value_kind:     by_value
      - .offset:         48
        .size:           4
        .value_kind:     by_value
      - .offset:         56
        .size:           4
        .value_kind:     hidden_block_count_x
      - .offset:         60
        .size:           4
        .value_kind:     hidden_block_count_y
      - .offset:         64
        .size:           4
        .value_kind:     hidden_block_count_z
      - .offset:         68
        .size:           2
        .value_kind:     hidden_group_size_x
      - .offset:         70
        .size:           2
        .value_kind:     hidden_group_size_y
      - .offset:         72
        .size:           2
        .value_kind:     hidden_group_size_z
      - .offset:         74
        .size:           2
        .value_kind:     hidden_remainder_x
      - .offset:         76
        .size:           2
        .value_kind:     hidden_remainder_y
      - .offset:         78
        .size:           2
        .value_kind:     hidden_remainder_z
      - .offset:         96
        .size:           8
        .value_kind:     hidden_global_offset_x
      - .offset:         104
        .size:           8
        .value_kind:     hidden_global_offset_y
      - .offset:         112
        .size:           8
        .value_kind:     hidden_global_offset_z
      - .offset:         120
        .size:           2
        .value_kind:     hidden_grid_dims
    .group_segment_fixed_size: 0
    .kernarg_segment_align: 8
    .kernarg_segment_size: 312
    .language:       OpenCL C
    .language_version:
      - 2
      - 0
    .max_flat_workgroup_size: 256
    .name:           _ZL44rocblas_set_matrix_zero_if_alpha_zero_kernelILi16ELi16EfPfEviiT1_lT2_lli
    .private_segment_fixed_size: 0
    .sgpr_count:     20
    .sgpr_spill_count: 0
    .symbol:         _ZL44rocblas_set_matrix_zero_if_alpha_zero_kernelILi16ELi16EfPfEviiT1_lT2_lli.kd
    .uniform_work_group_size: 1
    .uses_dynamic_stack: false
    .vgpr_count:     8
    .vgpr_spill_count: 0
    .wavefront_size: 64
  - .args:
      - .offset:         0
        .size:           4
        .value_kind:     by_value
      - .offset:         4
        .size:           4
        .value_kind:     by_value
      - .address_space:  global
        .offset:         8
        .size:           8
        .value_kind:     global_buffer
      - .offset:         16
        .size:           8
        .value_kind:     by_value
      - .address_space:  global
        .offset:         24
        .size:           8
        .value_kind:     global_buffer
      - .offset:         32
        .size:           8
        .value_kind:     by_value
      - .offset:         40
        .size:           8
        .value_kind:     by_value
      - .offset:         48
        .size:           4
        .value_kind:     by_value
      - .offset:         56
        .size:           4
        .value_kind:     hidden_block_count_x
      - .offset:         60
        .size:           4
        .value_kind:     hidden_block_count_y
      - .offset:         64
        .size:           4
        .value_kind:     hidden_block_count_z
      - .offset:         68
        .size:           2
        .value_kind:     hidden_group_size_x
      - .offset:         70
        .size:           2
        .value_kind:     hidden_group_size_y
      - .offset:         72
        .size:           2
        .value_kind:     hidden_group_size_z
      - .offset:         74
        .size:           2
        .value_kind:     hidden_remainder_x
      - .offset:         76
        .size:           2
        .value_kind:     hidden_remainder_y
      - .offset:         78
        .size:           2
        .value_kind:     hidden_remainder_z
      - .offset:         96
        .size:           8
        .value_kind:     hidden_global_offset_x
      - .offset:         104
        .size:           8
        .value_kind:     hidden_global_offset_y
      - .offset:         112
        .size:           8
        .value_kind:     hidden_global_offset_z
      - .offset:         120
        .size:           2
        .value_kind:     hidden_grid_dims
    .group_segment_fixed_size: 0
    .kernarg_segment_align: 8
    .kernarg_segment_size: 312
    .language:       OpenCL C
    .language_version:
      - 2
      - 0
    .max_flat_workgroup_size: 256
    .name:           _ZL44rocblas_set_matrix_zero_if_alpha_zero_kernelILi16ELi16EPKdPdEviiT1_lT2_lli
    .private_segment_fixed_size: 0
    .sgpr_count:     24
    .sgpr_spill_count: 0
    .symbol:         _ZL44rocblas_set_matrix_zero_if_alpha_zero_kernelILi16ELi16EPKdPdEviiT1_lT2_lli.kd
    .uniform_work_group_size: 1
    .uses_dynamic_stack: false
    .vgpr_count:     8
    .vgpr_spill_count: 0
    .wavefront_size: 64
  - .args:
      - .offset:         0
        .size:           4
        .value_kind:     by_value
      - .offset:         4
        .size:           4
        .value_kind:     by_value
      - .offset:         8
        .size:           8
        .value_kind:     by_value
      - .offset:         16
        .size:           8
        .value_kind:     by_value
      - .address_space:  global
        .offset:         24
        .size:           8
        .value_kind:     global_buffer
      - .offset:         32
        .size:           8
        .value_kind:     by_value
      - .offset:         40
        .size:           8
        .value_kind:     by_value
      - .offset:         48
        .size:           4
        .value_kind:     by_value
      - .offset:         56
        .size:           4
        .value_kind:     hidden_block_count_x
      - .offset:         60
        .size:           4
        .value_kind:     hidden_block_count_y
      - .offset:         64
        .size:           4
        .value_kind:     hidden_block_count_z
      - .offset:         68
        .size:           2
        .value_kind:     hidden_group_size_x
      - .offset:         70
        .size:           2
        .value_kind:     hidden_group_size_y
      - .offset:         72
        .size:           2
        .value_kind:     hidden_group_size_z
      - .offset:         74
        .size:           2
        .value_kind:     hidden_remainder_x
      - .offset:         76
        .size:           2
        .value_kind:     hidden_remainder_y
      - .offset:         78
        .size:           2
        .value_kind:     hidden_remainder_z
      - .offset:         96
        .size:           8
        .value_kind:     hidden_global_offset_x
      - .offset:         104
        .size:           8
        .value_kind:     hidden_global_offset_y
      - .offset:         112
        .size:           8
        .value_kind:     hidden_global_offset_z
      - .offset:         120
        .size:           2
        .value_kind:     hidden_grid_dims
    .group_segment_fixed_size: 0
    .kernarg_segment_align: 8
    .kernarg_segment_size: 312
    .language:       OpenCL C
    .language_version:
      - 2
      - 0
    .max_flat_workgroup_size: 256
    .name:           _ZL44rocblas_set_matrix_zero_if_alpha_zero_kernelILi16ELi16EdPdEviiT1_lT2_lli
    .private_segment_fixed_size: 0
    .sgpr_count:     20
    .sgpr_spill_count: 0
    .symbol:         _ZL44rocblas_set_matrix_zero_if_alpha_zero_kernelILi16ELi16EdPdEviiT1_lT2_lli.kd
    .uniform_work_group_size: 1
    .uses_dynamic_stack: false
    .vgpr_count:     8
    .vgpr_spill_count: 0
    .wavefront_size: 64
  - .args:
      - .offset:         0
        .size:           4
        .value_kind:     by_value
      - .offset:         4
        .size:           4
        .value_kind:     by_value
      - .address_space:  global
        .offset:         8
        .size:           8
        .value_kind:     global_buffer
      - .offset:         16
        .size:           8
        .value_kind:     by_value
      - .address_space:  global
        .offset:         24
        .size:           8
        .value_kind:     global_buffer
      - .offset:         32
        .size:           8
        .value_kind:     by_value
      - .offset:         40
        .size:           8
        .value_kind:     by_value
      - .offset:         48
        .size:           4
        .value_kind:     by_value
      - .offset:         56
        .size:           4
        .value_kind:     hidden_block_count_x
      - .offset:         60
        .size:           4
        .value_kind:     hidden_block_count_y
      - .offset:         64
        .size:           4
        .value_kind:     hidden_block_count_z
      - .offset:         68
        .size:           2
        .value_kind:     hidden_group_size_x
      - .offset:         70
        .size:           2
        .value_kind:     hidden_group_size_y
      - .offset:         72
        .size:           2
        .value_kind:     hidden_group_size_z
      - .offset:         74
        .size:           2
        .value_kind:     hidden_remainder_x
      - .offset:         76
        .size:           2
        .value_kind:     hidden_remainder_y
      - .offset:         78
        .size:           2
        .value_kind:     hidden_remainder_z
      - .offset:         96
        .size:           8
        .value_kind:     hidden_global_offset_x
      - .offset:         104
        .size:           8
        .value_kind:     hidden_global_offset_y
      - .offset:         112
        .size:           8
        .value_kind:     hidden_global_offset_z
      - .offset:         120
        .size:           2
        .value_kind:     hidden_grid_dims
    .group_segment_fixed_size: 0
    .kernarg_segment_align: 8
    .kernarg_segment_size: 312
    .language:       OpenCL C
    .language_version:
      - 2
      - 0
    .max_flat_workgroup_size: 256
    .name:           _ZL44rocblas_set_matrix_zero_if_alpha_zero_kernelILi16ELi16EPKdPKPdEviiT1_lT2_lli
    .private_segment_fixed_size: 0
    .sgpr_count:     24
    .sgpr_spill_count: 0
    .symbol:         _ZL44rocblas_set_matrix_zero_if_alpha_zero_kernelILi16ELi16EPKdPKPdEviiT1_lT2_lli.kd
    .uniform_work_group_size: 1
    .uses_dynamic_stack: false
    .vgpr_count:     8
    .vgpr_spill_count: 0
    .wavefront_size: 64
  - .args:
      - .offset:         0
        .size:           4
        .value_kind:     by_value
      - .offset:         4
        .size:           4
        .value_kind:     by_value
      - .offset:         8
        .size:           8
        .value_kind:     by_value
      - .offset:         16
        .size:           8
        .value_kind:     by_value
      - .address_space:  global
        .offset:         24
        .size:           8
        .value_kind:     global_buffer
      - .offset:         32
        .size:           8
        .value_kind:     by_value
      - .offset:         40
        .size:           8
        .value_kind:     by_value
      - .offset:         48
        .size:           4
        .value_kind:     by_value
      - .offset:         56
        .size:           4
        .value_kind:     hidden_block_count_x
      - .offset:         60
        .size:           4
        .value_kind:     hidden_block_count_y
      - .offset:         64
        .size:           4
        .value_kind:     hidden_block_count_z
      - .offset:         68
        .size:           2
        .value_kind:     hidden_group_size_x
      - .offset:         70
        .size:           2
        .value_kind:     hidden_group_size_y
      - .offset:         72
        .size:           2
        .value_kind:     hidden_group_size_z
      - .offset:         74
        .size:           2
        .value_kind:     hidden_remainder_x
      - .offset:         76
        .size:           2
        .value_kind:     hidden_remainder_y
      - .offset:         78
        .size:           2
        .value_kind:     hidden_remainder_z
      - .offset:         96
        .size:           8
        .value_kind:     hidden_global_offset_x
      - .offset:         104
        .size:           8
        .value_kind:     hidden_global_offset_y
      - .offset:         112
        .size:           8
        .value_kind:     hidden_global_offset_z
      - .offset:         120
        .size:           2
        .value_kind:     hidden_grid_dims
    .group_segment_fixed_size: 0
    .kernarg_segment_align: 8
    .kernarg_segment_size: 312
    .language:       OpenCL C
    .language_version:
      - 2
      - 0
    .max_flat_workgroup_size: 256
    .name:           _ZL44rocblas_set_matrix_zero_if_alpha_zero_kernelILi16ELi16EdPKPdEviiT1_lT2_lli
    .private_segment_fixed_size: 0
    .sgpr_count:     20
    .sgpr_spill_count: 0
    .symbol:         _ZL44rocblas_set_matrix_zero_if_alpha_zero_kernelILi16ELi16EdPKPdEviiT1_lT2_lli.kd
    .uniform_work_group_size: 1
    .uses_dynamic_stack: false
    .vgpr_count:     8
    .vgpr_spill_count: 0
    .wavefront_size: 64
  - .args:
      - .offset:         0
        .size:           4
        .value_kind:     by_value
      - .offset:         4
        .size:           4
        .value_kind:     by_value
      - .address_space:  global
        .offset:         8
        .size:           8
        .value_kind:     global_buffer
      - .offset:         16
        .size:           8
        .value_kind:     by_value
      - .address_space:  global
        .offset:         24
        .size:           8
        .value_kind:     global_buffer
      - .offset:         32
        .size:           8
        .value_kind:     by_value
      - .offset:         40
        .size:           8
        .value_kind:     by_value
      - .offset:         48
        .size:           4
        .value_kind:     by_value
      - .offset:         56
        .size:           4
        .value_kind:     hidden_block_count_x
      - .offset:         60
        .size:           4
        .value_kind:     hidden_block_count_y
      - .offset:         64
        .size:           4
        .value_kind:     hidden_block_count_z
      - .offset:         68
        .size:           2
        .value_kind:     hidden_group_size_x
      - .offset:         70
        .size:           2
        .value_kind:     hidden_group_size_y
      - .offset:         72
        .size:           2
        .value_kind:     hidden_group_size_z
      - .offset:         74
        .size:           2
        .value_kind:     hidden_remainder_x
      - .offset:         76
        .size:           2
        .value_kind:     hidden_remainder_y
      - .offset:         78
        .size:           2
        .value_kind:     hidden_remainder_z
      - .offset:         96
        .size:           8
        .value_kind:     hidden_global_offset_x
      - .offset:         104
        .size:           8
        .value_kind:     hidden_global_offset_y
      - .offset:         112
        .size:           8
        .value_kind:     hidden_global_offset_z
      - .offset:         120
        .size:           2
        .value_kind:     hidden_grid_dims
    .group_segment_fixed_size: 0
    .kernarg_segment_align: 8
    .kernarg_segment_size: 312
    .language:       OpenCL C
    .language_version:
      - 2
      - 0
    .max_flat_workgroup_size: 256
    .name:           _ZL44rocblas_set_matrix_zero_if_alpha_zero_kernelILi16ELi16EPK19rocblas_complex_numIfEPKPS1_EviiT1_lT2_lli
    .private_segment_fixed_size: 0
    .sgpr_count:     24
    .sgpr_spill_count: 0
    .symbol:         _ZL44rocblas_set_matrix_zero_if_alpha_zero_kernelILi16ELi16EPK19rocblas_complex_numIfEPKPS1_EviiT1_lT2_lli.kd
    .uniform_work_group_size: 1
    .uses_dynamic_stack: false
    .vgpr_count:     9
    .vgpr_spill_count: 0
    .wavefront_size: 64
  - .args:
      - .offset:         0
        .size:           4
        .value_kind:     by_value
      - .offset:         4
        .size:           4
        .value_kind:     by_value
      - .offset:         8
        .size:           8
        .value_kind:     by_value
      - .offset:         16
        .size:           8
        .value_kind:     by_value
      - .address_space:  global
        .offset:         24
        .size:           8
        .value_kind:     global_buffer
      - .offset:         32
        .size:           8
        .value_kind:     by_value
      - .offset:         40
        .size:           8
        .value_kind:     by_value
      - .offset:         48
        .size:           4
        .value_kind:     by_value
      - .offset:         56
        .size:           4
        .value_kind:     hidden_block_count_x
      - .offset:         60
        .size:           4
        .value_kind:     hidden_block_count_y
      - .offset:         64
        .size:           4
        .value_kind:     hidden_block_count_z
      - .offset:         68
        .size:           2
        .value_kind:     hidden_group_size_x
      - .offset:         70
        .size:           2
        .value_kind:     hidden_group_size_y
      - .offset:         72
        .size:           2
        .value_kind:     hidden_group_size_z
      - .offset:         74
        .size:           2
        .value_kind:     hidden_remainder_x
      - .offset:         76
        .size:           2
        .value_kind:     hidden_remainder_y
      - .offset:         78
        .size:           2
        .value_kind:     hidden_remainder_z
      - .offset:         96
        .size:           8
        .value_kind:     hidden_global_offset_x
      - .offset:         104
        .size:           8
        .value_kind:     hidden_global_offset_y
      - .offset:         112
        .size:           8
        .value_kind:     hidden_global_offset_z
      - .offset:         120
        .size:           2
        .value_kind:     hidden_grid_dims
    .group_segment_fixed_size: 0
    .kernarg_segment_align: 8
    .kernarg_segment_size: 312
    .language:       OpenCL C
    .language_version:
      - 2
      - 0
    .max_flat_workgroup_size: 256
    .name:           _ZL44rocblas_set_matrix_zero_if_alpha_zero_kernelILi16ELi16E19rocblas_complex_numIfEPKPS1_EviiT1_lT2_lli
    .private_segment_fixed_size: 0
    .sgpr_count:     20
    .sgpr_spill_count: 0
    .symbol:         _ZL44rocblas_set_matrix_zero_if_alpha_zero_kernelILi16ELi16E19rocblas_complex_numIfEPKPS1_EviiT1_lT2_lli.kd
    .uniform_work_group_size: 1
    .uses_dynamic_stack: false
    .vgpr_count:     9
    .vgpr_spill_count: 0
    .wavefront_size: 64
  - .args:
      - .offset:         0
        .size:           4
        .value_kind:     by_value
      - .offset:         4
        .size:           4
        .value_kind:     by_value
      - .address_space:  global
        .offset:         8
        .size:           8
        .value_kind:     global_buffer
      - .offset:         16
        .size:           8
        .value_kind:     by_value
      - .address_space:  global
        .offset:         24
        .size:           8
        .value_kind:     global_buffer
      - .offset:         32
        .size:           8
        .value_kind:     by_value
      - .offset:         40
        .size:           8
        .value_kind:     by_value
      - .offset:         48
        .size:           4
        .value_kind:     by_value
      - .offset:         56
        .size:           4
        .value_kind:     hidden_block_count_x
      - .offset:         60
        .size:           4
        .value_kind:     hidden_block_count_y
      - .offset:         64
        .size:           4
        .value_kind:     hidden_block_count_z
      - .offset:         68
        .size:           2
        .value_kind:     hidden_group_size_x
      - .offset:         70
        .size:           2
        .value_kind:     hidden_group_size_y
      - .offset:         72
        .size:           2
        .value_kind:     hidden_group_size_z
      - .offset:         74
        .size:           2
        .value_kind:     hidden_remainder_x
      - .offset:         76
        .size:           2
        .value_kind:     hidden_remainder_y
      - .offset:         78
        .size:           2
        .value_kind:     hidden_remainder_z
      - .offset:         96
        .size:           8
        .value_kind:     hidden_global_offset_x
      - .offset:         104
        .size:           8
        .value_kind:     hidden_global_offset_y
      - .offset:         112
        .size:           8
        .value_kind:     hidden_global_offset_z
      - .offset:         120
        .size:           2
        .value_kind:     hidden_grid_dims
    .group_segment_fixed_size: 0
    .kernarg_segment_align: 8
    .kernarg_segment_size: 312
    .language:       OpenCL C
    .language_version:
      - 2
      - 0
    .max_flat_workgroup_size: 256
    .name:           _ZL44rocblas_set_matrix_zero_if_alpha_zero_kernelILi16ELi16EPK19rocblas_complex_numIfEPS1_EviiT1_lT2_lli
    .private_segment_fixed_size: 0
    .sgpr_count:     24
    .sgpr_spill_count: 0
    .symbol:         _ZL44rocblas_set_matrix_zero_if_alpha_zero_kernelILi16ELi16EPK19rocblas_complex_numIfEPS1_EviiT1_lT2_lli.kd
    .uniform_work_group_size: 1
    .uses_dynamic_stack: false
    .vgpr_count:     8
    .vgpr_spill_count: 0
    .wavefront_size: 64
  - .args:
      - .offset:         0
        .size:           4
        .value_kind:     by_value
      - .offset:         4
        .size:           4
        .value_kind:     by_value
      - .offset:         8
        .size:           8
        .value_kind:     by_value
      - .offset:         16
        .size:           8
        .value_kind:     by_value
      - .address_space:  global
        .offset:         24
        .size:           8
        .value_kind:     global_buffer
      - .offset:         32
        .size:           8
        .value_kind:     by_value
      - .offset:         40
        .size:           8
        .value_kind:     by_value
      - .offset:         48
        .size:           4
        .value_kind:     by_value
      - .offset:         56
        .size:           4
        .value_kind:     hidden_block_count_x
      - .offset:         60
        .size:           4
        .value_kind:     hidden_block_count_y
      - .offset:         64
        .size:           4
        .value_kind:     hidden_block_count_z
      - .offset:         68
        .size:           2
        .value_kind:     hidden_group_size_x
      - .offset:         70
        .size:           2
        .value_kind:     hidden_group_size_y
      - .offset:         72
        .size:           2
        .value_kind:     hidden_group_size_z
      - .offset:         74
        .size:           2
        .value_kind:     hidden_remainder_x
      - .offset:         76
        .size:           2
        .value_kind:     hidden_remainder_y
      - .offset:         78
        .size:           2
        .value_kind:     hidden_remainder_z
      - .offset:         96
        .size:           8
        .value_kind:     hidden_global_offset_x
      - .offset:         104
        .size:           8
        .value_kind:     hidden_global_offset_y
      - .offset:         112
        .size:           8
        .value_kind:     hidden_global_offset_z
      - .offset:         120
        .size:           2
        .value_kind:     hidden_grid_dims
    .group_segment_fixed_size: 0
    .kernarg_segment_align: 8
    .kernarg_segment_size: 312
    .language:       OpenCL C
    .language_version:
      - 2
      - 0
    .max_flat_workgroup_size: 256
    .name:           _ZL44rocblas_set_matrix_zero_if_alpha_zero_kernelILi16ELi16E19rocblas_complex_numIfEPS1_EviiT1_lT2_lli
    .private_segment_fixed_size: 0
    .sgpr_count:     20
    .sgpr_spill_count: 0
    .symbol:         _ZL44rocblas_set_matrix_zero_if_alpha_zero_kernelILi16ELi16E19rocblas_complex_numIfEPS1_EviiT1_lT2_lli.kd
    .uniform_work_group_size: 1
    .uses_dynamic_stack: false
    .vgpr_count:     8
    .vgpr_spill_count: 0
    .wavefront_size: 64
  - .args:
      - .offset:         0
        .size:           4
        .value_kind:     by_value
      - .offset:         4
        .size:           4
        .value_kind:     by_value
      - .address_space:  global
        .offset:         8
        .size:           8
        .value_kind:     global_buffer
      - .offset:         16
        .size:           8
        .value_kind:     by_value
      - .address_space:  global
        .offset:         24
        .size:           8
        .value_kind:     global_buffer
      - .offset:         32
        .size:           8
        .value_kind:     by_value
      - .offset:         40
        .size:           8
        .value_kind:     by_value
      - .offset:         48
        .size:           4
        .value_kind:     by_value
      - .offset:         56
        .size:           4
        .value_kind:     hidden_block_count_x
      - .offset:         60
        .size:           4
        .value_kind:     hidden_block_count_y
      - .offset:         64
        .size:           4
        .value_kind:     hidden_block_count_z
      - .offset:         68
        .size:           2
        .value_kind:     hidden_group_size_x
      - .offset:         70
        .size:           2
        .value_kind:     hidden_group_size_y
      - .offset:         72
        .size:           2
        .value_kind:     hidden_group_size_z
      - .offset:         74
        .size:           2
        .value_kind:     hidden_remainder_x
      - .offset:         76
        .size:           2
        .value_kind:     hidden_remainder_y
      - .offset:         78
        .size:           2
        .value_kind:     hidden_remainder_z
      - .offset:         96
        .size:           8
        .value_kind:     hidden_global_offset_x
      - .offset:         104
        .size:           8
        .value_kind:     hidden_global_offset_y
      - .offset:         112
        .size:           8
        .value_kind:     hidden_global_offset_z
      - .offset:         120
        .size:           2
        .value_kind:     hidden_grid_dims
    .group_segment_fixed_size: 0
    .kernarg_segment_align: 8
    .kernarg_segment_size: 312
    .language:       OpenCL C
    .language_version:
      - 2
      - 0
    .max_flat_workgroup_size: 256
    .name:           _ZL44rocblas_set_matrix_zero_if_alpha_zero_kernelILi16ELi16EPK19rocblas_complex_numIdEPKPS1_EviiT1_lT2_lli
    .private_segment_fixed_size: 0
    .sgpr_count:     24
    .sgpr_spill_count: 0
    .symbol:         _ZL44rocblas_set_matrix_zero_if_alpha_zero_kernelILi16ELi16EPK19rocblas_complex_numIdEPKPS1_EviiT1_lT2_lli.kd
    .uniform_work_group_size: 1
    .uses_dynamic_stack: false
    .vgpr_count:     9
    .vgpr_spill_count: 0
    .wavefront_size: 64
  - .args:
      - .offset:         0
        .size:           4
        .value_kind:     by_value
      - .offset:         4
        .size:           4
        .value_kind:     by_value
      - .offset:         8
        .size:           16
        .value_kind:     by_value
      - .offset:         24
        .size:           8
        .value_kind:     by_value
      - .address_space:  global
        .offset:         32
        .size:           8
        .value_kind:     global_buffer
      - .offset:         40
        .size:           8
        .value_kind:     by_value
      - .offset:         48
        .size:           8
        .value_kind:     by_value
      - .offset:         56
        .size:           4
        .value_kind:     by_value
      - .offset:         64
        .size:           4
        .value_kind:     hidden_block_count_x
      - .offset:         68
        .size:           4
        .value_kind:     hidden_block_count_y
      - .offset:         72
        .size:           4
        .value_kind:     hidden_block_count_z
      - .offset:         76
        .size:           2
        .value_kind:     hidden_group_size_x
      - .offset:         78
        .size:           2
        .value_kind:     hidden_group_size_y
      - .offset:         80
        .size:           2
        .value_kind:     hidden_group_size_z
      - .offset:         82
        .size:           2
        .value_kind:     hidden_remainder_x
      - .offset:         84
        .size:           2
        .value_kind:     hidden_remainder_y
      - .offset:         86
        .size:           2
        .value_kind:     hidden_remainder_z
      - .offset:         104
        .size:           8
        .value_kind:     hidden_global_offset_x
      - .offset:         112
        .size:           8
        .value_kind:     hidden_global_offset_y
      - .offset:         120
        .size:           8
        .value_kind:     hidden_global_offset_z
      - .offset:         128
        .size:           2
        .value_kind:     hidden_grid_dims
    .group_segment_fixed_size: 0
    .kernarg_segment_align: 8
    .kernarg_segment_size: 320
    .language:       OpenCL C
    .language_version:
      - 2
      - 0
    .max_flat_workgroup_size: 256
    .name:           _ZL44rocblas_set_matrix_zero_if_alpha_zero_kernelILi16ELi16E19rocblas_complex_numIdEPKPS1_EviiT1_lT2_lli
    .private_segment_fixed_size: 0
    .sgpr_count:     20
    .sgpr_spill_count: 0
    .symbol:         _ZL44rocblas_set_matrix_zero_if_alpha_zero_kernelILi16ELi16E19rocblas_complex_numIdEPKPS1_EviiT1_lT2_lli.kd
    .uniform_work_group_size: 1
    .uses_dynamic_stack: false
    .vgpr_count:     9
    .vgpr_spill_count: 0
    .wavefront_size: 64
  - .args:
      - .offset:         0
        .size:           4
        .value_kind:     by_value
      - .offset:         4
        .size:           4
        .value_kind:     by_value
      - .address_space:  global
        .offset:         8
        .size:           8
        .value_kind:     global_buffer
      - .offset:         16
        .size:           8
        .value_kind:     by_value
      - .address_space:  global
        .offset:         24
        .size:           8
        .value_kind:     global_buffer
      - .offset:         32
        .size:           8
        .value_kind:     by_value
      - .offset:         40
        .size:           8
        .value_kind:     by_value
      - .offset:         48
        .size:           4
        .value_kind:     by_value
      - .offset:         56
        .size:           4
        .value_kind:     hidden_block_count_x
      - .offset:         60
        .size:           4
        .value_kind:     hidden_block_count_y
      - .offset:         64
        .size:           4
        .value_kind:     hidden_block_count_z
      - .offset:         68
        .size:           2
        .value_kind:     hidden_group_size_x
      - .offset:         70
        .size:           2
        .value_kind:     hidden_group_size_y
      - .offset:         72
        .size:           2
        .value_kind:     hidden_group_size_z
      - .offset:         74
        .size:           2
        .value_kind:     hidden_remainder_x
      - .offset:         76
        .size:           2
        .value_kind:     hidden_remainder_y
      - .offset:         78
        .size:           2
        .value_kind:     hidden_remainder_z
      - .offset:         96
        .size:           8
        .value_kind:     hidden_global_offset_x
      - .offset:         104
        .size:           8
        .value_kind:     hidden_global_offset_y
      - .offset:         112
        .size:           8
        .value_kind:     hidden_global_offset_z
      - .offset:         120
        .size:           2
        .value_kind:     hidden_grid_dims
    .group_segment_fixed_size: 0
    .kernarg_segment_align: 8
    .kernarg_segment_size: 312
    .language:       OpenCL C
    .language_version:
      - 2
      - 0
    .max_flat_workgroup_size: 256
    .name:           _ZL44rocblas_set_matrix_zero_if_alpha_zero_kernelILi16ELi16EPK19rocblas_complex_numIdEPS1_EviiT1_lT2_lli
    .private_segment_fixed_size: 0
    .sgpr_count:     24
    .sgpr_spill_count: 0
    .symbol:         _ZL44rocblas_set_matrix_zero_if_alpha_zero_kernelILi16ELi16EPK19rocblas_complex_numIdEPS1_EviiT1_lT2_lli.kd
    .uniform_work_group_size: 1
    .uses_dynamic_stack: false
    .vgpr_count:     9
    .vgpr_spill_count: 0
    .wavefront_size: 64
  - .args:
      - .offset:         0
        .size:           4
        .value_kind:     by_value
      - .offset:         4
        .size:           4
        .value_kind:     by_value
      - .offset:         8
        .size:           16
        .value_kind:     by_value
      - .offset:         24
        .size:           8
        .value_kind:     by_value
      - .address_space:  global
        .offset:         32
        .size:           8
        .value_kind:     global_buffer
      - .offset:         40
        .size:           8
        .value_kind:     by_value
      - .offset:         48
        .size:           8
        .value_kind:     by_value
      - .offset:         56
        .size:           4
        .value_kind:     by_value
      - .offset:         64
        .size:           4
        .value_kind:     hidden_block_count_x
      - .offset:         68
        .size:           4
        .value_kind:     hidden_block_count_y
      - .offset:         72
        .size:           4
        .value_kind:     hidden_block_count_z
      - .offset:         76
        .size:           2
        .value_kind:     hidden_group_size_x
      - .offset:         78
        .size:           2
        .value_kind:     hidden_group_size_y
      - .offset:         80
        .size:           2
        .value_kind:     hidden_group_size_z
      - .offset:         82
        .size:           2
        .value_kind:     hidden_remainder_x
      - .offset:         84
        .size:           2
        .value_kind:     hidden_remainder_y
      - .offset:         86
        .size:           2
        .value_kind:     hidden_remainder_z
      - .offset:         104
        .size:           8
        .value_kind:     hidden_global_offset_x
      - .offset:         112
        .size:           8
        .value_kind:     hidden_global_offset_y
      - .offset:         120
        .size:           8
        .value_kind:     hidden_global_offset_z
      - .offset:         128
        .size:           2
        .value_kind:     hidden_grid_dims
    .group_segment_fixed_size: 0
    .kernarg_segment_align: 8
    .kernarg_segment_size: 320
    .language:       OpenCL C
    .language_version:
      - 2
      - 0
    .max_flat_workgroup_size: 256
    .name:           _ZL44rocblas_set_matrix_zero_if_alpha_zero_kernelILi16ELi16E19rocblas_complex_numIdEPS1_EviiT1_lT2_lli
    .private_segment_fixed_size: 0
    .sgpr_count:     20
    .sgpr_spill_count: 0
    .symbol:         _ZL44rocblas_set_matrix_zero_if_alpha_zero_kernelILi16ELi16E19rocblas_complex_numIdEPS1_EviiT1_lT2_lli.kd
    .uniform_work_group_size: 1
    .uses_dynamic_stack: false
    .vgpr_count:     9
    .vgpr_spill_count: 0
    .wavefront_size: 64
amdhsa.target:   amdgcn-amd-amdhsa--gfx906
amdhsa.version:
  - 1
  - 2
...

	.end_amdgpu_metadata
